;; amdgpu-corpus repo=ROCm/hipCUB kind=compiled arch=gfx1201 opt=O3
	.amdgcn_target "amdgcn-amd-amdhsa--gfx1201"
	.amdhsa_code_object_version 6
	.section	.text._Z16sort_keys_kernelIiLj64ELj1EN10test_utils4lessELj10EEvPKT_PS2_T2_,"axG",@progbits,_Z16sort_keys_kernelIiLj64ELj1EN10test_utils4lessELj10EEvPKT_PS2_T2_,comdat
	.protected	_Z16sort_keys_kernelIiLj64ELj1EN10test_utils4lessELj10EEvPKT_PS2_T2_ ; -- Begin function _Z16sort_keys_kernelIiLj64ELj1EN10test_utils4lessELj10EEvPKT_PS2_T2_
	.globl	_Z16sort_keys_kernelIiLj64ELj1EN10test_utils4lessELj10EEvPKT_PS2_T2_
	.p2align	8
	.type	_Z16sort_keys_kernelIiLj64ELj1EN10test_utils4lessELj10EEvPKT_PS2_T2_,@function
_Z16sort_keys_kernelIiLj64ELj1EN10test_utils4lessELj10EEvPKT_PS2_T2_: ; @_Z16sort_keys_kernelIiLj64ELj1EN10test_utils4lessELj10EEvPKT_PS2_T2_
; %bb.0:
	s_load_b128 s[8:11], s[0:1], 0x0
	s_lshl_b32 s12, ttmp9, 6
	s_mov_b32 s13, 0
	v_lshlrev_b32_e32 v1, 2, v0
	s_lshl_b64 s[14:15], s[12:13], 2
	v_and_b32_e32 v13, 60, v0
	v_and_b32_e32 v19, 56, v0
	;; [unrolled: 1-line block ×5, first 2 shown]
	v_or_b32_e32 v36, 2, v13
	v_add_nc_u32_e32 v4, 4, v13
	v_or_b32_e32 v38, 4, v19
	v_add_nc_u32_e32 v10, 8, v19
	v_or_b32_e32 v40, 8, v26
	v_add_nc_u32_e32 v16, 16, v26
	v_or_b32_e32 v43, 16, v32
	v_add_nc_u32_e32 v20, 32, v32
	v_and_b32_e32 v35, 1, v0
	v_or_b32_e32 v2, 1, v7
	s_wait_kmcnt 0x0
	s_add_nc_u64 s[0:1], s[8:9], s[14:15]
	v_and_b32_e32 v37, 3, v0
	global_load_b32 v41, v1, s[0:1]
	v_sub_nc_u32_e32 v11, v4, v36
	v_and_b32_e32 v39, 7, v0
	v_sub_nc_u32_e32 v17, v10, v38
	v_and_b32_e32 v42, 15, v0
	;; [unrolled: 2-line block ×3, first 2 shown]
	v_sub_nc_u32_e32 v27, v20, v43
	v_add_nc_u32_e32 v5, -1, v35
	v_sub_nc_u32_e32 v3, v2, v7
	v_cmp_lt_i32_e32 vcc_lo, 0, v35
	v_sub_nc_u32_e32 v12, v37, v11
	v_sub_nc_u32_e32 v9, v36, v13
	v_cmp_ge_i32_e64 s0, v37, v11
	v_sub_nc_u32_e32 v18, v39, v17
	v_sub_nc_u32_e32 v15, v38, v19
	v_cmp_ge_i32_e64 s1, v39, v17
	;; [unrolled: 3-line block ×4, first 2 shown]
	v_dual_cndmask_b32 v5, 0, v5 :: v_dual_add_nc_u32 v8, v2, v35
	v_min_i32_e32 v6, v35, v3
	v_cndmask_b32_e64 v11, 0, v12, s0
	v_min_i32_e32 v12, v37, v9
	v_add_nc_u32_e32 v14, v36, v37
	v_cndmask_b32_e64 v17, 0, v18, s1
	v_min_i32_e32 v18, v39, v15
	v_cndmask_b32_e64 v22, 0, v23, s2
	v_min_i32_e32 v23, v42, v21
	v_add_nc_u32_e32 v24, v38, v39
	v_cndmask_b32_e64 v27, 0, v28, s3
	v_min_i32_e32 v28, v44, v25
	v_sub_nc_u32_e64 v29, v0, 32 clamp
	v_min_i32_e32 v30, 32, v0
	v_add_nc_u32_e32 v31, v40, v42
	v_add_nc_u32_e32 v33, v43, v44
	v_lshlrev_b32_e32 v35, 2, v35
	v_lshlrev_b32_e32 v37, 2, v37
	;; [unrolled: 1-line block ×7, first 2 shown]
	v_cmp_lt_i32_e64 s0, v11, v12
	v_lshlrev_b32_e32 v19, 2, v19
	v_cmp_lt_i32_e64 s1, v17, v18
	v_lshlrev_b32_e32 v26, 2, v26
	;; [unrolled: 2-line block ×3, first 2 shown]
	v_cmp_lt_i32_e64 s3, v27, v28
	v_cmp_lt_i32_e64 s4, v29, v30
	v_add_nc_u32_e32 v34, 32, v0
	v_lshl_add_u32 v35, v2, 2, v35
	v_lshl_add_u32 v36, v36, 2, v37
	;; [unrolled: 1-line block ×5, first 2 shown]
	v_add_nc_u32_e32 v40, 0x80, v1
	v_cmp_lt_i32_e32 vcc_lo, v5, v6
	s_branch .LBB0_2
.LBB0_1:                                ;   in Loop: Header=BB0_2 Depth=1
	s_or_b32 exec_lo, exec_lo, s6
	v_sub_nc_u32_e32 v42, v34, v41
	v_lshlrev_b32_e32 v43, 2, v41
	v_cmp_le_i32_e64 s5, 32, v41
	s_add_co_i32 s13, s13, 1
	v_lshlrev_b32_e32 v44, 2, v42
	v_cmp_gt_i32_e64 s7, 64, v42
	ds_load_b32 v43, v43
	ds_load_b32 v44, v44
	s_wait_dscnt 0x0
	v_cmp_lt_i32_e64 s6, v44, v43
	s_or_b32 s5, s5, s6
	s_wait_alu 0xfffe
	s_and_b32 s5, s7, s5
	s_cmp_eq_u32 s13, 10
	s_wait_alu 0xfffe
	v_cndmask_b32_e64 v41, v43, v44, s5
	s_cbranch_scc1 .LBB0_26
.LBB0_2:                                ; =>This Loop Header: Depth=1
                                        ;     Child Loop BB0_4 Depth 2
                                        ;     Child Loop BB0_8 Depth 2
	;; [unrolled: 1-line block ×6, first 2 shown]
	s_wait_loadcnt 0x0
	s_barrier_signal -1
	s_barrier_wait -1
	global_inv scope:SCOPE_SE
	ds_store_b32 v1, v41
	v_mov_b32_e32 v41, v5
	s_wait_loadcnt_dscnt 0x0
	s_barrier_signal -1
	s_barrier_wait -1
	global_inv scope:SCOPE_SE
	s_and_saveexec_b32 s6, vcc_lo
	s_cbranch_execz .LBB0_6
; %bb.3:                                ;   in Loop: Header=BB0_2 Depth=1
	v_dual_mov_b32 v41, v5 :: v_dual_mov_b32 v42, v6
	s_mov_b32 s7, 0
.LBB0_4:                                ;   Parent Loop BB0_2 Depth=1
                                        ; =>  This Inner Loop Header: Depth=2
	s_delay_alu instid0(VALU_DEP_1) | instskip(NEXT) | instid1(VALU_DEP_1)
	v_sub_nc_u32_e32 v43, v42, v41
	v_lshrrev_b32_e32 v43, 1, v43
	s_delay_alu instid0(VALU_DEP_1) | instskip(NEXT) | instid1(VALU_DEP_1)
	v_add_nc_u32_e32 v43, v43, v41
	v_not_b32_e32 v44, v43
	v_lshl_add_u32 v45, v43, 2, v7
	v_add_nc_u32_e32 v46, 1, v43
	s_delay_alu instid0(VALU_DEP_3)
	v_lshl_add_u32 v44, v44, 2, v35
	ds_load_b32 v45, v45
	ds_load_b32 v44, v44
	s_wait_dscnt 0x0
	v_cmp_lt_i32_e64 s5, v44, v45
	s_wait_alu 0xf1ff
	s_delay_alu instid0(VALU_DEP_1) | instskip(SKIP_1) | instid1(VALU_DEP_1)
	v_cndmask_b32_e64 v42, v42, v43, s5
	v_cndmask_b32_e64 v41, v46, v41, s5
	v_cmp_ge_i32_e64 s5, v41, v42
	s_or_b32 s7, s5, s7
	s_delay_alu instid0(SALU_CYCLE_1)
	s_and_not1_b32 exec_lo, exec_lo, s7
	s_cbranch_execnz .LBB0_4
; %bb.5:                                ;   in Loop: Header=BB0_2 Depth=1
	s_or_b32 exec_lo, exec_lo, s7
.LBB0_6:                                ;   in Loop: Header=BB0_2 Depth=1
	s_delay_alu instid0(SALU_CYCLE_1) | instskip(SKIP_3) | instid1(VALU_DEP_3)
	s_or_b32 exec_lo, exec_lo, s6
	v_sub_nc_u32_e32 v42, v8, v41
	v_lshl_add_u32 v43, v41, 2, v7
	v_cmp_ge_i32_e64 s5, v41, v3
	v_dual_mov_b32 v41, v11 :: v_dual_lshlrev_b32 v44, 2, v42
	v_cmp_ge_i32_e64 s7, v2, v42
	ds_load_b32 v43, v43
	ds_load_b32 v44, v44
	s_wait_loadcnt_dscnt 0x0
	s_barrier_signal -1
	s_barrier_wait -1
	global_inv scope:SCOPE_SE
	v_cmp_lt_i32_e64 s6, v44, v43
	s_or_b32 s5, s5, s6
	s_wait_alu 0xfffe
	s_and_b32 s5, s7, s5
	s_wait_alu 0xfffe
	v_cndmask_b32_e64 v42, v43, v44, s5
	ds_store_b32 v1, v42
	s_wait_loadcnt_dscnt 0x0
	s_barrier_signal -1
	s_barrier_wait -1
	global_inv scope:SCOPE_SE
	s_and_saveexec_b32 s6, s0
	s_cbranch_execz .LBB0_10
; %bb.7:                                ;   in Loop: Header=BB0_2 Depth=1
	v_dual_mov_b32 v41, v11 :: v_dual_mov_b32 v42, v12
	s_mov_b32 s7, 0
.LBB0_8:                                ;   Parent Loop BB0_2 Depth=1
                                        ; =>  This Inner Loop Header: Depth=2
	s_delay_alu instid0(VALU_DEP_1) | instskip(NEXT) | instid1(VALU_DEP_1)
	v_sub_nc_u32_e32 v43, v42, v41
	v_lshrrev_b32_e32 v43, 1, v43
	s_delay_alu instid0(VALU_DEP_1) | instskip(NEXT) | instid1(VALU_DEP_1)
	v_add_nc_u32_e32 v43, v43, v41
	v_not_b32_e32 v44, v43
	v_lshl_add_u32 v45, v43, 2, v13
	v_add_nc_u32_e32 v46, 1, v43
	s_delay_alu instid0(VALU_DEP_3)
	v_lshl_add_u32 v44, v44, 2, v36
	ds_load_b32 v45, v45
	ds_load_b32 v44, v44
	s_wait_dscnt 0x0
	v_cmp_lt_i32_e64 s5, v44, v45
	s_wait_alu 0xf1ff
	s_delay_alu instid0(VALU_DEP_1) | instskip(SKIP_1) | instid1(VALU_DEP_1)
	v_cndmask_b32_e64 v42, v42, v43, s5
	v_cndmask_b32_e64 v41, v46, v41, s5
	v_cmp_ge_i32_e64 s5, v41, v42
	s_or_b32 s7, s5, s7
	s_delay_alu instid0(SALU_CYCLE_1)
	s_and_not1_b32 exec_lo, exec_lo, s7
	s_cbranch_execnz .LBB0_8
; %bb.9:                                ;   in Loop: Header=BB0_2 Depth=1
	s_or_b32 exec_lo, exec_lo, s7
.LBB0_10:                               ;   in Loop: Header=BB0_2 Depth=1
	s_delay_alu instid0(SALU_CYCLE_1) | instskip(SKIP_3) | instid1(VALU_DEP_3)
	s_or_b32 exec_lo, exec_lo, s6
	v_sub_nc_u32_e32 v42, v14, v41
	v_lshl_add_u32 v43, v41, 2, v13
	v_cmp_ge_i32_e64 s5, v41, v9
	v_dual_mov_b32 v41, v17 :: v_dual_lshlrev_b32 v44, 2, v42
	v_cmp_gt_i32_e64 s7, v4, v42
	ds_load_b32 v43, v43
	ds_load_b32 v44, v44
	s_wait_loadcnt_dscnt 0x0
	s_barrier_signal -1
	s_barrier_wait -1
	global_inv scope:SCOPE_SE
	v_cmp_lt_i32_e64 s6, v44, v43
	s_or_b32 s5, s5, s6
	s_wait_alu 0xfffe
	s_and_b32 s5, s7, s5
	s_wait_alu 0xfffe
	v_cndmask_b32_e64 v42, v43, v44, s5
	ds_store_b32 v1, v42
	s_wait_loadcnt_dscnt 0x0
	s_barrier_signal -1
	s_barrier_wait -1
	global_inv scope:SCOPE_SE
	s_and_saveexec_b32 s6, s1
	s_cbranch_execz .LBB0_14
; %bb.11:                               ;   in Loop: Header=BB0_2 Depth=1
	v_dual_mov_b32 v41, v17 :: v_dual_mov_b32 v42, v18
	s_mov_b32 s7, 0
.LBB0_12:                               ;   Parent Loop BB0_2 Depth=1
                                        ; =>  This Inner Loop Header: Depth=2
	s_delay_alu instid0(VALU_DEP_1) | instskip(NEXT) | instid1(VALU_DEP_1)
	v_sub_nc_u32_e32 v43, v42, v41
	v_lshrrev_b32_e32 v43, 1, v43
	s_delay_alu instid0(VALU_DEP_1) | instskip(NEXT) | instid1(VALU_DEP_1)
	v_add_nc_u32_e32 v43, v43, v41
	v_not_b32_e32 v44, v43
	v_lshl_add_u32 v45, v43, 2, v19
	v_add_nc_u32_e32 v46, 1, v43
	s_delay_alu instid0(VALU_DEP_3)
	v_lshl_add_u32 v44, v44, 2, v37
	ds_load_b32 v45, v45
	ds_load_b32 v44, v44
	s_wait_dscnt 0x0
	v_cmp_lt_i32_e64 s5, v44, v45
	s_wait_alu 0xf1ff
	s_delay_alu instid0(VALU_DEP_1) | instskip(SKIP_1) | instid1(VALU_DEP_1)
	v_cndmask_b32_e64 v42, v42, v43, s5
	v_cndmask_b32_e64 v41, v46, v41, s5
	v_cmp_ge_i32_e64 s5, v41, v42
	s_or_b32 s7, s5, s7
	s_delay_alu instid0(SALU_CYCLE_1)
	s_and_not1_b32 exec_lo, exec_lo, s7
	s_cbranch_execnz .LBB0_12
; %bb.13:                               ;   in Loop: Header=BB0_2 Depth=1
	s_or_b32 exec_lo, exec_lo, s7
.LBB0_14:                               ;   in Loop: Header=BB0_2 Depth=1
	s_delay_alu instid0(SALU_CYCLE_1) | instskip(SKIP_3) | instid1(VALU_DEP_3)
	s_or_b32 exec_lo, exec_lo, s6
	v_sub_nc_u32_e32 v42, v24, v41
	v_lshl_add_u32 v43, v41, 2, v19
	v_cmp_ge_i32_e64 s5, v41, v15
	v_dual_mov_b32 v41, v22 :: v_dual_lshlrev_b32 v44, 2, v42
	v_cmp_gt_i32_e64 s7, v10, v42
	ds_load_b32 v43, v43
	ds_load_b32 v44, v44
	s_wait_loadcnt_dscnt 0x0
	s_barrier_signal -1
	s_barrier_wait -1
	global_inv scope:SCOPE_SE
	v_cmp_lt_i32_e64 s6, v44, v43
	s_or_b32 s5, s5, s6
	s_wait_alu 0xfffe
	s_and_b32 s5, s7, s5
	s_wait_alu 0xfffe
	v_cndmask_b32_e64 v42, v43, v44, s5
	ds_store_b32 v1, v42
	s_wait_loadcnt_dscnt 0x0
	s_barrier_signal -1
	s_barrier_wait -1
	global_inv scope:SCOPE_SE
	s_and_saveexec_b32 s6, s2
	s_cbranch_execz .LBB0_18
; %bb.15:                               ;   in Loop: Header=BB0_2 Depth=1
	v_dual_mov_b32 v41, v22 :: v_dual_mov_b32 v42, v23
	s_mov_b32 s7, 0
.LBB0_16:                               ;   Parent Loop BB0_2 Depth=1
                                        ; =>  This Inner Loop Header: Depth=2
	s_delay_alu instid0(VALU_DEP_1) | instskip(NEXT) | instid1(VALU_DEP_1)
	v_sub_nc_u32_e32 v43, v42, v41
	v_lshrrev_b32_e32 v43, 1, v43
	s_delay_alu instid0(VALU_DEP_1) | instskip(NEXT) | instid1(VALU_DEP_1)
	v_add_nc_u32_e32 v43, v43, v41
	v_not_b32_e32 v44, v43
	v_lshl_add_u32 v45, v43, 2, v26
	v_add_nc_u32_e32 v46, 1, v43
	s_delay_alu instid0(VALU_DEP_3)
	v_lshl_add_u32 v44, v44, 2, v38
	ds_load_b32 v45, v45
	ds_load_b32 v44, v44
	s_wait_dscnt 0x0
	v_cmp_lt_i32_e64 s5, v44, v45
	s_wait_alu 0xf1ff
	s_delay_alu instid0(VALU_DEP_1) | instskip(SKIP_1) | instid1(VALU_DEP_1)
	v_cndmask_b32_e64 v42, v42, v43, s5
	v_cndmask_b32_e64 v41, v46, v41, s5
	v_cmp_ge_i32_e64 s5, v41, v42
	s_or_b32 s7, s5, s7
	s_delay_alu instid0(SALU_CYCLE_1)
	s_and_not1_b32 exec_lo, exec_lo, s7
	s_cbranch_execnz .LBB0_16
; %bb.17:                               ;   in Loop: Header=BB0_2 Depth=1
	s_or_b32 exec_lo, exec_lo, s7
.LBB0_18:                               ;   in Loop: Header=BB0_2 Depth=1
	;; [unrolled: 57-line block ×3, first 2 shown]
	s_delay_alu instid0(SALU_CYCLE_1) | instskip(SKIP_3) | instid1(VALU_DEP_3)
	s_or_b32 exec_lo, exec_lo, s6
	v_sub_nc_u32_e32 v42, v33, v41
	v_lshl_add_u32 v43, v41, 2, v32
	v_cmp_ge_i32_e64 s5, v41, v25
	v_dual_mov_b32 v41, v29 :: v_dual_lshlrev_b32 v44, 2, v42
	v_cmp_gt_i32_e64 s7, v20, v42
	ds_load_b32 v43, v43
	ds_load_b32 v44, v44
	s_wait_loadcnt_dscnt 0x0
	s_barrier_signal -1
	s_barrier_wait -1
	global_inv scope:SCOPE_SE
	v_cmp_lt_i32_e64 s6, v44, v43
	s_or_b32 s5, s5, s6
	s_wait_alu 0xfffe
	s_and_b32 s5, s7, s5
	s_wait_alu 0xfffe
	v_cndmask_b32_e64 v42, v43, v44, s5
	ds_store_b32 v1, v42
	s_wait_loadcnt_dscnt 0x0
	s_barrier_signal -1
	s_barrier_wait -1
	global_inv scope:SCOPE_SE
	s_and_saveexec_b32 s6, s4
	s_cbranch_execz .LBB0_1
; %bb.23:                               ;   in Loop: Header=BB0_2 Depth=1
	v_dual_mov_b32 v41, v29 :: v_dual_mov_b32 v42, v30
	s_mov_b32 s7, 0
.LBB0_24:                               ;   Parent Loop BB0_2 Depth=1
                                        ; =>  This Inner Loop Header: Depth=2
	s_delay_alu instid0(VALU_DEP_1) | instskip(NEXT) | instid1(VALU_DEP_1)
	v_sub_nc_u32_e32 v43, v42, v41
	v_lshrrev_b32_e32 v43, 1, v43
	s_delay_alu instid0(VALU_DEP_1) | instskip(NEXT) | instid1(VALU_DEP_1)
	v_add_nc_u32_e32 v43, v43, v41
	v_not_b32_e32 v44, v43
	v_lshlrev_b32_e32 v45, 2, v43
	v_add_nc_u32_e32 v46, 1, v43
	s_delay_alu instid0(VALU_DEP_3)
	v_lshl_add_u32 v44, v44, 2, v40
	ds_load_b32 v45, v45
	ds_load_b32 v44, v44
	s_wait_dscnt 0x0
	v_cmp_lt_i32_e64 s5, v44, v45
	s_wait_alu 0xf1ff
	s_delay_alu instid0(VALU_DEP_1) | instskip(SKIP_1) | instid1(VALU_DEP_1)
	v_cndmask_b32_e64 v42, v42, v43, s5
	v_cndmask_b32_e64 v41, v46, v41, s5
	v_cmp_ge_i32_e64 s5, v41, v42
	s_or_b32 s7, s5, s7
	s_delay_alu instid0(SALU_CYCLE_1)
	s_and_not1_b32 exec_lo, exec_lo, s7
	s_cbranch_execnz .LBB0_24
; %bb.25:                               ;   in Loop: Header=BB0_2 Depth=1
	s_or_b32 exec_lo, exec_lo, s7
	s_branch .LBB0_1
.LBB0_26:
	v_lshlrev_b32_e32 v0, 2, v0
	s_add_nc_u64 s[0:1], s[10:11], s[14:15]
	global_store_b32 v0, v41, s[0:1]
	s_endpgm
	.section	.rodata,"a",@progbits
	.p2align	6, 0x0
	.amdhsa_kernel _Z16sort_keys_kernelIiLj64ELj1EN10test_utils4lessELj10EEvPKT_PS2_T2_
		.amdhsa_group_segment_fixed_size 260
		.amdhsa_private_segment_fixed_size 0
		.amdhsa_kernarg_size 20
		.amdhsa_user_sgpr_count 2
		.amdhsa_user_sgpr_dispatch_ptr 0
		.amdhsa_user_sgpr_queue_ptr 0
		.amdhsa_user_sgpr_kernarg_segment_ptr 1
		.amdhsa_user_sgpr_dispatch_id 0
		.amdhsa_user_sgpr_private_segment_size 0
		.amdhsa_wavefront_size32 1
		.amdhsa_uses_dynamic_stack 0
		.amdhsa_enable_private_segment 0
		.amdhsa_system_sgpr_workgroup_id_x 1
		.amdhsa_system_sgpr_workgroup_id_y 0
		.amdhsa_system_sgpr_workgroup_id_z 0
		.amdhsa_system_sgpr_workgroup_info 0
		.amdhsa_system_vgpr_workitem_id 0
		.amdhsa_next_free_vgpr 47
		.amdhsa_next_free_sgpr 16
		.amdhsa_reserve_vcc 1
		.amdhsa_float_round_mode_32 0
		.amdhsa_float_round_mode_16_64 0
		.amdhsa_float_denorm_mode_32 3
		.amdhsa_float_denorm_mode_16_64 3
		.amdhsa_fp16_overflow 0
		.amdhsa_workgroup_processor_mode 1
		.amdhsa_memory_ordered 1
		.amdhsa_forward_progress 1
		.amdhsa_inst_pref_size 18
		.amdhsa_round_robin_scheduling 0
		.amdhsa_exception_fp_ieee_invalid_op 0
		.amdhsa_exception_fp_denorm_src 0
		.amdhsa_exception_fp_ieee_div_zero 0
		.amdhsa_exception_fp_ieee_overflow 0
		.amdhsa_exception_fp_ieee_underflow 0
		.amdhsa_exception_fp_ieee_inexact 0
		.amdhsa_exception_int_div_zero 0
	.end_amdhsa_kernel
	.section	.text._Z16sort_keys_kernelIiLj64ELj1EN10test_utils4lessELj10EEvPKT_PS2_T2_,"axG",@progbits,_Z16sort_keys_kernelIiLj64ELj1EN10test_utils4lessELj10EEvPKT_PS2_T2_,comdat
.Lfunc_end0:
	.size	_Z16sort_keys_kernelIiLj64ELj1EN10test_utils4lessELj10EEvPKT_PS2_T2_, .Lfunc_end0-_Z16sort_keys_kernelIiLj64ELj1EN10test_utils4lessELj10EEvPKT_PS2_T2_
                                        ; -- End function
	.set _Z16sort_keys_kernelIiLj64ELj1EN10test_utils4lessELj10EEvPKT_PS2_T2_.num_vgpr, 47
	.set _Z16sort_keys_kernelIiLj64ELj1EN10test_utils4lessELj10EEvPKT_PS2_T2_.num_agpr, 0
	.set _Z16sort_keys_kernelIiLj64ELj1EN10test_utils4lessELj10EEvPKT_PS2_T2_.numbered_sgpr, 16
	.set _Z16sort_keys_kernelIiLj64ELj1EN10test_utils4lessELj10EEvPKT_PS2_T2_.num_named_barrier, 0
	.set _Z16sort_keys_kernelIiLj64ELj1EN10test_utils4lessELj10EEvPKT_PS2_T2_.private_seg_size, 0
	.set _Z16sort_keys_kernelIiLj64ELj1EN10test_utils4lessELj10EEvPKT_PS2_T2_.uses_vcc, 1
	.set _Z16sort_keys_kernelIiLj64ELj1EN10test_utils4lessELj10EEvPKT_PS2_T2_.uses_flat_scratch, 0
	.set _Z16sort_keys_kernelIiLj64ELj1EN10test_utils4lessELj10EEvPKT_PS2_T2_.has_dyn_sized_stack, 0
	.set _Z16sort_keys_kernelIiLj64ELj1EN10test_utils4lessELj10EEvPKT_PS2_T2_.has_recursion, 0
	.set _Z16sort_keys_kernelIiLj64ELj1EN10test_utils4lessELj10EEvPKT_PS2_T2_.has_indirect_call, 0
	.section	.AMDGPU.csdata,"",@progbits
; Kernel info:
; codeLenInByte = 2248
; TotalNumSgprs: 18
; NumVgprs: 47
; ScratchSize: 0
; MemoryBound: 0
; FloatMode: 240
; IeeeMode: 1
; LDSByteSize: 260 bytes/workgroup (compile time only)
; SGPRBlocks: 0
; VGPRBlocks: 5
; NumSGPRsForWavesPerEU: 18
; NumVGPRsForWavesPerEU: 47
; Occupancy: 16
; WaveLimiterHint : 0
; COMPUTE_PGM_RSRC2:SCRATCH_EN: 0
; COMPUTE_PGM_RSRC2:USER_SGPR: 2
; COMPUTE_PGM_RSRC2:TRAP_HANDLER: 0
; COMPUTE_PGM_RSRC2:TGID_X_EN: 1
; COMPUTE_PGM_RSRC2:TGID_Y_EN: 0
; COMPUTE_PGM_RSRC2:TGID_Z_EN: 0
; COMPUTE_PGM_RSRC2:TIDIG_COMP_CNT: 0
	.section	.text._Z17sort_pairs_kernelIiLj64ELj1EN10test_utils4lessELj10EEvPKT_PS2_T2_,"axG",@progbits,_Z17sort_pairs_kernelIiLj64ELj1EN10test_utils4lessELj10EEvPKT_PS2_T2_,comdat
	.protected	_Z17sort_pairs_kernelIiLj64ELj1EN10test_utils4lessELj10EEvPKT_PS2_T2_ ; -- Begin function _Z17sort_pairs_kernelIiLj64ELj1EN10test_utils4lessELj10EEvPKT_PS2_T2_
	.globl	_Z17sort_pairs_kernelIiLj64ELj1EN10test_utils4lessELj10EEvPKT_PS2_T2_
	.p2align	8
	.type	_Z17sort_pairs_kernelIiLj64ELj1EN10test_utils4lessELj10EEvPKT_PS2_T2_,@function
_Z17sort_pairs_kernelIiLj64ELj1EN10test_utils4lessELj10EEvPKT_PS2_T2_: ; @_Z17sort_pairs_kernelIiLj64ELj1EN10test_utils4lessELj10EEvPKT_PS2_T2_
; %bb.0:
	s_load_b128 s[8:11], s[0:1], 0x0
	s_lshl_b32 s12, ttmp9, 6
	s_mov_b32 s13, 0
	v_lshlrev_b32_e32 v1, 2, v0
	s_lshl_b64 s[14:15], s[12:13], 2
	v_and_b32_e32 v3, 60, v0
	v_and_b32_e32 v2, 62, v0
	;; [unrolled: 1-line block ×5, first 2 shown]
	v_or_b32_e32 v12, 2, v3
	v_add_nc_u32_e32 v13, 4, v3
	v_and_b32_e32 v5, 48, v0
	v_or_b32_e32 v10, 1, v2
	v_add_nc_u32_e32 v24, -1, v35
	v_or_b32_e32 v15, 4, v4
	v_add_nc_u32_e32 v16, 8, v4
	v_sub_nc_u32_e32 v44, v13, v12
	v_and_b32_e32 v41, 7, v0
	v_and_b32_e32 v6, 32, v0
	s_wait_kmcnt 0x0
	s_add_nc_u64 s[0:1], s[8:9], s[14:15]
	v_or_b32_e32 v18, 8, v5
	global_load_b32 v45, v1, s[0:1]
	v_cmp_lt_i32_e64 s0, 0, v35
	v_add_nc_u32_e32 v19, 16, v5
	v_sub_nc_u32_e32 v36, v10, v2
	v_sub_nc_u32_e32 v37, v12, v3
	;; [unrolled: 1-line block ×3, first 2 shown]
	v_cndmask_b32_e64 v24, 0, v24, s0
	v_sub_nc_u32_e32 v50, v40, v44
	v_cmp_ge_i32_e64 s0, v40, v44
	v_and_b32_e32 v42, 15, v0
	v_or_b32_e32 v21, 16, v6
	v_add_nc_u32_e32 v22, 32, v6
	v_lshlrev_b32_e32 v30, 2, v35
	v_lshlrev_b32_e32 v31, 2, v40
	v_add_nc_u32_e32 v25, v10, v35
	v_add_nc_u32_e32 v26, v12, v40
	v_sub_nc_u32_e32 v38, v15, v4
	v_sub_nc_u32_e32 v47, v19, v18
	v_min_i32_e32 v35, v35, v36
	v_min_i32_e32 v36, v40, v37
	v_sub_nc_u32_e32 v51, v41, v46
	s_wait_alu 0xf1ff
	v_cndmask_b32_e64 v40, 0, v50, s0
	v_cmp_ge_i32_e64 s0, v41, v46
	v_and_b32_e32 v43, 31, v0
	v_lshlrev_b32_e32 v32, 2, v41
	v_add_nc_u32_e32 v27, v15, v41
	v_sub_nc_u32_e32 v39, v18, v5
	v_sub_nc_u32_e32 v49, v22, v21
	v_min_i32_e32 v37, v41, v38
	v_sub_nc_u32_e32 v52, v42, v47
	s_wait_alu 0xf1ff
	v_cndmask_b32_e64 v41, 0, v51, s0
	v_cmp_ge_i32_e64 s0, v42, v47
	v_lshlrev_b32_e32 v33, 2, v42
	v_add_nc_u32_e32 v28, v18, v42
	v_sub_nc_u32_e32 v48, v21, v6
	v_min_i32_e32 v38, v42, v39
	v_sub_nc_u32_e32 v53, v43, v49
	s_wait_alu 0xf1ff
	v_cndmask_b32_e64 v42, 0, v52, s0
	v_cmp_ge_i32_e64 s0, v43, v49
	v_lshlrev_b32_e32 v34, 2, v43
	v_add_nc_u32_e32 v29, v21, v43
	v_min_i32_e32 v39, v43, v48
	v_sub_nc_u32_e64 v7, v0, 32 clamp
	s_wait_alu 0xf1ff
	v_cndmask_b32_e64 v43, 0, v53, s0
	v_min_i32_e32 v8, 32, v0
	v_add_nc_u32_e32 v9, 32, v0
	v_lshlrev_b32_e32 v11, 2, v2
	v_lshlrev_b32_e32 v14, 2, v3
	;; [unrolled: 1-line block ×5, first 2 shown]
	v_lshl_add_u32 v30, v10, 2, v30
	v_lshl_add_u32 v31, v12, 2, v31
	;; [unrolled: 1-line block ×5, first 2 shown]
	v_cmp_lt_i32_e64 s0, v24, v35
	v_cmp_lt_i32_e64 s1, v40, v36
	;; [unrolled: 1-line block ×5, first 2 shown]
	v_add_nc_u32_e32 v44, 0x80, v1
	v_cmp_lt_i32_e32 vcc_lo, v7, v8
	s_wait_loadcnt 0x0
	v_add_nc_u32_e32 v46, 1, v45
	s_branch .LBB1_2
.LBB1_1:                                ;   in Loop: Header=BB1_2 Depth=1
	s_or_b32 exec_lo, exec_lo, s6
	v_sub_nc_u32_e32 v48, v9, v47
	v_lshlrev_b32_e32 v45, 2, v47
	v_cmp_le_i32_e64 s5, 32, v47
	s_add_co_i32 s13, s13, 1
	v_lshlrev_b32_e32 v49, 2, v48
	v_cmp_gt_i32_e64 s7, 64, v48
	ds_load_b32 v45, v45
	ds_load_b32 v49, v49
	s_wait_loadcnt_dscnt 0x0
	s_barrier_signal -1
	s_barrier_wait -1
	global_inv scope:SCOPE_SE
	ds_store_b32 v1, v46
	s_wait_loadcnt_dscnt 0x0
	s_barrier_signal -1
	s_barrier_wait -1
	global_inv scope:SCOPE_SE
	v_cmp_lt_i32_e64 s6, v49, v45
	s_or_b32 s5, s5, s6
	s_wait_alu 0xfffe
	s_and_b32 s5, s7, s5
	s_cmp_eq_u32 s13, 10
	s_wait_alu 0xfffe
	v_cndmask_b32_e64 v47, v47, v48, s5
	v_cndmask_b32_e64 v45, v45, v49, s5
	s_delay_alu instid0(VALU_DEP_2)
	v_lshlrev_b32_e32 v46, 2, v47
	ds_load_b32 v46, v46
	s_cbranch_scc1 .LBB1_26
.LBB1_2:                                ; =>This Loop Header: Depth=1
                                        ;     Child Loop BB1_4 Depth 2
                                        ;     Child Loop BB1_8 Depth 2
	;; [unrolled: 1-line block ×6, first 2 shown]
	s_barrier_signal -1
	s_barrier_wait -1
	global_inv scope:SCOPE_SE
	ds_store_b32 v1, v45
	v_mov_b32_e32 v45, v24
	s_wait_loadcnt_dscnt 0x0
	s_barrier_signal -1
	s_barrier_wait -1
	global_inv scope:SCOPE_SE
	s_and_saveexec_b32 s6, s0
	s_cbranch_execz .LBB1_6
; %bb.3:                                ;   in Loop: Header=BB1_2 Depth=1
	v_mov_b32_e32 v45, v24
	v_mov_b32_e32 v47, v35
	s_mov_b32 s7, 0
.LBB1_4:                                ;   Parent Loop BB1_2 Depth=1
                                        ; =>  This Inner Loop Header: Depth=2
	s_delay_alu instid0(VALU_DEP_1) | instskip(NEXT) | instid1(VALU_DEP_1)
	v_sub_nc_u32_e32 v48, v47, v45
	v_lshrrev_b32_e32 v48, 1, v48
	s_delay_alu instid0(VALU_DEP_1) | instskip(NEXT) | instid1(VALU_DEP_1)
	v_add_nc_u32_e32 v48, v48, v45
	v_not_b32_e32 v49, v48
	v_lshl_add_u32 v50, v48, 2, v11
	v_add_nc_u32_e32 v51, 1, v48
	s_delay_alu instid0(VALU_DEP_3)
	v_lshl_add_u32 v49, v49, 2, v30
	ds_load_b32 v50, v50
	ds_load_b32 v49, v49
	s_wait_dscnt 0x0
	v_cmp_lt_i32_e64 s5, v49, v50
	s_wait_alu 0xf1ff
	s_delay_alu instid0(VALU_DEP_1) | instskip(SKIP_1) | instid1(VALU_DEP_1)
	v_cndmask_b32_e64 v47, v47, v48, s5
	v_cndmask_b32_e64 v45, v51, v45, s5
	v_cmp_ge_i32_e64 s5, v45, v47
	s_or_b32 s7, s5, s7
	s_delay_alu instid0(SALU_CYCLE_1)
	s_and_not1_b32 exec_lo, exec_lo, s7
	s_cbranch_execnz .LBB1_4
; %bb.5:                                ;   in Loop: Header=BB1_2 Depth=1
	s_or_b32 exec_lo, exec_lo, s7
.LBB1_6:                                ;   in Loop: Header=BB1_2 Depth=1
	s_delay_alu instid0(SALU_CYCLE_1) | instskip(SKIP_3) | instid1(VALU_DEP_3)
	s_or_b32 exec_lo, exec_lo, s6
	v_sub_nc_u32_e32 v47, v25, v45
	v_lshl_add_u32 v48, v45, 2, v11
	v_add_nc_u32_e32 v45, v45, v2
	v_lshlrev_b32_e32 v49, 2, v47
	v_cmp_ge_i32_e64 s7, v10, v47
	s_delay_alu instid0(VALU_DEP_3)
	v_cmp_le_i32_e64 s5, v10, v45
	ds_load_b32 v48, v48
	ds_load_b32 v49, v49
	s_wait_loadcnt_dscnt 0x0
	s_barrier_signal -1
	s_barrier_wait -1
	global_inv scope:SCOPE_SE
	ds_store_b32 v1, v46
	s_wait_loadcnt_dscnt 0x0
	s_barrier_signal -1
	s_barrier_wait -1
	global_inv scope:SCOPE_SE
	v_mov_b32_e32 v46, v40
	v_cmp_lt_i32_e64 s6, v49, v48
	s_or_b32 s5, s5, s6
	s_wait_alu 0xfffe
	s_and_b32 s5, s7, s5
	s_wait_alu 0xfffe
	v_cndmask_b32_e64 v45, v45, v47, s5
	v_cndmask_b32_e64 v48, v48, v49, s5
	s_delay_alu instid0(VALU_DEP_2)
	v_lshlrev_b32_e32 v45, 2, v45
	ds_load_b32 v45, v45
	s_wait_loadcnt_dscnt 0x0
	s_barrier_signal -1
	s_barrier_wait -1
	global_inv scope:SCOPE_SE
	ds_store_b32 v1, v48
	s_wait_loadcnt_dscnt 0x0
	s_barrier_signal -1
	s_barrier_wait -1
	global_inv scope:SCOPE_SE
	s_and_saveexec_b32 s6, s1
	s_cbranch_execz .LBB1_10
; %bb.7:                                ;   in Loop: Header=BB1_2 Depth=1
	v_dual_mov_b32 v46, v40 :: v_dual_mov_b32 v47, v36
	s_mov_b32 s7, 0
.LBB1_8:                                ;   Parent Loop BB1_2 Depth=1
                                        ; =>  This Inner Loop Header: Depth=2
	s_delay_alu instid0(VALU_DEP_1) | instskip(NEXT) | instid1(VALU_DEP_1)
	v_sub_nc_u32_e32 v48, v47, v46
	v_lshrrev_b32_e32 v48, 1, v48
	s_delay_alu instid0(VALU_DEP_1) | instskip(NEXT) | instid1(VALU_DEP_1)
	v_add_nc_u32_e32 v48, v48, v46
	v_not_b32_e32 v49, v48
	v_lshl_add_u32 v50, v48, 2, v14
	v_add_nc_u32_e32 v51, 1, v48
	s_delay_alu instid0(VALU_DEP_3)
	v_lshl_add_u32 v49, v49, 2, v31
	ds_load_b32 v50, v50
	ds_load_b32 v49, v49
	s_wait_dscnt 0x0
	v_cmp_lt_i32_e64 s5, v49, v50
	s_wait_alu 0xf1ff
	s_delay_alu instid0(VALU_DEP_1) | instskip(SKIP_1) | instid1(VALU_DEP_1)
	v_cndmask_b32_e64 v47, v47, v48, s5
	v_cndmask_b32_e64 v46, v51, v46, s5
	v_cmp_ge_i32_e64 s5, v46, v47
	s_or_b32 s7, s5, s7
	s_delay_alu instid0(SALU_CYCLE_1)
	s_and_not1_b32 exec_lo, exec_lo, s7
	s_cbranch_execnz .LBB1_8
; %bb.9:                                ;   in Loop: Header=BB1_2 Depth=1
	s_or_b32 exec_lo, exec_lo, s7
.LBB1_10:                               ;   in Loop: Header=BB1_2 Depth=1
	s_delay_alu instid0(SALU_CYCLE_1) | instskip(SKIP_3) | instid1(VALU_DEP_3)
	s_or_b32 exec_lo, exec_lo, s6
	v_sub_nc_u32_e32 v47, v26, v46
	v_lshl_add_u32 v48, v46, 2, v14
	v_add_nc_u32_e32 v46, v46, v3
	v_lshlrev_b32_e32 v49, 2, v47
	v_cmp_gt_i32_e64 s7, v13, v47
	s_delay_alu instid0(VALU_DEP_3)
	v_cmp_le_i32_e64 s5, v12, v46
	ds_load_b32 v48, v48
	ds_load_b32 v49, v49
	s_wait_loadcnt_dscnt 0x0
	s_barrier_signal -1
	s_barrier_wait -1
	global_inv scope:SCOPE_SE
	ds_store_b32 v1, v45
	s_wait_loadcnt_dscnt 0x0
	s_barrier_signal -1
	s_barrier_wait -1
	global_inv scope:SCOPE_SE
	v_cmp_lt_i32_e64 s6, v49, v48
	s_or_b32 s5, s5, s6
	s_wait_alu 0xfffe
	s_and_b32 s5, s7, s5
	s_wait_alu 0xfffe
	v_cndmask_b32_e64 v46, v46, v47, s5
	v_cndmask_b32_e64 v48, v48, v49, s5
	s_delay_alu instid0(VALU_DEP_2)
	v_dual_mov_b32 v46, v41 :: v_dual_lshlrev_b32 v45, 2, v46
	ds_load_b32 v45, v45
	s_wait_loadcnt_dscnt 0x0
	s_barrier_signal -1
	s_barrier_wait -1
	global_inv scope:SCOPE_SE
	ds_store_b32 v1, v48
	s_wait_loadcnt_dscnt 0x0
	s_barrier_signal -1
	s_barrier_wait -1
	global_inv scope:SCOPE_SE
	s_and_saveexec_b32 s6, s2
	s_cbranch_execz .LBB1_14
; %bb.11:                               ;   in Loop: Header=BB1_2 Depth=1
	v_dual_mov_b32 v46, v41 :: v_dual_mov_b32 v47, v37
	s_mov_b32 s7, 0
.LBB1_12:                               ;   Parent Loop BB1_2 Depth=1
                                        ; =>  This Inner Loop Header: Depth=2
	s_delay_alu instid0(VALU_DEP_1) | instskip(NEXT) | instid1(VALU_DEP_1)
	v_sub_nc_u32_e32 v48, v47, v46
	v_lshrrev_b32_e32 v48, 1, v48
	s_delay_alu instid0(VALU_DEP_1) | instskip(NEXT) | instid1(VALU_DEP_1)
	v_add_nc_u32_e32 v48, v48, v46
	v_not_b32_e32 v49, v48
	v_lshl_add_u32 v50, v48, 2, v17
	v_add_nc_u32_e32 v51, 1, v48
	s_delay_alu instid0(VALU_DEP_3)
	v_lshl_add_u32 v49, v49, 2, v32
	ds_load_b32 v50, v50
	ds_load_b32 v49, v49
	s_wait_dscnt 0x0
	v_cmp_lt_i32_e64 s5, v49, v50
	s_wait_alu 0xf1ff
	s_delay_alu instid0(VALU_DEP_1) | instskip(SKIP_1) | instid1(VALU_DEP_1)
	v_cndmask_b32_e64 v47, v47, v48, s5
	v_cndmask_b32_e64 v46, v51, v46, s5
	v_cmp_ge_i32_e64 s5, v46, v47
	s_or_b32 s7, s5, s7
	s_delay_alu instid0(SALU_CYCLE_1)
	s_and_not1_b32 exec_lo, exec_lo, s7
	s_cbranch_execnz .LBB1_12
; %bb.13:                               ;   in Loop: Header=BB1_2 Depth=1
	s_or_b32 exec_lo, exec_lo, s7
.LBB1_14:                               ;   in Loop: Header=BB1_2 Depth=1
	s_delay_alu instid0(SALU_CYCLE_1) | instskip(SKIP_3) | instid1(VALU_DEP_3)
	s_or_b32 exec_lo, exec_lo, s6
	v_sub_nc_u32_e32 v47, v27, v46
	v_lshl_add_u32 v48, v46, 2, v17
	v_add_nc_u32_e32 v46, v46, v4
	v_lshlrev_b32_e32 v49, 2, v47
	v_cmp_gt_i32_e64 s7, v16, v47
	s_delay_alu instid0(VALU_DEP_3)
	v_cmp_le_i32_e64 s5, v15, v46
	ds_load_b32 v48, v48
	ds_load_b32 v49, v49
	s_wait_loadcnt_dscnt 0x0
	s_barrier_signal -1
	s_barrier_wait -1
	global_inv scope:SCOPE_SE
	ds_store_b32 v1, v45
	s_wait_loadcnt_dscnt 0x0
	s_barrier_signal -1
	s_barrier_wait -1
	global_inv scope:SCOPE_SE
	v_cmp_lt_i32_e64 s6, v49, v48
	s_or_b32 s5, s5, s6
	s_wait_alu 0xfffe
	s_and_b32 s5, s7, s5
	s_wait_alu 0xfffe
	v_cndmask_b32_e64 v46, v46, v47, s5
	v_cndmask_b32_e64 v48, v48, v49, s5
	s_delay_alu instid0(VALU_DEP_2)
	v_dual_mov_b32 v46, v42 :: v_dual_lshlrev_b32 v45, 2, v46
	ds_load_b32 v45, v45
	s_wait_loadcnt_dscnt 0x0
	s_barrier_signal -1
	s_barrier_wait -1
	global_inv scope:SCOPE_SE
	ds_store_b32 v1, v48
	s_wait_loadcnt_dscnt 0x0
	s_barrier_signal -1
	s_barrier_wait -1
	global_inv scope:SCOPE_SE
	s_and_saveexec_b32 s6, s3
	s_cbranch_execz .LBB1_18
; %bb.15:                               ;   in Loop: Header=BB1_2 Depth=1
	v_dual_mov_b32 v46, v42 :: v_dual_mov_b32 v47, v38
	s_mov_b32 s7, 0
.LBB1_16:                               ;   Parent Loop BB1_2 Depth=1
                                        ; =>  This Inner Loop Header: Depth=2
	s_delay_alu instid0(VALU_DEP_1) | instskip(NEXT) | instid1(VALU_DEP_1)
	v_sub_nc_u32_e32 v48, v47, v46
	v_lshrrev_b32_e32 v48, 1, v48
	s_delay_alu instid0(VALU_DEP_1) | instskip(NEXT) | instid1(VALU_DEP_1)
	v_add_nc_u32_e32 v48, v48, v46
	v_not_b32_e32 v49, v48
	v_lshl_add_u32 v50, v48, 2, v20
	v_add_nc_u32_e32 v51, 1, v48
	s_delay_alu instid0(VALU_DEP_3)
	v_lshl_add_u32 v49, v49, 2, v33
	ds_load_b32 v50, v50
	ds_load_b32 v49, v49
	s_wait_dscnt 0x0
	v_cmp_lt_i32_e64 s5, v49, v50
	s_wait_alu 0xf1ff
	s_delay_alu instid0(VALU_DEP_1) | instskip(SKIP_1) | instid1(VALU_DEP_1)
	v_cndmask_b32_e64 v47, v47, v48, s5
	v_cndmask_b32_e64 v46, v51, v46, s5
	v_cmp_ge_i32_e64 s5, v46, v47
	s_or_b32 s7, s5, s7
	s_delay_alu instid0(SALU_CYCLE_1)
	s_and_not1_b32 exec_lo, exec_lo, s7
	s_cbranch_execnz .LBB1_16
; %bb.17:                               ;   in Loop: Header=BB1_2 Depth=1
	s_or_b32 exec_lo, exec_lo, s7
.LBB1_18:                               ;   in Loop: Header=BB1_2 Depth=1
	s_delay_alu instid0(SALU_CYCLE_1) | instskip(SKIP_3) | instid1(VALU_DEP_3)
	s_or_b32 exec_lo, exec_lo, s6
	v_sub_nc_u32_e32 v47, v28, v46
	v_lshl_add_u32 v48, v46, 2, v20
	v_add_nc_u32_e32 v46, v46, v5
	v_lshlrev_b32_e32 v49, 2, v47
	v_cmp_gt_i32_e64 s7, v19, v47
	s_delay_alu instid0(VALU_DEP_3)
	v_cmp_le_i32_e64 s5, v18, v46
	ds_load_b32 v48, v48
	ds_load_b32 v49, v49
	s_wait_loadcnt_dscnt 0x0
	s_barrier_signal -1
	s_barrier_wait -1
	global_inv scope:SCOPE_SE
	ds_store_b32 v1, v45
	s_wait_loadcnt_dscnt 0x0
	s_barrier_signal -1
	s_barrier_wait -1
	global_inv scope:SCOPE_SE
	v_cmp_lt_i32_e64 s6, v49, v48
	s_or_b32 s5, s5, s6
	s_wait_alu 0xfffe
	s_and_b32 s5, s7, s5
	s_wait_alu 0xfffe
	v_cndmask_b32_e64 v46, v46, v47, s5
	v_cndmask_b32_e64 v48, v48, v49, s5
	s_delay_alu instid0(VALU_DEP_2)
	v_dual_mov_b32 v46, v43 :: v_dual_lshlrev_b32 v45, 2, v46
	ds_load_b32 v45, v45
	s_wait_loadcnt_dscnt 0x0
	s_barrier_signal -1
	s_barrier_wait -1
	global_inv scope:SCOPE_SE
	ds_store_b32 v1, v48
	s_wait_loadcnt_dscnt 0x0
	s_barrier_signal -1
	s_barrier_wait -1
	global_inv scope:SCOPE_SE
	s_and_saveexec_b32 s6, s4
	s_cbranch_execz .LBB1_22
; %bb.19:                               ;   in Loop: Header=BB1_2 Depth=1
	v_dual_mov_b32 v46, v43 :: v_dual_mov_b32 v47, v39
	s_mov_b32 s7, 0
.LBB1_20:                               ;   Parent Loop BB1_2 Depth=1
                                        ; =>  This Inner Loop Header: Depth=2
	s_delay_alu instid0(VALU_DEP_1) | instskip(NEXT) | instid1(VALU_DEP_1)
	v_sub_nc_u32_e32 v48, v47, v46
	v_lshrrev_b32_e32 v48, 1, v48
	s_delay_alu instid0(VALU_DEP_1) | instskip(NEXT) | instid1(VALU_DEP_1)
	v_add_nc_u32_e32 v48, v48, v46
	v_not_b32_e32 v49, v48
	v_lshl_add_u32 v50, v48, 2, v23
	v_add_nc_u32_e32 v51, 1, v48
	s_delay_alu instid0(VALU_DEP_3)
	v_lshl_add_u32 v49, v49, 2, v34
	ds_load_b32 v50, v50
	ds_load_b32 v49, v49
	s_wait_dscnt 0x0
	v_cmp_lt_i32_e64 s5, v49, v50
	s_wait_alu 0xf1ff
	s_delay_alu instid0(VALU_DEP_1) | instskip(SKIP_1) | instid1(VALU_DEP_1)
	v_cndmask_b32_e64 v47, v47, v48, s5
	v_cndmask_b32_e64 v46, v51, v46, s5
	v_cmp_ge_i32_e64 s5, v46, v47
	s_or_b32 s7, s5, s7
	s_delay_alu instid0(SALU_CYCLE_1)
	s_and_not1_b32 exec_lo, exec_lo, s7
	s_cbranch_execnz .LBB1_20
; %bb.21:                               ;   in Loop: Header=BB1_2 Depth=1
	s_or_b32 exec_lo, exec_lo, s7
.LBB1_22:                               ;   in Loop: Header=BB1_2 Depth=1
	s_delay_alu instid0(SALU_CYCLE_1) | instskip(SKIP_3) | instid1(VALU_DEP_3)
	s_or_b32 exec_lo, exec_lo, s6
	v_sub_nc_u32_e32 v47, v29, v46
	v_lshl_add_u32 v48, v46, 2, v23
	v_add_nc_u32_e32 v46, v46, v6
	v_lshlrev_b32_e32 v49, 2, v47
	v_cmp_gt_i32_e64 s7, v22, v47
	s_delay_alu instid0(VALU_DEP_3)
	v_cmp_le_i32_e64 s5, v21, v46
	ds_load_b32 v48, v48
	ds_load_b32 v49, v49
	s_wait_loadcnt_dscnt 0x0
	s_barrier_signal -1
	s_barrier_wait -1
	global_inv scope:SCOPE_SE
	ds_store_b32 v1, v45
	s_wait_loadcnt_dscnt 0x0
	s_barrier_signal -1
	s_barrier_wait -1
	global_inv scope:SCOPE_SE
	v_cmp_lt_i32_e64 s6, v49, v48
	s_or_b32 s5, s5, s6
	s_wait_alu 0xfffe
	s_and_b32 s5, s7, s5
	s_wait_alu 0xfffe
	v_cndmask_b32_e64 v46, v46, v47, s5
	v_cndmask_b32_e64 v48, v48, v49, s5
	v_mov_b32_e32 v47, v7
	s_delay_alu instid0(VALU_DEP_3)
	v_lshlrev_b32_e32 v45, 2, v46
	ds_load_b32 v46, v45
	s_wait_loadcnt_dscnt 0x0
	s_barrier_signal -1
	s_barrier_wait -1
	global_inv scope:SCOPE_SE
	ds_store_b32 v1, v48
	s_wait_loadcnt_dscnt 0x0
	s_barrier_signal -1
	s_barrier_wait -1
	global_inv scope:SCOPE_SE
	s_and_saveexec_b32 s6, vcc_lo
	s_cbranch_execz .LBB1_1
; %bb.23:                               ;   in Loop: Header=BB1_2 Depth=1
	v_mov_b32_e32 v47, v7
	v_mov_b32_e32 v45, v8
	s_mov_b32 s7, 0
.LBB1_24:                               ;   Parent Loop BB1_2 Depth=1
                                        ; =>  This Inner Loop Header: Depth=2
	s_delay_alu instid0(VALU_DEP_1) | instskip(NEXT) | instid1(VALU_DEP_1)
	v_sub_nc_u32_e32 v48, v45, v47
	v_lshrrev_b32_e32 v48, 1, v48
	s_delay_alu instid0(VALU_DEP_1) | instskip(NEXT) | instid1(VALU_DEP_1)
	v_add_nc_u32_e32 v48, v48, v47
	v_not_b32_e32 v49, v48
	v_lshlrev_b32_e32 v50, 2, v48
	v_add_nc_u32_e32 v51, 1, v48
	s_delay_alu instid0(VALU_DEP_3)
	v_lshl_add_u32 v49, v49, 2, v44
	ds_load_b32 v50, v50
	ds_load_b32 v49, v49
	s_wait_dscnt 0x0
	v_cmp_lt_i32_e64 s5, v49, v50
	s_wait_alu 0xf1ff
	s_delay_alu instid0(VALU_DEP_1) | instskip(SKIP_1) | instid1(VALU_DEP_1)
	v_cndmask_b32_e64 v45, v45, v48, s5
	v_cndmask_b32_e64 v47, v51, v47, s5
	v_cmp_ge_i32_e64 s5, v47, v45
	s_or_b32 s7, s5, s7
	s_delay_alu instid0(SALU_CYCLE_1)
	s_and_not1_b32 exec_lo, exec_lo, s7
	s_cbranch_execnz .LBB1_24
; %bb.25:                               ;   in Loop: Header=BB1_2 Depth=1
	s_or_b32 exec_lo, exec_lo, s7
	s_branch .LBB1_1
.LBB1_26:
	s_wait_dscnt 0x0
	v_add_nc_u32_e32 v1, v45, v46
	v_lshlrev_b32_e32 v0, 2, v0
	s_add_nc_u64 s[0:1], s[10:11], s[14:15]
	global_store_b32 v0, v1, s[0:1]
	s_endpgm
	.section	.rodata,"a",@progbits
	.p2align	6, 0x0
	.amdhsa_kernel _Z17sort_pairs_kernelIiLj64ELj1EN10test_utils4lessELj10EEvPKT_PS2_T2_
		.amdhsa_group_segment_fixed_size 260
		.amdhsa_private_segment_fixed_size 0
		.amdhsa_kernarg_size 20
		.amdhsa_user_sgpr_count 2
		.amdhsa_user_sgpr_dispatch_ptr 0
		.amdhsa_user_sgpr_queue_ptr 0
		.amdhsa_user_sgpr_kernarg_segment_ptr 1
		.amdhsa_user_sgpr_dispatch_id 0
		.amdhsa_user_sgpr_private_segment_size 0
		.amdhsa_wavefront_size32 1
		.amdhsa_uses_dynamic_stack 0
		.amdhsa_enable_private_segment 0
		.amdhsa_system_sgpr_workgroup_id_x 1
		.amdhsa_system_sgpr_workgroup_id_y 0
		.amdhsa_system_sgpr_workgroup_id_z 0
		.amdhsa_system_sgpr_workgroup_info 0
		.amdhsa_system_vgpr_workitem_id 0
		.amdhsa_next_free_vgpr 54
		.amdhsa_next_free_sgpr 16
		.amdhsa_reserve_vcc 1
		.amdhsa_float_round_mode_32 0
		.amdhsa_float_round_mode_16_64 0
		.amdhsa_float_denorm_mode_32 3
		.amdhsa_float_denorm_mode_16_64 3
		.amdhsa_fp16_overflow 0
		.amdhsa_workgroup_processor_mode 1
		.amdhsa_memory_ordered 1
		.amdhsa_forward_progress 1
		.amdhsa_inst_pref_size 22
		.amdhsa_round_robin_scheduling 0
		.amdhsa_exception_fp_ieee_invalid_op 0
		.amdhsa_exception_fp_denorm_src 0
		.amdhsa_exception_fp_ieee_div_zero 0
		.amdhsa_exception_fp_ieee_overflow 0
		.amdhsa_exception_fp_ieee_underflow 0
		.amdhsa_exception_fp_ieee_inexact 0
		.amdhsa_exception_int_div_zero 0
	.end_amdhsa_kernel
	.section	.text._Z17sort_pairs_kernelIiLj64ELj1EN10test_utils4lessELj10EEvPKT_PS2_T2_,"axG",@progbits,_Z17sort_pairs_kernelIiLj64ELj1EN10test_utils4lessELj10EEvPKT_PS2_T2_,comdat
.Lfunc_end1:
	.size	_Z17sort_pairs_kernelIiLj64ELj1EN10test_utils4lessELj10EEvPKT_PS2_T2_, .Lfunc_end1-_Z17sort_pairs_kernelIiLj64ELj1EN10test_utils4lessELj10EEvPKT_PS2_T2_
                                        ; -- End function
	.set _Z17sort_pairs_kernelIiLj64ELj1EN10test_utils4lessELj10EEvPKT_PS2_T2_.num_vgpr, 54
	.set _Z17sort_pairs_kernelIiLj64ELj1EN10test_utils4lessELj10EEvPKT_PS2_T2_.num_agpr, 0
	.set _Z17sort_pairs_kernelIiLj64ELj1EN10test_utils4lessELj10EEvPKT_PS2_T2_.numbered_sgpr, 16
	.set _Z17sort_pairs_kernelIiLj64ELj1EN10test_utils4lessELj10EEvPKT_PS2_T2_.num_named_barrier, 0
	.set _Z17sort_pairs_kernelIiLj64ELj1EN10test_utils4lessELj10EEvPKT_PS2_T2_.private_seg_size, 0
	.set _Z17sort_pairs_kernelIiLj64ELj1EN10test_utils4lessELj10EEvPKT_PS2_T2_.uses_vcc, 1
	.set _Z17sort_pairs_kernelIiLj64ELj1EN10test_utils4lessELj10EEvPKT_PS2_T2_.uses_flat_scratch, 0
	.set _Z17sort_pairs_kernelIiLj64ELj1EN10test_utils4lessELj10EEvPKT_PS2_T2_.has_dyn_sized_stack, 0
	.set _Z17sort_pairs_kernelIiLj64ELj1EN10test_utils4lessELj10EEvPKT_PS2_T2_.has_recursion, 0
	.set _Z17sort_pairs_kernelIiLj64ELj1EN10test_utils4lessELj10EEvPKT_PS2_T2_.has_indirect_call, 0
	.section	.AMDGPU.csdata,"",@progbits
; Kernel info:
; codeLenInByte = 2800
; TotalNumSgprs: 18
; NumVgprs: 54
; ScratchSize: 0
; MemoryBound: 0
; FloatMode: 240
; IeeeMode: 1
; LDSByteSize: 260 bytes/workgroup (compile time only)
; SGPRBlocks: 0
; VGPRBlocks: 6
; NumSGPRsForWavesPerEU: 18
; NumVGPRsForWavesPerEU: 54
; Occupancy: 16
; WaveLimiterHint : 0
; COMPUTE_PGM_RSRC2:SCRATCH_EN: 0
; COMPUTE_PGM_RSRC2:USER_SGPR: 2
; COMPUTE_PGM_RSRC2:TRAP_HANDLER: 0
; COMPUTE_PGM_RSRC2:TGID_X_EN: 1
; COMPUTE_PGM_RSRC2:TGID_Y_EN: 0
; COMPUTE_PGM_RSRC2:TGID_Z_EN: 0
; COMPUTE_PGM_RSRC2:TIDIG_COMP_CNT: 0
	.section	.text._Z16sort_keys_kernelIiLj64ELj2EN10test_utils4lessELj10EEvPKT_PS2_T2_,"axG",@progbits,_Z16sort_keys_kernelIiLj64ELj2EN10test_utils4lessELj10EEvPKT_PS2_T2_,comdat
	.protected	_Z16sort_keys_kernelIiLj64ELj2EN10test_utils4lessELj10EEvPKT_PS2_T2_ ; -- Begin function _Z16sort_keys_kernelIiLj64ELj2EN10test_utils4lessELj10EEvPKT_PS2_T2_
	.globl	_Z16sort_keys_kernelIiLj64ELj2EN10test_utils4lessELj10EEvPKT_PS2_T2_
	.p2align	8
	.type	_Z16sort_keys_kernelIiLj64ELj2EN10test_utils4lessELj10EEvPKT_PS2_T2_,@function
_Z16sort_keys_kernelIiLj64ELj2EN10test_utils4lessELj10EEvPKT_PS2_T2_: ; @_Z16sort_keys_kernelIiLj64ELj2EN10test_utils4lessELj10EEvPKT_PS2_T2_
; %bb.0:
	s_load_b128 s[8:11], s[0:1], 0x0
	s_lshl_b32 s12, ttmp9, 7
	s_mov_b32 s13, 0
	v_lshlrev_b32_e32 v1, 2, v0
	s_lshl_b64 s[14:15], s[12:13], 2
	v_lshlrev_b32_e32 v39, 1, v0
	v_lshlrev_b32_e32 v5, 3, v0
	s_delay_alu instid0(VALU_DEP_2)
	v_and_b32_e32 v11, 0x70, v39
	v_and_b32_e32 v42, 14, v39
	;; [unrolled: 1-line block ×5, first 2 shown]
	v_or_b32_e32 v13, 8, v11
	v_add_nc_u32_e32 v14, 16, v11
	v_or_b32_e32 v6, 4, v4
	v_add_nc_u32_e32 v7, 8, v4
	v_or_b32_e32 v20, 16, v18
	s_wait_kmcnt 0x0
	s_add_nc_u64 s[0:1], s[8:9], s[14:15]
	v_sub_nc_u32_e32 v22, v14, v13
	s_clause 0x1
	global_load_b32 v46, v1, s[0:1]
	global_load_b32 v47, v1, s[0:1] offset:256
	v_and_b32_e32 v1, 0x7c, v39
	v_add_nc_u32_e32 v21, 32, v18
	v_and_b32_e32 v41, 6, v39
	v_sub_nc_u32_e32 v23, v42, v22
	v_cmp_ge_i32_e64 s1, v42, v22
	v_or_b32_e32 v2, 2, v1
	v_add_nc_u32_e32 v3, 4, v1
	v_sub_nc_u32_e32 v15, v7, v6
	v_and_b32_e32 v43, 30, v39
	v_cndmask_b32_e64 v22, 0, v23, s1
	v_and_b32_e32 v23, 64, v39
	v_sub_nc_u32_e32 v8, v3, v2
	v_sub_nc_u32_e32 v28, v21, v20
	v_and_b32_e32 v44, 62, v39
	v_sub_nc_u32_e32 v10, v2, v1
	v_or_b32_e32 v26, 32, v23
	v_add_nc_u32_e32 v27, 64, v23
	v_sub_nc_u32_e32 v9, v40, v8
	v_cmp_ge_i32_e32 vcc_lo, v40, v8
	v_sub_nc_u32_e32 v16, v41, v15
	v_sub_nc_u32_e32 v17, v6, v4
	;; [unrolled: 1-line block ×3, first 2 shown]
	v_cmp_ge_i32_e64 s0, v41, v15
	v_sub_nc_u32_e32 v24, v13, v11
	v_sub_nc_u32_e32 v29, v43, v28
	;; [unrolled: 1-line block ×3, first 2 shown]
	v_cmp_ge_i32_e64 s2, v43, v28
	v_sub_nc_u32_e32 v33, v44, v32
	v_sub_nc_u32_e32 v34, v26, v23
	v_cmp_ge_i32_e64 s3, v44, v32
	v_cndmask_b32_e32 v8, 0, v9, vcc_lo
	v_min_i32_e32 v9, v40, v10
	v_add_nc_u32_e32 v12, v2, v40
	s_wait_alu 0xf1ff
	v_cndmask_b32_e64 v15, 0, v16, s0
	v_min_i32_e32 v16, v41, v17
	v_add_nc_u32_e32 v19, v6, v41
	v_min_i32_e32 v24, v42, v24
	v_cndmask_b32_e64 v28, 0, v29, s2
	v_min_i32_e32 v29, v43, v30
	v_add_nc_u32_e32 v30, v13, v42
	v_cndmask_b32_e64 v32, 0, v33, s3
	v_min_i32_e32 v33, v44, v34
	v_sub_nc_u32_e64 v34, v39, 64 clamp
	v_min_i32_e32 v35, 64, v39
	v_add_nc_u32_e32 v36, v20, v43
	v_add_nc_u32_e32 v38, v26, v44
	v_lshlrev_b32_e32 v40, 2, v40
	v_lshlrev_b32_e32 v41, 2, v41
	v_lshlrev_b32_e32 v42, 2, v42
	v_lshlrev_b32_e32 v43, 2, v43
	v_lshlrev_b32_e32 v44, 2, v44
	v_lshlrev_b32_e32 v10, 2, v1
	v_lshlrev_b32_e32 v17, 2, v4
	v_cmp_lt_i32_e64 s0, v15, v16
	v_lshlrev_b32_e32 v25, 2, v11
	v_cmp_lt_i32_e64 s1, v22, v24
	v_lshlrev_b32_e32 v31, 2, v18
	;; [unrolled: 2-line block ×3, first 2 shown]
	v_cmp_lt_i32_e64 s3, v32, v33
	v_cmp_lt_i32_e64 s4, v34, v35
	v_add_nc_u32_e32 v39, 64, v39
	v_lshl_add_u32 v40, v2, 2, v40
	v_lshl_add_u32 v41, v6, 2, v41
	;; [unrolled: 1-line block ×5, first 2 shown]
	v_add_nc_u32_e32 v45, 0x100, v5
	v_cmp_lt_i32_e32 vcc_lo, v8, v9
	s_branch .LBB2_2
.LBB2_1:                                ;   in Loop: Header=BB2_2 Depth=1
	s_or_b32 exec_lo, exec_lo, s6
	v_cmp_le_i32_e64 s6, 64, v46
	s_wait_dscnt 0x0
	v_cmp_lt_i32_e64 s7, v52, v50
	v_cmp_gt_i32_e64 s8, 0x80, v47
	v_cndmask_b32_e64 v46, v48, v49, s5
	s_add_co_i32 s13, s13, 1
	s_or_b32 s6, s6, s7
	s_delay_alu instid0(SALU_CYCLE_1)
	s_and_b32 s5, s8, s6
	s_cmp_eq_u32 s13, 10
	s_wait_alu 0xfffe
	v_cndmask_b32_e64 v47, v50, v52, s5
	s_cbranch_scc1 .LBB2_50
.LBB2_2:                                ; =>This Loop Header: Depth=1
                                        ;     Child Loop BB2_4 Depth 2
                                        ;     Child Loop BB2_12 Depth 2
	;; [unrolled: 1-line block ×6, first 2 shown]
	s_wait_loadcnt 0x0
	s_delay_alu instid0(VALU_DEP_1)
	v_cmp_lt_i32_e64 s5, v47, v46
	s_barrier_signal -1
	s_barrier_wait -1
	global_inv scope:SCOPE_SE
	s_wait_alu 0xf1ff
	v_cndmask_b32_e64 v48, v47, v46, s5
	v_cndmask_b32_e64 v47, v46, v47, s5
	v_mov_b32_e32 v46, v8
	ds_store_2addr_b32 v5, v47, v48 offset1:1
	s_wait_loadcnt_dscnt 0x0
	s_barrier_signal -1
	s_barrier_wait -1
	global_inv scope:SCOPE_SE
	s_and_saveexec_b32 s6, vcc_lo
	s_cbranch_execz .LBB2_6
; %bb.3:                                ;   in Loop: Header=BB2_2 Depth=1
	v_dual_mov_b32 v46, v8 :: v_dual_mov_b32 v47, v9
	s_mov_b32 s7, 0
.LBB2_4:                                ;   Parent Loop BB2_2 Depth=1
                                        ; =>  This Inner Loop Header: Depth=2
	s_delay_alu instid0(VALU_DEP_1) | instskip(NEXT) | instid1(VALU_DEP_1)
	v_sub_nc_u32_e32 v48, v47, v46
	v_lshrrev_b32_e32 v48, 1, v48
	s_delay_alu instid0(VALU_DEP_1) | instskip(NEXT) | instid1(VALU_DEP_1)
	v_add_nc_u32_e32 v48, v48, v46
	v_not_b32_e32 v49, v48
	v_lshl_add_u32 v50, v48, 2, v10
	v_add_nc_u32_e32 v51, 1, v48
	s_delay_alu instid0(VALU_DEP_3)
	v_lshl_add_u32 v49, v49, 2, v40
	ds_load_b32 v50, v50
	ds_load_b32 v49, v49
	s_wait_dscnt 0x0
	v_cmp_lt_i32_e64 s5, v49, v50
	s_wait_alu 0xf1ff
	s_delay_alu instid0(VALU_DEP_1) | instskip(SKIP_1) | instid1(VALU_DEP_1)
	v_cndmask_b32_e64 v47, v47, v48, s5
	v_cndmask_b32_e64 v46, v51, v46, s5
	v_cmp_ge_i32_e64 s5, v46, v47
	s_or_b32 s7, s5, s7
	s_delay_alu instid0(SALU_CYCLE_1)
	s_and_not1_b32 exec_lo, exec_lo, s7
	s_cbranch_execnz .LBB2_4
; %bb.5:                                ;   in Loop: Header=BB2_2 Depth=1
	s_or_b32 exec_lo, exec_lo, s7
.LBB2_6:                                ;   in Loop: Header=BB2_2 Depth=1
	s_delay_alu instid0(SALU_CYCLE_1) | instskip(SKIP_3) | instid1(VALU_DEP_3)
	s_or_b32 exec_lo, exec_lo, s6
	v_sub_nc_u32_e32 v49, v12, v46
	v_lshl_add_u32 v52, v46, 2, v10
	v_add_nc_u32_e32 v50, v46, v1
                                        ; implicit-def: $vgpr46
	v_lshlrev_b32_e32 v51, 2, v49
	v_cmp_gt_i32_e64 s7, v3, v49
	s_delay_alu instid0(VALU_DEP_3)
	v_cmp_le_i32_e64 s5, v2, v50
	ds_load_b32 v47, v52
	ds_load_b32 v48, v51
	s_wait_dscnt 0x0
	v_cmp_lt_i32_e64 s6, v48, v47
	s_or_b32 s5, s5, s6
	s_wait_alu 0xfffe
	s_and_b32 s5, s7, s5
	s_wait_alu 0xfffe
	s_xor_b32 s6, s5, -1
	s_delay_alu instid0(SALU_CYCLE_1) | instskip(NEXT) | instid1(SALU_CYCLE_1)
	s_and_saveexec_b32 s7, s6
	s_xor_b32 s6, exec_lo, s7
; %bb.7:                                ;   in Loop: Header=BB2_2 Depth=1
	ds_load_b32 v46, v52 offset:4
                                        ; implicit-def: $vgpr51
; %bb.8:                                ;   in Loop: Header=BB2_2 Depth=1
	s_or_saveexec_b32 s6, s6
	v_mov_b32_e32 v52, v48
	s_xor_b32 exec_lo, exec_lo, s6
	s_cbranch_execz .LBB2_10
; %bb.9:                                ;   in Loop: Header=BB2_2 Depth=1
	ds_load_b32 v52, v51 offset:4
	s_wait_dscnt 0x1
	v_mov_b32_e32 v46, v47
.LBB2_10:                               ;   in Loop: Header=BB2_2 Depth=1
	s_or_b32 exec_lo, exec_lo, s6
	v_add_nc_u32_e32 v51, 1, v50
	v_add_nc_u32_e32 v53, 1, v49
	s_wait_dscnt 0x0
	v_cmp_lt_i32_e64 s6, v52, v46
	v_cndmask_b32_e64 v47, v47, v48, s5
	s_wait_loadcnt 0x0
	v_cndmask_b32_e64 v50, v51, v50, s5
	v_cndmask_b32_e64 v49, v49, v53, s5
	s_barrier_signal -1
	s_barrier_wait -1
	global_inv scope:SCOPE_SE
	v_cmp_ge_i32_e64 s7, v50, v2
	v_cmp_lt_i32_e64 s8, v49, v3
	s_or_b32 s5, s7, s6
	s_wait_alu 0xfffe
	s_and_b32 s5, s8, s5
	s_wait_alu 0xfffe
	v_cndmask_b32_e64 v48, v46, v52, s5
	v_mov_b32_e32 v46, v15
	ds_store_2addr_b32 v5, v47, v48 offset1:1
	s_wait_loadcnt_dscnt 0x0
	s_barrier_signal -1
	s_barrier_wait -1
	global_inv scope:SCOPE_SE
	s_and_saveexec_b32 s6, s0
	s_cbranch_execz .LBB2_14
; %bb.11:                               ;   in Loop: Header=BB2_2 Depth=1
	v_dual_mov_b32 v46, v15 :: v_dual_mov_b32 v47, v16
	s_mov_b32 s7, 0
.LBB2_12:                               ;   Parent Loop BB2_2 Depth=1
                                        ; =>  This Inner Loop Header: Depth=2
	s_delay_alu instid0(VALU_DEP_1) | instskip(NEXT) | instid1(VALU_DEP_1)
	v_sub_nc_u32_e32 v48, v47, v46
	v_lshrrev_b32_e32 v48, 1, v48
	s_delay_alu instid0(VALU_DEP_1) | instskip(NEXT) | instid1(VALU_DEP_1)
	v_add_nc_u32_e32 v48, v48, v46
	v_not_b32_e32 v49, v48
	v_lshl_add_u32 v50, v48, 2, v17
	v_add_nc_u32_e32 v51, 1, v48
	s_delay_alu instid0(VALU_DEP_3)
	v_lshl_add_u32 v49, v49, 2, v41
	ds_load_b32 v50, v50
	ds_load_b32 v49, v49
	s_wait_dscnt 0x0
	v_cmp_lt_i32_e64 s5, v49, v50
	s_wait_alu 0xf1ff
	s_delay_alu instid0(VALU_DEP_1) | instskip(SKIP_1) | instid1(VALU_DEP_1)
	v_cndmask_b32_e64 v47, v47, v48, s5
	v_cndmask_b32_e64 v46, v51, v46, s5
	v_cmp_ge_i32_e64 s5, v46, v47
	s_or_b32 s7, s5, s7
	s_delay_alu instid0(SALU_CYCLE_1)
	s_and_not1_b32 exec_lo, exec_lo, s7
	s_cbranch_execnz .LBB2_12
; %bb.13:                               ;   in Loop: Header=BB2_2 Depth=1
	s_or_b32 exec_lo, exec_lo, s7
.LBB2_14:                               ;   in Loop: Header=BB2_2 Depth=1
	s_delay_alu instid0(SALU_CYCLE_1) | instskip(SKIP_3) | instid1(VALU_DEP_3)
	s_or_b32 exec_lo, exec_lo, s6
	v_sub_nc_u32_e32 v49, v19, v46
	v_lshl_add_u32 v52, v46, 2, v17
	v_add_nc_u32_e32 v50, v46, v4
                                        ; implicit-def: $vgpr46
	v_lshlrev_b32_e32 v51, 2, v49
	v_cmp_gt_i32_e64 s7, v7, v49
	s_delay_alu instid0(VALU_DEP_3)
	v_cmp_le_i32_e64 s5, v6, v50
	ds_load_b32 v47, v52
	ds_load_b32 v48, v51
	s_wait_dscnt 0x0
	v_cmp_lt_i32_e64 s6, v48, v47
	s_or_b32 s5, s5, s6
	s_wait_alu 0xfffe
	s_and_b32 s5, s7, s5
	s_wait_alu 0xfffe
	s_xor_b32 s6, s5, -1
	s_delay_alu instid0(SALU_CYCLE_1) | instskip(NEXT) | instid1(SALU_CYCLE_1)
	s_and_saveexec_b32 s7, s6
	s_xor_b32 s6, exec_lo, s7
; %bb.15:                               ;   in Loop: Header=BB2_2 Depth=1
	ds_load_b32 v46, v52 offset:4
                                        ; implicit-def: $vgpr51
; %bb.16:                               ;   in Loop: Header=BB2_2 Depth=1
	s_or_saveexec_b32 s6, s6
	v_mov_b32_e32 v52, v48
	s_xor_b32 exec_lo, exec_lo, s6
	s_cbranch_execz .LBB2_18
; %bb.17:                               ;   in Loop: Header=BB2_2 Depth=1
	ds_load_b32 v52, v51 offset:4
	s_wait_dscnt 0x1
	v_mov_b32_e32 v46, v47
.LBB2_18:                               ;   in Loop: Header=BB2_2 Depth=1
	s_or_b32 exec_lo, exec_lo, s6
	v_add_nc_u32_e32 v51, 1, v50
	v_add_nc_u32_e32 v53, 1, v49
	s_wait_dscnt 0x0
	v_cmp_lt_i32_e64 s6, v52, v46
	v_cndmask_b32_e64 v47, v47, v48, s5
	s_wait_loadcnt 0x0
	v_cndmask_b32_e64 v50, v51, v50, s5
	v_cndmask_b32_e64 v49, v49, v53, s5
	s_barrier_signal -1
	s_barrier_wait -1
	global_inv scope:SCOPE_SE
	v_cmp_ge_i32_e64 s7, v50, v6
	v_cmp_lt_i32_e64 s8, v49, v7
	s_or_b32 s5, s7, s6
	s_wait_alu 0xfffe
	s_and_b32 s5, s8, s5
	s_wait_alu 0xfffe
	v_cndmask_b32_e64 v48, v46, v52, s5
	v_mov_b32_e32 v46, v22
	ds_store_2addr_b32 v5, v47, v48 offset1:1
	s_wait_loadcnt_dscnt 0x0
	s_barrier_signal -1
	s_barrier_wait -1
	global_inv scope:SCOPE_SE
	s_and_saveexec_b32 s6, s1
	s_cbranch_execz .LBB2_22
; %bb.19:                               ;   in Loop: Header=BB2_2 Depth=1
	v_dual_mov_b32 v46, v22 :: v_dual_mov_b32 v47, v24
	s_mov_b32 s7, 0
.LBB2_20:                               ;   Parent Loop BB2_2 Depth=1
                                        ; =>  This Inner Loop Header: Depth=2
	s_delay_alu instid0(VALU_DEP_1) | instskip(NEXT) | instid1(VALU_DEP_1)
	v_sub_nc_u32_e32 v48, v47, v46
	v_lshrrev_b32_e32 v48, 1, v48
	s_delay_alu instid0(VALU_DEP_1) | instskip(NEXT) | instid1(VALU_DEP_1)
	v_add_nc_u32_e32 v48, v48, v46
	v_not_b32_e32 v49, v48
	v_lshl_add_u32 v50, v48, 2, v25
	v_add_nc_u32_e32 v51, 1, v48
	s_delay_alu instid0(VALU_DEP_3)
	v_lshl_add_u32 v49, v49, 2, v42
	ds_load_b32 v50, v50
	ds_load_b32 v49, v49
	s_wait_dscnt 0x0
	v_cmp_lt_i32_e64 s5, v49, v50
	s_wait_alu 0xf1ff
	s_delay_alu instid0(VALU_DEP_1) | instskip(SKIP_1) | instid1(VALU_DEP_1)
	v_cndmask_b32_e64 v47, v47, v48, s5
	v_cndmask_b32_e64 v46, v51, v46, s5
	v_cmp_ge_i32_e64 s5, v46, v47
	s_or_b32 s7, s5, s7
	s_delay_alu instid0(SALU_CYCLE_1)
	s_and_not1_b32 exec_lo, exec_lo, s7
	s_cbranch_execnz .LBB2_20
; %bb.21:                               ;   in Loop: Header=BB2_2 Depth=1
	s_or_b32 exec_lo, exec_lo, s7
.LBB2_22:                               ;   in Loop: Header=BB2_2 Depth=1
	s_delay_alu instid0(SALU_CYCLE_1) | instskip(SKIP_3) | instid1(VALU_DEP_3)
	s_or_b32 exec_lo, exec_lo, s6
	v_sub_nc_u32_e32 v49, v30, v46
	v_lshl_add_u32 v52, v46, 2, v25
	v_add_nc_u32_e32 v50, v46, v11
                                        ; implicit-def: $vgpr46
	v_lshlrev_b32_e32 v51, 2, v49
	v_cmp_gt_i32_e64 s7, v14, v49
	s_delay_alu instid0(VALU_DEP_3)
	v_cmp_le_i32_e64 s5, v13, v50
	ds_load_b32 v47, v52
	ds_load_b32 v48, v51
	s_wait_dscnt 0x0
	v_cmp_lt_i32_e64 s6, v48, v47
	s_or_b32 s5, s5, s6
	s_wait_alu 0xfffe
	s_and_b32 s5, s7, s5
	s_wait_alu 0xfffe
	s_xor_b32 s6, s5, -1
	s_delay_alu instid0(SALU_CYCLE_1) | instskip(NEXT) | instid1(SALU_CYCLE_1)
	s_and_saveexec_b32 s7, s6
	s_xor_b32 s6, exec_lo, s7
; %bb.23:                               ;   in Loop: Header=BB2_2 Depth=1
	ds_load_b32 v46, v52 offset:4
                                        ; implicit-def: $vgpr51
; %bb.24:                               ;   in Loop: Header=BB2_2 Depth=1
	s_or_saveexec_b32 s6, s6
	v_mov_b32_e32 v52, v48
	s_xor_b32 exec_lo, exec_lo, s6
	s_cbranch_execz .LBB2_26
; %bb.25:                               ;   in Loop: Header=BB2_2 Depth=1
	ds_load_b32 v52, v51 offset:4
	s_wait_dscnt 0x1
	v_mov_b32_e32 v46, v47
.LBB2_26:                               ;   in Loop: Header=BB2_2 Depth=1
	s_or_b32 exec_lo, exec_lo, s6
	v_add_nc_u32_e32 v51, 1, v50
	v_add_nc_u32_e32 v53, 1, v49
	s_wait_dscnt 0x0
	v_cmp_lt_i32_e64 s6, v52, v46
	v_cndmask_b32_e64 v47, v47, v48, s5
	s_wait_loadcnt 0x0
	v_cndmask_b32_e64 v50, v51, v50, s5
	v_cndmask_b32_e64 v49, v49, v53, s5
	s_barrier_signal -1
	s_barrier_wait -1
	global_inv scope:SCOPE_SE
	v_cmp_ge_i32_e64 s7, v50, v13
	v_cmp_lt_i32_e64 s8, v49, v14
	s_or_b32 s5, s7, s6
	s_wait_alu 0xfffe
	s_and_b32 s5, s8, s5
	s_wait_alu 0xfffe
	v_cndmask_b32_e64 v48, v46, v52, s5
	v_mov_b32_e32 v46, v28
	ds_store_2addr_b32 v5, v47, v48 offset1:1
	s_wait_loadcnt_dscnt 0x0
	s_barrier_signal -1
	s_barrier_wait -1
	global_inv scope:SCOPE_SE
	s_and_saveexec_b32 s6, s2
	s_cbranch_execz .LBB2_30
; %bb.27:                               ;   in Loop: Header=BB2_2 Depth=1
	v_dual_mov_b32 v46, v28 :: v_dual_mov_b32 v47, v29
	s_mov_b32 s7, 0
.LBB2_28:                               ;   Parent Loop BB2_2 Depth=1
                                        ; =>  This Inner Loop Header: Depth=2
	s_delay_alu instid0(VALU_DEP_1) | instskip(NEXT) | instid1(VALU_DEP_1)
	v_sub_nc_u32_e32 v48, v47, v46
	v_lshrrev_b32_e32 v48, 1, v48
	s_delay_alu instid0(VALU_DEP_1) | instskip(NEXT) | instid1(VALU_DEP_1)
	v_add_nc_u32_e32 v48, v48, v46
	v_not_b32_e32 v49, v48
	v_lshl_add_u32 v50, v48, 2, v31
	v_add_nc_u32_e32 v51, 1, v48
	s_delay_alu instid0(VALU_DEP_3)
	v_lshl_add_u32 v49, v49, 2, v43
	ds_load_b32 v50, v50
	ds_load_b32 v49, v49
	s_wait_dscnt 0x0
	v_cmp_lt_i32_e64 s5, v49, v50
	s_wait_alu 0xf1ff
	s_delay_alu instid0(VALU_DEP_1) | instskip(SKIP_1) | instid1(VALU_DEP_1)
	v_cndmask_b32_e64 v47, v47, v48, s5
	v_cndmask_b32_e64 v46, v51, v46, s5
	v_cmp_ge_i32_e64 s5, v46, v47
	s_or_b32 s7, s5, s7
	s_delay_alu instid0(SALU_CYCLE_1)
	s_and_not1_b32 exec_lo, exec_lo, s7
	s_cbranch_execnz .LBB2_28
; %bb.29:                               ;   in Loop: Header=BB2_2 Depth=1
	s_or_b32 exec_lo, exec_lo, s7
.LBB2_30:                               ;   in Loop: Header=BB2_2 Depth=1
	s_delay_alu instid0(SALU_CYCLE_1) | instskip(SKIP_3) | instid1(VALU_DEP_3)
	s_or_b32 exec_lo, exec_lo, s6
	v_sub_nc_u32_e32 v49, v36, v46
	v_lshl_add_u32 v52, v46, 2, v31
	v_add_nc_u32_e32 v50, v46, v18
                                        ; implicit-def: $vgpr46
	v_lshlrev_b32_e32 v51, 2, v49
	v_cmp_gt_i32_e64 s7, v21, v49
	s_delay_alu instid0(VALU_DEP_3)
	v_cmp_le_i32_e64 s5, v20, v50
	ds_load_b32 v47, v52
	ds_load_b32 v48, v51
	s_wait_dscnt 0x0
	v_cmp_lt_i32_e64 s6, v48, v47
	s_or_b32 s5, s5, s6
	s_wait_alu 0xfffe
	s_and_b32 s5, s7, s5
	s_wait_alu 0xfffe
	s_xor_b32 s6, s5, -1
	s_delay_alu instid0(SALU_CYCLE_1) | instskip(NEXT) | instid1(SALU_CYCLE_1)
	s_and_saveexec_b32 s7, s6
	s_xor_b32 s6, exec_lo, s7
; %bb.31:                               ;   in Loop: Header=BB2_2 Depth=1
	ds_load_b32 v46, v52 offset:4
                                        ; implicit-def: $vgpr51
; %bb.32:                               ;   in Loop: Header=BB2_2 Depth=1
	s_or_saveexec_b32 s6, s6
	v_mov_b32_e32 v52, v48
	s_xor_b32 exec_lo, exec_lo, s6
	s_cbranch_execz .LBB2_34
; %bb.33:                               ;   in Loop: Header=BB2_2 Depth=1
	ds_load_b32 v52, v51 offset:4
	s_wait_dscnt 0x1
	v_mov_b32_e32 v46, v47
.LBB2_34:                               ;   in Loop: Header=BB2_2 Depth=1
	s_or_b32 exec_lo, exec_lo, s6
	v_add_nc_u32_e32 v51, 1, v50
	v_add_nc_u32_e32 v53, 1, v49
	s_wait_dscnt 0x0
	v_cmp_lt_i32_e64 s6, v52, v46
	v_cndmask_b32_e64 v47, v47, v48, s5
	s_wait_loadcnt 0x0
	v_cndmask_b32_e64 v50, v51, v50, s5
	v_cndmask_b32_e64 v49, v49, v53, s5
	s_barrier_signal -1
	s_barrier_wait -1
	global_inv scope:SCOPE_SE
	v_cmp_ge_i32_e64 s7, v50, v20
	v_cmp_lt_i32_e64 s8, v49, v21
	s_or_b32 s5, s7, s6
	s_wait_alu 0xfffe
	s_and_b32 s5, s8, s5
	s_wait_alu 0xfffe
	v_cndmask_b32_e64 v48, v46, v52, s5
	v_mov_b32_e32 v46, v32
	ds_store_2addr_b32 v5, v47, v48 offset1:1
	s_wait_loadcnt_dscnt 0x0
	s_barrier_signal -1
	s_barrier_wait -1
	global_inv scope:SCOPE_SE
	s_and_saveexec_b32 s6, s3
	s_cbranch_execz .LBB2_38
; %bb.35:                               ;   in Loop: Header=BB2_2 Depth=1
	v_dual_mov_b32 v46, v32 :: v_dual_mov_b32 v47, v33
	s_mov_b32 s7, 0
.LBB2_36:                               ;   Parent Loop BB2_2 Depth=1
                                        ; =>  This Inner Loop Header: Depth=2
	s_delay_alu instid0(VALU_DEP_1) | instskip(NEXT) | instid1(VALU_DEP_1)
	v_sub_nc_u32_e32 v48, v47, v46
	v_lshrrev_b32_e32 v48, 1, v48
	s_delay_alu instid0(VALU_DEP_1) | instskip(NEXT) | instid1(VALU_DEP_1)
	v_add_nc_u32_e32 v48, v48, v46
	v_not_b32_e32 v49, v48
	v_lshl_add_u32 v50, v48, 2, v37
	v_add_nc_u32_e32 v51, 1, v48
	s_delay_alu instid0(VALU_DEP_3)
	v_lshl_add_u32 v49, v49, 2, v44
	ds_load_b32 v50, v50
	ds_load_b32 v49, v49
	s_wait_dscnt 0x0
	v_cmp_lt_i32_e64 s5, v49, v50
	s_wait_alu 0xf1ff
	s_delay_alu instid0(VALU_DEP_1) | instskip(SKIP_1) | instid1(VALU_DEP_1)
	v_cndmask_b32_e64 v47, v47, v48, s5
	v_cndmask_b32_e64 v46, v51, v46, s5
	v_cmp_ge_i32_e64 s5, v46, v47
	s_or_b32 s7, s5, s7
	s_delay_alu instid0(SALU_CYCLE_1)
	s_and_not1_b32 exec_lo, exec_lo, s7
	s_cbranch_execnz .LBB2_36
; %bb.37:                               ;   in Loop: Header=BB2_2 Depth=1
	s_or_b32 exec_lo, exec_lo, s7
.LBB2_38:                               ;   in Loop: Header=BB2_2 Depth=1
	s_delay_alu instid0(SALU_CYCLE_1) | instskip(SKIP_3) | instid1(VALU_DEP_3)
	s_or_b32 exec_lo, exec_lo, s6
	v_sub_nc_u32_e32 v49, v38, v46
	v_lshl_add_u32 v52, v46, 2, v37
	v_add_nc_u32_e32 v50, v46, v23
                                        ; implicit-def: $vgpr46
	v_lshlrev_b32_e32 v51, 2, v49
	v_cmp_gt_i32_e64 s7, v27, v49
	s_delay_alu instid0(VALU_DEP_3)
	v_cmp_le_i32_e64 s5, v26, v50
	ds_load_b32 v47, v52
	ds_load_b32 v48, v51
	s_wait_dscnt 0x0
	v_cmp_lt_i32_e64 s6, v48, v47
	s_or_b32 s5, s5, s6
	s_wait_alu 0xfffe
	s_and_b32 s5, s7, s5
	s_wait_alu 0xfffe
	s_xor_b32 s6, s5, -1
	s_delay_alu instid0(SALU_CYCLE_1) | instskip(NEXT) | instid1(SALU_CYCLE_1)
	s_and_saveexec_b32 s7, s6
	s_xor_b32 s6, exec_lo, s7
; %bb.39:                               ;   in Loop: Header=BB2_2 Depth=1
	ds_load_b32 v46, v52 offset:4
                                        ; implicit-def: $vgpr51
; %bb.40:                               ;   in Loop: Header=BB2_2 Depth=1
	s_or_saveexec_b32 s6, s6
	v_mov_b32_e32 v52, v48
	s_xor_b32 exec_lo, exec_lo, s6
	s_cbranch_execz .LBB2_42
; %bb.41:                               ;   in Loop: Header=BB2_2 Depth=1
	ds_load_b32 v52, v51 offset:4
	s_wait_dscnt 0x1
	v_mov_b32_e32 v46, v47
.LBB2_42:                               ;   in Loop: Header=BB2_2 Depth=1
	s_or_b32 exec_lo, exec_lo, s6
	v_add_nc_u32_e32 v51, 1, v50
	v_add_nc_u32_e32 v53, 1, v49
	s_wait_dscnt 0x0
	v_cmp_lt_i32_e64 s6, v52, v46
	v_cndmask_b32_e64 v47, v47, v48, s5
	s_wait_loadcnt 0x0
	v_cndmask_b32_e64 v50, v51, v50, s5
	v_cndmask_b32_e64 v49, v49, v53, s5
	s_barrier_signal -1
	s_barrier_wait -1
	global_inv scope:SCOPE_SE
	v_cmp_ge_i32_e64 s7, v50, v26
	v_cmp_lt_i32_e64 s8, v49, v27
	s_or_b32 s5, s7, s6
	s_wait_alu 0xfffe
	s_and_b32 s5, s8, s5
	s_wait_alu 0xfffe
	v_cndmask_b32_e64 v48, v46, v52, s5
	v_mov_b32_e32 v46, v34
	ds_store_2addr_b32 v5, v47, v48 offset1:1
	s_wait_loadcnt_dscnt 0x0
	s_barrier_signal -1
	s_barrier_wait -1
	global_inv scope:SCOPE_SE
	s_and_saveexec_b32 s6, s4
	s_cbranch_execz .LBB2_46
; %bb.43:                               ;   in Loop: Header=BB2_2 Depth=1
	v_dual_mov_b32 v46, v34 :: v_dual_mov_b32 v47, v35
	s_mov_b32 s7, 0
.LBB2_44:                               ;   Parent Loop BB2_2 Depth=1
                                        ; =>  This Inner Loop Header: Depth=2
	s_delay_alu instid0(VALU_DEP_1) | instskip(NEXT) | instid1(VALU_DEP_1)
	v_sub_nc_u32_e32 v48, v47, v46
	v_lshrrev_b32_e32 v48, 1, v48
	s_delay_alu instid0(VALU_DEP_1) | instskip(NEXT) | instid1(VALU_DEP_1)
	v_add_nc_u32_e32 v48, v48, v46
	v_not_b32_e32 v49, v48
	v_lshlrev_b32_e32 v50, 2, v48
	v_add_nc_u32_e32 v51, 1, v48
	s_delay_alu instid0(VALU_DEP_3)
	v_lshl_add_u32 v49, v49, 2, v45
	ds_load_b32 v50, v50
	ds_load_b32 v49, v49
	s_wait_dscnt 0x0
	v_cmp_lt_i32_e64 s5, v49, v50
	s_wait_alu 0xf1ff
	s_delay_alu instid0(VALU_DEP_1) | instskip(SKIP_1) | instid1(VALU_DEP_1)
	v_cndmask_b32_e64 v47, v47, v48, s5
	v_cndmask_b32_e64 v46, v51, v46, s5
	v_cmp_ge_i32_e64 s5, v46, v47
	s_or_b32 s7, s5, s7
	s_delay_alu instid0(SALU_CYCLE_1)
	s_and_not1_b32 exec_lo, exec_lo, s7
	s_cbranch_execnz .LBB2_44
; %bb.45:                               ;   in Loop: Header=BB2_2 Depth=1
	s_or_b32 exec_lo, exec_lo, s7
.LBB2_46:                               ;   in Loop: Header=BB2_2 Depth=1
	s_delay_alu instid0(SALU_CYCLE_1) | instskip(SKIP_3) | instid1(VALU_DEP_3)
	s_or_b32 exec_lo, exec_lo, s6
	v_sub_nc_u32_e32 v47, v39, v46
	v_lshlrev_b32_e32 v52, 2, v46
	v_cmp_le_i32_e64 s5, 64, v46
                                        ; implicit-def: $vgpr50
	v_lshlrev_b32_e32 v51, 2, v47
	v_cmp_gt_i32_e64 s7, 0x80, v47
	ds_load_b32 v48, v52
	ds_load_b32 v49, v51
	s_wait_dscnt 0x0
	v_cmp_lt_i32_e64 s6, v49, v48
	s_or_b32 s5, s5, s6
	s_wait_alu 0xfffe
	s_and_b32 s5, s7, s5
	s_wait_alu 0xfffe
	s_xor_b32 s6, s5, -1
	s_delay_alu instid0(SALU_CYCLE_1) | instskip(NEXT) | instid1(SALU_CYCLE_1)
	s_and_saveexec_b32 s7, s6
	s_xor_b32 s6, exec_lo, s7
; %bb.47:                               ;   in Loop: Header=BB2_2 Depth=1
	ds_load_b32 v50, v52 offset:4
	v_add_nc_u32_e32 v46, 1, v46
                                        ; implicit-def: $vgpr51
; %bb.48:                               ;   in Loop: Header=BB2_2 Depth=1
	s_or_saveexec_b32 s6, s6
	v_mov_b32_e32 v52, v49
	s_xor_b32 exec_lo, exec_lo, s6
	s_cbranch_execz .LBB2_1
; %bb.49:                               ;   in Loop: Header=BB2_2 Depth=1
	ds_load_b32 v52, v51 offset:4
	s_wait_dscnt 0x1
	v_dual_mov_b32 v50, v48 :: v_dual_add_nc_u32 v47, 1, v47
	s_branch .LBB2_1
.LBB2_50:
	v_lshlrev_b32_e32 v0, 2, v0
	s_add_nc_u64 s[0:1], s[10:11], s[14:15]
	s_clause 0x1
	global_store_b32 v0, v46, s[0:1]
	global_store_b32 v0, v47, s[0:1] offset:256
	s_endpgm
	.section	.rodata,"a",@progbits
	.p2align	6, 0x0
	.amdhsa_kernel _Z16sort_keys_kernelIiLj64ELj2EN10test_utils4lessELj10EEvPKT_PS2_T2_
		.amdhsa_group_segment_fixed_size 516
		.amdhsa_private_segment_fixed_size 0
		.amdhsa_kernarg_size 20
		.amdhsa_user_sgpr_count 2
		.amdhsa_user_sgpr_dispatch_ptr 0
		.amdhsa_user_sgpr_queue_ptr 0
		.amdhsa_user_sgpr_kernarg_segment_ptr 1
		.amdhsa_user_sgpr_dispatch_id 0
		.amdhsa_user_sgpr_private_segment_size 0
		.amdhsa_wavefront_size32 1
		.amdhsa_uses_dynamic_stack 0
		.amdhsa_enable_private_segment 0
		.amdhsa_system_sgpr_workgroup_id_x 1
		.amdhsa_system_sgpr_workgroup_id_y 0
		.amdhsa_system_sgpr_workgroup_id_z 0
		.amdhsa_system_sgpr_workgroup_info 0
		.amdhsa_system_vgpr_workitem_id 0
		.amdhsa_next_free_vgpr 54
		.amdhsa_next_free_sgpr 16
		.amdhsa_reserve_vcc 1
		.amdhsa_float_round_mode_32 0
		.amdhsa_float_round_mode_16_64 0
		.amdhsa_float_denorm_mode_32 3
		.amdhsa_float_denorm_mode_16_64 3
		.amdhsa_fp16_overflow 0
		.amdhsa_workgroup_processor_mode 1
		.amdhsa_memory_ordered 1
		.amdhsa_forward_progress 1
		.amdhsa_inst_pref_size 26
		.amdhsa_round_robin_scheduling 0
		.amdhsa_exception_fp_ieee_invalid_op 0
		.amdhsa_exception_fp_denorm_src 0
		.amdhsa_exception_fp_ieee_div_zero 0
		.amdhsa_exception_fp_ieee_overflow 0
		.amdhsa_exception_fp_ieee_underflow 0
		.amdhsa_exception_fp_ieee_inexact 0
		.amdhsa_exception_int_div_zero 0
	.end_amdhsa_kernel
	.section	.text._Z16sort_keys_kernelIiLj64ELj2EN10test_utils4lessELj10EEvPKT_PS2_T2_,"axG",@progbits,_Z16sort_keys_kernelIiLj64ELj2EN10test_utils4lessELj10EEvPKT_PS2_T2_,comdat
.Lfunc_end2:
	.size	_Z16sort_keys_kernelIiLj64ELj2EN10test_utils4lessELj10EEvPKT_PS2_T2_, .Lfunc_end2-_Z16sort_keys_kernelIiLj64ELj2EN10test_utils4lessELj10EEvPKT_PS2_T2_
                                        ; -- End function
	.set _Z16sort_keys_kernelIiLj64ELj2EN10test_utils4lessELj10EEvPKT_PS2_T2_.num_vgpr, 54
	.set _Z16sort_keys_kernelIiLj64ELj2EN10test_utils4lessELj10EEvPKT_PS2_T2_.num_agpr, 0
	.set _Z16sort_keys_kernelIiLj64ELj2EN10test_utils4lessELj10EEvPKT_PS2_T2_.numbered_sgpr, 16
	.set _Z16sort_keys_kernelIiLj64ELj2EN10test_utils4lessELj10EEvPKT_PS2_T2_.num_named_barrier, 0
	.set _Z16sort_keys_kernelIiLj64ELj2EN10test_utils4lessELj10EEvPKT_PS2_T2_.private_seg_size, 0
	.set _Z16sort_keys_kernelIiLj64ELj2EN10test_utils4lessELj10EEvPKT_PS2_T2_.uses_vcc, 1
	.set _Z16sort_keys_kernelIiLj64ELj2EN10test_utils4lessELj10EEvPKT_PS2_T2_.uses_flat_scratch, 0
	.set _Z16sort_keys_kernelIiLj64ELj2EN10test_utils4lessELj10EEvPKT_PS2_T2_.has_dyn_sized_stack, 0
	.set _Z16sort_keys_kernelIiLj64ELj2EN10test_utils4lessELj10EEvPKT_PS2_T2_.has_recursion, 0
	.set _Z16sort_keys_kernelIiLj64ELj2EN10test_utils4lessELj10EEvPKT_PS2_T2_.has_indirect_call, 0
	.section	.AMDGPU.csdata,"",@progbits
; Kernel info:
; codeLenInByte = 3224
; TotalNumSgprs: 18
; NumVgprs: 54
; ScratchSize: 0
; MemoryBound: 0
; FloatMode: 240
; IeeeMode: 1
; LDSByteSize: 516 bytes/workgroup (compile time only)
; SGPRBlocks: 0
; VGPRBlocks: 6
; NumSGPRsForWavesPerEU: 18
; NumVGPRsForWavesPerEU: 54
; Occupancy: 16
; WaveLimiterHint : 1
; COMPUTE_PGM_RSRC2:SCRATCH_EN: 0
; COMPUTE_PGM_RSRC2:USER_SGPR: 2
; COMPUTE_PGM_RSRC2:TRAP_HANDLER: 0
; COMPUTE_PGM_RSRC2:TGID_X_EN: 1
; COMPUTE_PGM_RSRC2:TGID_Y_EN: 0
; COMPUTE_PGM_RSRC2:TGID_Z_EN: 0
; COMPUTE_PGM_RSRC2:TIDIG_COMP_CNT: 0
	.section	.text._Z17sort_pairs_kernelIiLj64ELj2EN10test_utils4lessELj10EEvPKT_PS2_T2_,"axG",@progbits,_Z17sort_pairs_kernelIiLj64ELj2EN10test_utils4lessELj10EEvPKT_PS2_T2_,comdat
	.protected	_Z17sort_pairs_kernelIiLj64ELj2EN10test_utils4lessELj10EEvPKT_PS2_T2_ ; -- Begin function _Z17sort_pairs_kernelIiLj64ELj2EN10test_utils4lessELj10EEvPKT_PS2_T2_
	.globl	_Z17sort_pairs_kernelIiLj64ELj2EN10test_utils4lessELj10EEvPKT_PS2_T2_
	.p2align	8
	.type	_Z17sort_pairs_kernelIiLj64ELj2EN10test_utils4lessELj10EEvPKT_PS2_T2_,@function
_Z17sort_pairs_kernelIiLj64ELj2EN10test_utils4lessELj10EEvPKT_PS2_T2_: ; @_Z17sort_pairs_kernelIiLj64ELj2EN10test_utils4lessELj10EEvPKT_PS2_T2_
; %bb.0:
	s_load_b128 s[8:11], s[0:1], 0x0
	s_lshl_b32 s14, ttmp9, 7
	s_mov_b32 s15, 0
	v_lshlrev_b32_e32 v1, 2, v0
	s_lshl_b64 s[12:13], s[14:15], 2
	v_lshlrev_b32_e32 v9, 1, v0
	s_delay_alu instid0(VALU_DEP_1)
	v_and_b32_e32 v2, 0x7c, v9
	v_and_b32_e32 v3, 0x78, v9
	;; [unrolled: 1-line block ×5, first 2 shown]
	v_or_b32_e32 v10, 2, v2
	v_add_nc_u32_e32 v11, 4, v2
	v_or_b32_e32 v13, 4, v3
	v_add_nc_u32_e32 v14, 8, v3
	v_and_b32_e32 v5, 0x60, v9
	s_wait_kmcnt 0x0
	s_add_nc_u64 s[0:1], s[8:9], s[12:13]
	v_sub_nc_u32_e32 v45, v11, v10
	s_clause 0x1
	global_load_b32 v47, v1, s[0:1]
	global_load_b32 v46, v1, s[0:1] offset:256
	v_or_b32_e32 v16, 8, v4
	v_add_nc_u32_e32 v17, 16, v4
	v_sub_nc_u32_e32 v35, v10, v2
	v_sub_nc_u32_e32 v48, v14, v13
	;; [unrolled: 1-line block ×3, first 2 shown]
	v_cmp_ge_i32_e64 s0, v40, v45
	v_and_b32_e32 v42, 14, v9
	v_and_b32_e32 v6, 64, v9
	v_or_b32_e32 v19, 16, v5
	v_add_nc_u32_e32 v20, 32, v5
	v_lshlrev_b32_e32 v30, 2, v40
	v_add_nc_u32_e32 v25, v10, v40
	v_sub_nc_u32_e32 v36, v13, v3
	v_sub_nc_u32_e32 v49, v17, v16
	v_min_i32_e32 v35, v40, v35
	v_sub_nc_u32_e32 v53, v41, v48
	v_cndmask_b32_e64 v40, 0, v52, s0
	v_cmp_ge_i32_e64 s0, v41, v48
	v_and_b32_e32 v43, 30, v9
	v_or_b32_e32 v22, 32, v6
	v_add_nc_u32_e32 v23, 64, v6
	v_lshlrev_b32_e32 v31, 2, v41
	v_add_nc_u32_e32 v26, v13, v41
	v_sub_nc_u32_e32 v37, v16, v4
	v_sub_nc_u32_e32 v50, v20, v19
	v_min_i32_e32 v36, v41, v36
	v_sub_nc_u32_e32 v54, v42, v49
	s_wait_alu 0xf1ff
	v_cndmask_b32_e64 v41, 0, v53, s0
	v_cmp_ge_i32_e64 s0, v42, v49
	v_and_b32_e32 v44, 62, v9
	v_lshlrev_b32_e32 v32, 2, v42
	v_add_nc_u32_e32 v27, v16, v42
	v_sub_nc_u32_e32 v38, v19, v5
	v_sub_nc_u32_e32 v51, v23, v22
	v_min_i32_e32 v37, v42, v37
	v_sub_nc_u32_e32 v55, v43, v50
	s_wait_alu 0xf1ff
	v_cndmask_b32_e64 v42, 0, v54, s0
	v_cmp_ge_i32_e64 s0, v43, v50
	v_lshlrev_b32_e32 v33, 2, v43
	v_add_nc_u32_e32 v28, v19, v43
	v_sub_nc_u32_e32 v39, v22, v6
	v_min_i32_e32 v38, v43, v38
	v_sub_nc_u32_e32 v56, v44, v51
	s_wait_alu 0xf1ff
	v_cndmask_b32_e64 v43, 0, v55, s0
	v_cmp_ge_i32_e64 s0, v44, v51
	v_lshlrev_b32_e32 v1, 3, v0
	v_lshlrev_b32_e32 v34, 2, v44
	v_add_nc_u32_e32 v29, v22, v44
	v_min_i32_e32 v39, v44, v39
	s_wait_alu 0xf1ff
	v_cndmask_b32_e64 v44, 0, v56, s0
	v_sub_nc_u32_e64 v7, v9, 64 clamp
	v_min_i32_e32 v8, 64, v9
	v_add_nc_u32_e32 v9, 64, v9
	v_lshlrev_b32_e32 v12, 2, v2
	v_lshlrev_b32_e32 v15, 2, v3
	;; [unrolled: 1-line block ×5, first 2 shown]
	v_lshl_add_u32 v30, v10, 2, v30
	v_lshl_add_u32 v31, v13, 2, v31
	;; [unrolled: 1-line block ×5, first 2 shown]
	v_cmp_lt_i32_e64 s0, v40, v35
	v_cmp_lt_i32_e64 s1, v41, v36
	;; [unrolled: 1-line block ×5, first 2 shown]
	v_add_nc_u32_e32 v45, 0x100, v1
	v_cmp_lt_i32_e32 vcc_lo, v7, v8
	s_wait_loadcnt 0x1
	v_add_nc_u32_e32 v49, 1, v47
	s_wait_loadcnt 0x0
	v_add_nc_u32_e32 v48, 1, v46
	s_branch .LBB3_2
.LBB3_1:                                ;   in Loop: Header=BB3_2 Depth=1
	s_or_b32 exec_lo, exec_lo, s6
	s_delay_alu instid0(VALU_DEP_2)
	v_cmp_le_i32_e64 s6, 64, v52
	s_wait_dscnt 0x0
	v_cmp_lt_i32_e64 s7, v56, v53
	v_cmp_gt_i32_e64 s8, 0x80, v49
	s_wait_loadcnt 0x0
	s_barrier_signal -1
	s_barrier_wait -1
	s_or_b32 s6, s6, s7
	global_inv scope:SCOPE_SE
	s_wait_alu 0xfffe
	s_and_b32 s6, s8, s6
	ds_store_2addr_b32 v1, v47, v48 offset1:1
	s_wait_alu 0xfffe
	v_cndmask_b32_e64 v49, v52, v49, s6
	v_lshlrev_b32_e32 v47, 2, v54
	s_wait_loadcnt_dscnt 0x0
	s_barrier_signal -1
	s_barrier_wait -1
	v_lshlrev_b32_e32 v48, 2, v49
	global_inv scope:SCOPE_SE
	v_cndmask_b32_e64 v46, v53, v56, s6
	ds_load_b32 v49, v47
	ds_load_b32 v48, v48
	v_cndmask_b32_e64 v47, v50, v51, s5
	s_add_co_i32 s15, s15, 1
	s_delay_alu instid0(SALU_CYCLE_1)
	s_cmp_eq_u32 s15, 10
	s_cbranch_scc1 .LBB3_50
.LBB3_2:                                ; =>This Loop Header: Depth=1
                                        ;     Child Loop BB3_4 Depth 2
                                        ;     Child Loop BB3_12 Depth 2
	;; [unrolled: 1-line block ×6, first 2 shown]
	s_delay_alu instid0(VALU_DEP_1)
	v_cmp_lt_i32_e64 s5, v46, v47
	s_barrier_signal -1
	s_barrier_wait -1
	global_inv scope:SCOPE_SE
	s_wait_alu 0xf1ff
	v_cndmask_b32_e64 v50, v46, v47, s5
	v_cndmask_b32_e64 v47, v47, v46, s5
	v_mov_b32_e32 v46, v40
	ds_store_2addr_b32 v1, v47, v50 offset1:1
	s_wait_loadcnt_dscnt 0x0
	s_barrier_signal -1
	s_barrier_wait -1
	global_inv scope:SCOPE_SE
	s_and_saveexec_b32 s7, s0
	s_cbranch_execz .LBB3_6
; %bb.3:                                ;   in Loop: Header=BB3_2 Depth=1
	v_dual_mov_b32 v46, v40 :: v_dual_mov_b32 v47, v35
	s_mov_b32 s8, 0
.LBB3_4:                                ;   Parent Loop BB3_2 Depth=1
                                        ; =>  This Inner Loop Header: Depth=2
	s_delay_alu instid0(VALU_DEP_1) | instskip(NEXT) | instid1(VALU_DEP_1)
	v_sub_nc_u32_e32 v50, v47, v46
	v_lshrrev_b32_e32 v50, 1, v50
	s_delay_alu instid0(VALU_DEP_1) | instskip(NEXT) | instid1(VALU_DEP_1)
	v_add_nc_u32_e32 v50, v50, v46
	v_not_b32_e32 v51, v50
	v_lshl_add_u32 v52, v50, 2, v12
	v_add_nc_u32_e32 v53, 1, v50
	s_delay_alu instid0(VALU_DEP_3)
	v_lshl_add_u32 v51, v51, 2, v30
	ds_load_b32 v52, v52
	ds_load_b32 v51, v51
	s_wait_dscnt 0x0
	v_cmp_lt_i32_e64 s6, v51, v52
	s_wait_alu 0xf1ff
	s_delay_alu instid0(VALU_DEP_1) | instskip(SKIP_1) | instid1(VALU_DEP_1)
	v_cndmask_b32_e64 v47, v47, v50, s6
	v_cndmask_b32_e64 v46, v53, v46, s6
	v_cmp_ge_i32_e64 s6, v46, v47
	s_or_b32 s8, s6, s8
	s_delay_alu instid0(SALU_CYCLE_1)
	s_and_not1_b32 exec_lo, exec_lo, s8
	s_cbranch_execnz .LBB3_4
; %bb.5:                                ;   in Loop: Header=BB3_2 Depth=1
	s_or_b32 exec_lo, exec_lo, s8
.LBB3_6:                                ;   in Loop: Header=BB3_2 Depth=1
	s_wait_alu 0xfffe
	s_or_b32 exec_lo, exec_lo, s7
	v_sub_nc_u32_e32 v47, v25, v46
	v_lshl_add_u32 v53, v46, 2, v12
	v_add_nc_u32_e32 v52, v46, v2
                                        ; implicit-def: $vgpr46
	s_delay_alu instid0(VALU_DEP_3) | instskip(SKIP_1) | instid1(VALU_DEP_3)
	v_lshlrev_b32_e32 v54, 2, v47
	v_cmp_gt_i32_e64 s8, v11, v47
	v_cmp_le_i32_e64 s6, v10, v52
	ds_load_b32 v50, v53
	ds_load_b32 v51, v54
	s_wait_dscnt 0x0
	v_cmp_lt_i32_e64 s7, v51, v50
	s_or_b32 s6, s6, s7
	s_wait_alu 0xfffe
	s_and_b32 s6, s8, s6
	s_wait_alu 0xfffe
	s_xor_b32 s7, s6, -1
	s_wait_alu 0xfffe
	s_and_saveexec_b32 s8, s7
	s_delay_alu instid0(SALU_CYCLE_1)
	s_xor_b32 s7, exec_lo, s8
; %bb.7:                                ;   in Loop: Header=BB3_2 Depth=1
	ds_load_b32 v46, v53 offset:4
                                        ; implicit-def: $vgpr54
; %bb.8:                                ;   in Loop: Header=BB3_2 Depth=1
	s_wait_alu 0xfffe
	s_or_saveexec_b32 s7, s7
	v_mov_b32_e32 v53, v51
	s_wait_alu 0xfffe
	s_xor_b32 exec_lo, exec_lo, s7
	s_cbranch_execz .LBB3_10
; %bb.9:                                ;   in Loop: Header=BB3_2 Depth=1
	ds_load_b32 v53, v54 offset:4
	s_wait_dscnt 0x1
	v_mov_b32_e32 v46, v50
.LBB3_10:                               ;   in Loop: Header=BB3_2 Depth=1
	s_or_b32 exec_lo, exec_lo, s7
	v_add_nc_u32_e32 v54, 1, v52
	v_add_nc_u32_e32 v55, 1, v47
	s_wait_dscnt 0x0
	v_cmp_lt_i32_e64 s7, v53, v46
	s_wait_loadcnt 0x0
	s_barrier_signal -1
	v_cndmask_b32_e64 v54, v54, v52, s6
	v_cndmask_b32_e64 v55, v47, v55, s6
	;; [unrolled: 1-line block ×5, first 2 shown]
	v_cmp_ge_i32_e64 s8, v54, v10
	v_cmp_lt_i32_e64 s9, v55, v11
	v_lshlrev_b32_e32 v47, 2, v47
	s_barrier_wait -1
	global_inv scope:SCOPE_SE
	s_or_b32 s5, s8, s7
	ds_store_2addr_b32 v1, v48, v52 offset1:1
	s_wait_alu 0xfffe
	s_and_b32 s5, s9, s5
	s_wait_loadcnt_dscnt 0x0
	s_wait_alu 0xfffe
	v_cndmask_b32_e64 v49, v46, v53, s5
	v_cndmask_b32_e64 v46, v54, v55, s5
	s_barrier_signal -1
	s_barrier_wait -1
	global_inv scope:SCOPE_SE
	v_lshlrev_b32_e32 v48, 2, v46
	ds_load_b32 v46, v47
	ds_load_b32 v47, v48
	v_cndmask_b32_e64 v48, v50, v51, s6
	v_mov_b32_e32 v51, v41
	s_wait_loadcnt_dscnt 0x0
	s_barrier_signal -1
	s_barrier_wait -1
	global_inv scope:SCOPE_SE
	ds_store_2addr_b32 v1, v48, v49 offset1:1
	s_wait_loadcnt_dscnt 0x0
	s_barrier_signal -1
	s_barrier_wait -1
	global_inv scope:SCOPE_SE
	s_and_saveexec_b32 s6, s1
	s_cbranch_execz .LBB3_14
; %bb.11:                               ;   in Loop: Header=BB3_2 Depth=1
	v_dual_mov_b32 v51, v41 :: v_dual_mov_b32 v48, v36
	s_mov_b32 s7, 0
.LBB3_12:                               ;   Parent Loop BB3_2 Depth=1
                                        ; =>  This Inner Loop Header: Depth=2
	s_delay_alu instid0(VALU_DEP_1) | instskip(NEXT) | instid1(VALU_DEP_1)
	v_sub_nc_u32_e32 v49, v48, v51
	v_lshrrev_b32_e32 v49, 1, v49
	s_delay_alu instid0(VALU_DEP_1) | instskip(NEXT) | instid1(VALU_DEP_1)
	v_add_nc_u32_e32 v49, v49, v51
	v_not_b32_e32 v50, v49
	v_lshl_add_u32 v52, v49, 2, v15
	v_add_nc_u32_e32 v53, 1, v49
	s_delay_alu instid0(VALU_DEP_3)
	v_lshl_add_u32 v50, v50, 2, v31
	ds_load_b32 v52, v52
	ds_load_b32 v50, v50
	s_wait_dscnt 0x0
	v_cmp_lt_i32_e64 s5, v50, v52
	s_wait_alu 0xf1ff
	s_delay_alu instid0(VALU_DEP_1) | instskip(SKIP_1) | instid1(VALU_DEP_1)
	v_cndmask_b32_e64 v48, v48, v49, s5
	v_cndmask_b32_e64 v51, v53, v51, s5
	v_cmp_ge_i32_e64 s5, v51, v48
	s_wait_alu 0xfffe
	s_or_b32 s7, s5, s7
	s_wait_alu 0xfffe
	s_and_not1_b32 exec_lo, exec_lo, s7
	s_cbranch_execnz .LBB3_12
; %bb.13:                               ;   in Loop: Header=BB3_2 Depth=1
	s_or_b32 exec_lo, exec_lo, s7
.LBB3_14:                               ;   in Loop: Header=BB3_2 Depth=1
	s_wait_alu 0xfffe
	s_or_b32 exec_lo, exec_lo, s6
	v_sub_nc_u32_e32 v50, v26, v51
	v_lshl_add_u32 v53, v51, 2, v15
	v_add_nc_u32_e32 v51, v51, v3
                                        ; implicit-def: $vgpr52
	s_delay_alu instid0(VALU_DEP_3) | instskip(SKIP_1) | instid1(VALU_DEP_3)
	v_lshlrev_b32_e32 v54, 2, v50
	v_cmp_gt_i32_e64 s7, v14, v50
	v_cmp_le_i32_e64 s5, v13, v51
	ds_load_b32 v48, v53
	ds_load_b32 v49, v54
	s_wait_dscnt 0x0
	v_cmp_lt_i32_e64 s6, v49, v48
	s_or_b32 s5, s5, s6
	s_wait_alu 0xfffe
	s_and_b32 s5, s7, s5
	s_wait_alu 0xfffe
	s_xor_b32 s6, s5, -1
	s_wait_alu 0xfffe
	s_and_saveexec_b32 s7, s6
	s_wait_alu 0xfffe
	s_xor_b32 s6, exec_lo, s7
; %bb.15:                               ;   in Loop: Header=BB3_2 Depth=1
	ds_load_b32 v52, v53 offset:4
                                        ; implicit-def: $vgpr54
; %bb.16:                               ;   in Loop: Header=BB3_2 Depth=1
	s_wait_alu 0xfffe
	s_or_saveexec_b32 s6, s6
	v_mov_b32_e32 v53, v49
	s_wait_alu 0xfffe
	s_xor_b32 exec_lo, exec_lo, s6
	s_cbranch_execz .LBB3_18
; %bb.17:                               ;   in Loop: Header=BB3_2 Depth=1
	ds_load_b32 v53, v54 offset:4
	s_wait_dscnt 0x1
	v_mov_b32_e32 v52, v48
.LBB3_18:                               ;   in Loop: Header=BB3_2 Depth=1
	s_or_b32 exec_lo, exec_lo, s6
	v_add_nc_u32_e32 v54, 1, v51
	v_add_nc_u32_e32 v55, 1, v50
	s_wait_dscnt 0x0
	v_cmp_lt_i32_e64 s6, v53, v52
	s_wait_loadcnt 0x0
	s_barrier_signal -1
	v_cndmask_b32_e64 v54, v54, v51, s5
	v_cndmask_b32_e64 v55, v50, v55, s5
	;; [unrolled: 1-line block ×3, first 2 shown]
	s_barrier_wait -1
	global_inv scope:SCOPE_SE
	v_cmp_ge_i32_e64 s7, v54, v13
	v_cmp_lt_i32_e64 s8, v55, v14
	ds_store_2addr_b32 v1, v46, v47 offset1:1
	v_lshlrev_b32_e32 v46, 2, v50
	s_wait_loadcnt_dscnt 0x0
	s_or_b32 s6, s7, s6
	s_barrier_signal -1
	s_wait_alu 0xfffe
	s_and_b32 s6, s8, s6
	s_barrier_wait -1
	s_wait_alu 0xfffe
	v_cndmask_b32_e64 v51, v52, v53, s6
	v_cndmask_b32_e64 v52, v54, v55, s6
	global_inv scope:SCOPE_SE
	v_cndmask_b32_e64 v48, v48, v49, s5
	v_lshlrev_b32_e32 v47, 2, v52
	ds_load_b32 v46, v46
	ds_load_b32 v47, v47
	s_wait_loadcnt_dscnt 0x0
	s_barrier_signal -1
	s_barrier_wait -1
	global_inv scope:SCOPE_SE
	ds_store_2addr_b32 v1, v48, v51 offset1:1
	v_mov_b32_e32 v51, v42
	s_wait_loadcnt_dscnt 0x0
	s_barrier_signal -1
	s_barrier_wait -1
	global_inv scope:SCOPE_SE
	s_and_saveexec_b32 s6, s2
	s_cbranch_execz .LBB3_22
; %bb.19:                               ;   in Loop: Header=BB3_2 Depth=1
	v_dual_mov_b32 v51, v42 :: v_dual_mov_b32 v48, v37
	s_mov_b32 s7, 0
.LBB3_20:                               ;   Parent Loop BB3_2 Depth=1
                                        ; =>  This Inner Loop Header: Depth=2
	s_delay_alu instid0(VALU_DEP_1) | instskip(NEXT) | instid1(VALU_DEP_1)
	v_sub_nc_u32_e32 v49, v48, v51
	v_lshrrev_b32_e32 v49, 1, v49
	s_delay_alu instid0(VALU_DEP_1) | instskip(NEXT) | instid1(VALU_DEP_1)
	v_add_nc_u32_e32 v49, v49, v51
	v_not_b32_e32 v50, v49
	v_lshl_add_u32 v52, v49, 2, v18
	v_add_nc_u32_e32 v53, 1, v49
	s_delay_alu instid0(VALU_DEP_3)
	v_lshl_add_u32 v50, v50, 2, v32
	ds_load_b32 v52, v52
	ds_load_b32 v50, v50
	s_wait_dscnt 0x0
	v_cmp_lt_i32_e64 s5, v50, v52
	s_wait_alu 0xf1ff
	s_delay_alu instid0(VALU_DEP_1) | instskip(SKIP_1) | instid1(VALU_DEP_1)
	v_cndmask_b32_e64 v48, v48, v49, s5
	v_cndmask_b32_e64 v51, v53, v51, s5
	v_cmp_ge_i32_e64 s5, v51, v48
	s_wait_alu 0xfffe
	s_or_b32 s7, s5, s7
	s_wait_alu 0xfffe
	s_and_not1_b32 exec_lo, exec_lo, s7
	s_cbranch_execnz .LBB3_20
; %bb.21:                               ;   in Loop: Header=BB3_2 Depth=1
	s_or_b32 exec_lo, exec_lo, s7
.LBB3_22:                               ;   in Loop: Header=BB3_2 Depth=1
	s_wait_alu 0xfffe
	s_or_b32 exec_lo, exec_lo, s6
	v_sub_nc_u32_e32 v50, v27, v51
	v_lshl_add_u32 v53, v51, 2, v18
	v_add_nc_u32_e32 v51, v51, v4
                                        ; implicit-def: $vgpr52
	s_delay_alu instid0(VALU_DEP_3) | instskip(SKIP_1) | instid1(VALU_DEP_3)
	v_lshlrev_b32_e32 v54, 2, v50
	v_cmp_gt_i32_e64 s7, v17, v50
	v_cmp_le_i32_e64 s5, v16, v51
	ds_load_b32 v48, v53
	ds_load_b32 v49, v54
	s_wait_dscnt 0x0
	v_cmp_lt_i32_e64 s6, v49, v48
	s_or_b32 s5, s5, s6
	s_wait_alu 0xfffe
	s_and_b32 s5, s7, s5
	s_wait_alu 0xfffe
	s_xor_b32 s6, s5, -1
	s_wait_alu 0xfffe
	s_and_saveexec_b32 s7, s6
	s_wait_alu 0xfffe
	s_xor_b32 s6, exec_lo, s7
; %bb.23:                               ;   in Loop: Header=BB3_2 Depth=1
	ds_load_b32 v52, v53 offset:4
                                        ; implicit-def: $vgpr54
; %bb.24:                               ;   in Loop: Header=BB3_2 Depth=1
	s_wait_alu 0xfffe
	s_or_saveexec_b32 s6, s6
	v_mov_b32_e32 v53, v49
	s_wait_alu 0xfffe
	s_xor_b32 exec_lo, exec_lo, s6
	s_cbranch_execz .LBB3_26
; %bb.25:                               ;   in Loop: Header=BB3_2 Depth=1
	ds_load_b32 v53, v54 offset:4
	s_wait_dscnt 0x1
	v_mov_b32_e32 v52, v48
.LBB3_26:                               ;   in Loop: Header=BB3_2 Depth=1
	s_or_b32 exec_lo, exec_lo, s6
	v_add_nc_u32_e32 v54, 1, v51
	v_add_nc_u32_e32 v55, 1, v50
	s_wait_dscnt 0x0
	v_cmp_lt_i32_e64 s6, v53, v52
	s_wait_loadcnt 0x0
	s_barrier_signal -1
	v_cndmask_b32_e64 v54, v54, v51, s5
	v_cndmask_b32_e64 v55, v50, v55, s5
	;; [unrolled: 1-line block ×3, first 2 shown]
	s_barrier_wait -1
	global_inv scope:SCOPE_SE
	v_cmp_ge_i32_e64 s7, v54, v16
	v_cmp_lt_i32_e64 s8, v55, v17
	ds_store_2addr_b32 v1, v46, v47 offset1:1
	v_lshlrev_b32_e32 v46, 2, v50
	s_wait_loadcnt_dscnt 0x0
	s_or_b32 s6, s7, s6
	s_barrier_signal -1
	s_wait_alu 0xfffe
	s_and_b32 s6, s8, s6
	s_barrier_wait -1
	s_wait_alu 0xfffe
	v_cndmask_b32_e64 v51, v52, v53, s6
	v_cndmask_b32_e64 v52, v54, v55, s6
	global_inv scope:SCOPE_SE
	v_cndmask_b32_e64 v48, v48, v49, s5
	v_lshlrev_b32_e32 v47, 2, v52
	ds_load_b32 v46, v46
	ds_load_b32 v47, v47
	s_wait_loadcnt_dscnt 0x0
	s_barrier_signal -1
	s_barrier_wait -1
	global_inv scope:SCOPE_SE
	ds_store_2addr_b32 v1, v48, v51 offset1:1
	v_mov_b32_e32 v51, v43
	s_wait_loadcnt_dscnt 0x0
	s_barrier_signal -1
	s_barrier_wait -1
	global_inv scope:SCOPE_SE
	s_and_saveexec_b32 s6, s3
	s_cbranch_execz .LBB3_30
; %bb.27:                               ;   in Loop: Header=BB3_2 Depth=1
	v_dual_mov_b32 v51, v43 :: v_dual_mov_b32 v48, v38
	s_mov_b32 s7, 0
.LBB3_28:                               ;   Parent Loop BB3_2 Depth=1
                                        ; =>  This Inner Loop Header: Depth=2
	s_delay_alu instid0(VALU_DEP_1) | instskip(NEXT) | instid1(VALU_DEP_1)
	v_sub_nc_u32_e32 v49, v48, v51
	v_lshrrev_b32_e32 v49, 1, v49
	s_delay_alu instid0(VALU_DEP_1) | instskip(NEXT) | instid1(VALU_DEP_1)
	v_add_nc_u32_e32 v49, v49, v51
	v_not_b32_e32 v50, v49
	v_lshl_add_u32 v52, v49, 2, v21
	v_add_nc_u32_e32 v53, 1, v49
	s_delay_alu instid0(VALU_DEP_3)
	v_lshl_add_u32 v50, v50, 2, v33
	ds_load_b32 v52, v52
	ds_load_b32 v50, v50
	s_wait_dscnt 0x0
	v_cmp_lt_i32_e64 s5, v50, v52
	s_wait_alu 0xf1ff
	s_delay_alu instid0(VALU_DEP_1) | instskip(SKIP_1) | instid1(VALU_DEP_1)
	v_cndmask_b32_e64 v48, v48, v49, s5
	v_cndmask_b32_e64 v51, v53, v51, s5
	v_cmp_ge_i32_e64 s5, v51, v48
	s_wait_alu 0xfffe
	s_or_b32 s7, s5, s7
	s_wait_alu 0xfffe
	s_and_not1_b32 exec_lo, exec_lo, s7
	s_cbranch_execnz .LBB3_28
; %bb.29:                               ;   in Loop: Header=BB3_2 Depth=1
	s_or_b32 exec_lo, exec_lo, s7
.LBB3_30:                               ;   in Loop: Header=BB3_2 Depth=1
	s_wait_alu 0xfffe
	s_or_b32 exec_lo, exec_lo, s6
	v_sub_nc_u32_e32 v50, v28, v51
	v_lshl_add_u32 v53, v51, 2, v21
	v_add_nc_u32_e32 v51, v51, v5
                                        ; implicit-def: $vgpr52
	s_delay_alu instid0(VALU_DEP_3) | instskip(SKIP_1) | instid1(VALU_DEP_3)
	v_lshlrev_b32_e32 v54, 2, v50
	v_cmp_gt_i32_e64 s7, v20, v50
	v_cmp_le_i32_e64 s5, v19, v51
	ds_load_b32 v48, v53
	ds_load_b32 v49, v54
	s_wait_dscnt 0x0
	v_cmp_lt_i32_e64 s6, v49, v48
	s_or_b32 s5, s5, s6
	s_wait_alu 0xfffe
	s_and_b32 s5, s7, s5
	s_wait_alu 0xfffe
	s_xor_b32 s6, s5, -1
	s_wait_alu 0xfffe
	s_and_saveexec_b32 s7, s6
	s_wait_alu 0xfffe
	s_xor_b32 s6, exec_lo, s7
; %bb.31:                               ;   in Loop: Header=BB3_2 Depth=1
	ds_load_b32 v52, v53 offset:4
                                        ; implicit-def: $vgpr54
; %bb.32:                               ;   in Loop: Header=BB3_2 Depth=1
	s_wait_alu 0xfffe
	s_or_saveexec_b32 s6, s6
	v_mov_b32_e32 v53, v49
	s_wait_alu 0xfffe
	s_xor_b32 exec_lo, exec_lo, s6
	s_cbranch_execz .LBB3_34
; %bb.33:                               ;   in Loop: Header=BB3_2 Depth=1
	ds_load_b32 v53, v54 offset:4
	s_wait_dscnt 0x1
	v_mov_b32_e32 v52, v48
.LBB3_34:                               ;   in Loop: Header=BB3_2 Depth=1
	s_or_b32 exec_lo, exec_lo, s6
	v_add_nc_u32_e32 v54, 1, v51
	v_add_nc_u32_e32 v55, 1, v50
	s_wait_dscnt 0x0
	v_cmp_lt_i32_e64 s6, v53, v52
	s_wait_loadcnt 0x0
	s_barrier_signal -1
	v_cndmask_b32_e64 v54, v54, v51, s5
	v_cndmask_b32_e64 v55, v50, v55, s5
	;; [unrolled: 1-line block ×3, first 2 shown]
	s_barrier_wait -1
	global_inv scope:SCOPE_SE
	v_cmp_ge_i32_e64 s7, v54, v19
	v_cmp_lt_i32_e64 s8, v55, v20
	ds_store_2addr_b32 v1, v46, v47 offset1:1
	v_lshlrev_b32_e32 v46, 2, v50
	s_wait_loadcnt_dscnt 0x0
	s_or_b32 s6, s7, s6
	s_barrier_signal -1
	s_wait_alu 0xfffe
	s_and_b32 s6, s8, s6
	s_barrier_wait -1
	s_wait_alu 0xfffe
	v_cndmask_b32_e64 v51, v52, v53, s6
	v_cndmask_b32_e64 v52, v54, v55, s6
	global_inv scope:SCOPE_SE
	v_cndmask_b32_e64 v48, v48, v49, s5
	v_lshlrev_b32_e32 v47, 2, v52
	ds_load_b32 v46, v46
	ds_load_b32 v47, v47
	s_wait_loadcnt_dscnt 0x0
	s_barrier_signal -1
	s_barrier_wait -1
	global_inv scope:SCOPE_SE
	ds_store_2addr_b32 v1, v48, v51 offset1:1
	v_mov_b32_e32 v51, v44
	s_wait_loadcnt_dscnt 0x0
	s_barrier_signal -1
	s_barrier_wait -1
	global_inv scope:SCOPE_SE
	s_and_saveexec_b32 s6, s4
	s_cbranch_execz .LBB3_38
; %bb.35:                               ;   in Loop: Header=BB3_2 Depth=1
	v_dual_mov_b32 v51, v44 :: v_dual_mov_b32 v48, v39
	s_mov_b32 s7, 0
.LBB3_36:                               ;   Parent Loop BB3_2 Depth=1
                                        ; =>  This Inner Loop Header: Depth=2
	s_delay_alu instid0(VALU_DEP_1) | instskip(NEXT) | instid1(VALU_DEP_1)
	v_sub_nc_u32_e32 v49, v48, v51
	v_lshrrev_b32_e32 v49, 1, v49
	s_delay_alu instid0(VALU_DEP_1) | instskip(NEXT) | instid1(VALU_DEP_1)
	v_add_nc_u32_e32 v49, v49, v51
	v_not_b32_e32 v50, v49
	v_lshl_add_u32 v52, v49, 2, v24
	v_add_nc_u32_e32 v53, 1, v49
	s_delay_alu instid0(VALU_DEP_3)
	v_lshl_add_u32 v50, v50, 2, v34
	ds_load_b32 v52, v52
	ds_load_b32 v50, v50
	s_wait_dscnt 0x0
	v_cmp_lt_i32_e64 s5, v50, v52
	s_wait_alu 0xf1ff
	s_delay_alu instid0(VALU_DEP_1) | instskip(SKIP_1) | instid1(VALU_DEP_1)
	v_cndmask_b32_e64 v48, v48, v49, s5
	v_cndmask_b32_e64 v51, v53, v51, s5
	v_cmp_ge_i32_e64 s5, v51, v48
	s_wait_alu 0xfffe
	s_or_b32 s7, s5, s7
	s_wait_alu 0xfffe
	s_and_not1_b32 exec_lo, exec_lo, s7
	s_cbranch_execnz .LBB3_36
; %bb.37:                               ;   in Loop: Header=BB3_2 Depth=1
	s_or_b32 exec_lo, exec_lo, s7
.LBB3_38:                               ;   in Loop: Header=BB3_2 Depth=1
	s_wait_alu 0xfffe
	s_or_b32 exec_lo, exec_lo, s6
	v_sub_nc_u32_e32 v48, v29, v51
	v_lshl_add_u32 v53, v51, 2, v24
	v_add_nc_u32_e32 v51, v51, v6
                                        ; implicit-def: $vgpr52
	s_delay_alu instid0(VALU_DEP_3) | instskip(SKIP_1) | instid1(VALU_DEP_3)
	v_lshlrev_b32_e32 v54, 2, v48
	v_cmp_gt_i32_e64 s7, v23, v48
	v_cmp_le_i32_e64 s5, v22, v51
	ds_load_b32 v49, v53
	ds_load_b32 v50, v54
	s_wait_dscnt 0x0
	v_cmp_lt_i32_e64 s6, v50, v49
	s_or_b32 s5, s5, s6
	s_wait_alu 0xfffe
	s_and_b32 s5, s7, s5
	s_wait_alu 0xfffe
	s_xor_b32 s6, s5, -1
	s_wait_alu 0xfffe
	s_and_saveexec_b32 s7, s6
	s_wait_alu 0xfffe
	s_xor_b32 s6, exec_lo, s7
; %bb.39:                               ;   in Loop: Header=BB3_2 Depth=1
	ds_load_b32 v52, v53 offset:4
                                        ; implicit-def: $vgpr54
; %bb.40:                               ;   in Loop: Header=BB3_2 Depth=1
	s_wait_alu 0xfffe
	s_or_saveexec_b32 s6, s6
	v_mov_b32_e32 v53, v50
	s_wait_alu 0xfffe
	s_xor_b32 exec_lo, exec_lo, s6
	s_cbranch_execz .LBB3_42
; %bb.41:                               ;   in Loop: Header=BB3_2 Depth=1
	ds_load_b32 v53, v54 offset:4
	s_wait_dscnt 0x1
	v_mov_b32_e32 v52, v49
.LBB3_42:                               ;   in Loop: Header=BB3_2 Depth=1
	s_or_b32 exec_lo, exec_lo, s6
	v_add_nc_u32_e32 v54, 1, v51
	v_add_nc_u32_e32 v55, 1, v48
	s_wait_dscnt 0x0
	v_cmp_lt_i32_e64 s6, v53, v52
	s_wait_loadcnt 0x0
	s_barrier_signal -1
	v_cndmask_b32_e64 v54, v54, v51, s5
	v_cndmask_b32_e64 v55, v48, v55, s5
	;; [unrolled: 1-line block ×3, first 2 shown]
	s_barrier_wait -1
	global_inv scope:SCOPE_SE
	v_cmp_ge_i32_e64 s7, v54, v22
	v_cmp_lt_i32_e64 s8, v55, v23
	ds_store_2addr_b32 v1, v46, v47 offset1:1
	v_lshlrev_b32_e32 v46, 2, v48
	s_wait_loadcnt_dscnt 0x0
	s_or_b32 s6, s7, s6
	s_barrier_signal -1
	s_wait_alu 0xfffe
	s_and_b32 s6, s8, s6
	s_barrier_wait -1
	s_wait_alu 0xfffe
	v_cndmask_b32_e64 v51, v52, v53, s6
	v_cndmask_b32_e64 v52, v54, v55, s6
	global_inv scope:SCOPE_SE
	v_lshlrev_b32_e32 v48, 2, v52
	ds_load_b32 v47, v46
	ds_load_b32 v48, v48
	v_cndmask_b32_e64 v46, v49, v50, s5
	s_wait_loadcnt_dscnt 0x0
	s_barrier_signal -1
	s_barrier_wait -1
	global_inv scope:SCOPE_SE
	ds_store_2addr_b32 v1, v46, v51 offset1:1
	v_mov_b32_e32 v46, v7
	s_wait_loadcnt_dscnt 0x0
	s_barrier_signal -1
	s_barrier_wait -1
	global_inv scope:SCOPE_SE
	s_and_saveexec_b32 s6, vcc_lo
	s_cbranch_execz .LBB3_46
; %bb.43:                               ;   in Loop: Header=BB3_2 Depth=1
	v_dual_mov_b32 v46, v7 :: v_dual_mov_b32 v49, v8
	s_mov_b32 s7, 0
.LBB3_44:                               ;   Parent Loop BB3_2 Depth=1
                                        ; =>  This Inner Loop Header: Depth=2
	s_delay_alu instid0(VALU_DEP_1) | instskip(NEXT) | instid1(VALU_DEP_1)
	v_sub_nc_u32_e32 v50, v49, v46
	v_lshrrev_b32_e32 v50, 1, v50
	s_delay_alu instid0(VALU_DEP_1) | instskip(NEXT) | instid1(VALU_DEP_1)
	v_add_nc_u32_e32 v50, v50, v46
	v_not_b32_e32 v51, v50
	v_lshlrev_b32_e32 v52, 2, v50
	v_add_nc_u32_e32 v53, 1, v50
	s_delay_alu instid0(VALU_DEP_3)
	v_lshl_add_u32 v51, v51, 2, v45
	ds_load_b32 v52, v52
	ds_load_b32 v51, v51
	s_wait_dscnt 0x0
	v_cmp_lt_i32_e64 s5, v51, v52
	s_wait_alu 0xf1ff
	s_delay_alu instid0(VALU_DEP_1) | instskip(SKIP_1) | instid1(VALU_DEP_1)
	v_cndmask_b32_e64 v49, v49, v50, s5
	v_cndmask_b32_e64 v46, v53, v46, s5
	v_cmp_ge_i32_e64 s5, v46, v49
	s_wait_alu 0xfffe
	s_or_b32 s7, s5, s7
	s_wait_alu 0xfffe
	s_and_not1_b32 exec_lo, exec_lo, s7
	s_cbranch_execnz .LBB3_44
; %bb.45:                               ;   in Loop: Header=BB3_2 Depth=1
	s_or_b32 exec_lo, exec_lo, s7
.LBB3_46:                               ;   in Loop: Header=BB3_2 Depth=1
	s_wait_alu 0xfffe
	s_or_b32 exec_lo, exec_lo, s6
	v_sub_nc_u32_e32 v49, v9, v46
	v_lshlrev_b32_e32 v54, 2, v46
	v_cmp_le_i32_e64 s5, 64, v46
                                        ; implicit-def: $vgpr53
                                        ; implicit-def: $vgpr52
	s_delay_alu instid0(VALU_DEP_3)
	v_lshlrev_b32_e32 v55, 2, v49
	v_cmp_gt_i32_e64 s7, 0x80, v49
	ds_load_b32 v50, v54
	ds_load_b32 v51, v55
	s_wait_dscnt 0x0
	v_cmp_lt_i32_e64 s6, v51, v50
	s_or_b32 s5, s5, s6
	s_wait_alu 0xfffe
	s_and_b32 s5, s7, s5
	s_wait_alu 0xfffe
	s_xor_b32 s6, s5, -1
	s_wait_alu 0xfffe
	s_and_saveexec_b32 s7, s6
	s_wait_alu 0xfffe
	s_xor_b32 s6, exec_lo, s7
; %bb.47:                               ;   in Loop: Header=BB3_2 Depth=1
	ds_load_b32 v53, v54 offset:4
	v_add_nc_u32_e32 v52, 1, v46
                                        ; implicit-def: $vgpr55
; %bb.48:                               ;   in Loop: Header=BB3_2 Depth=1
	s_wait_alu 0xfffe
	s_or_saveexec_b32 s6, s6
	v_mov_b32_e32 v54, v46
	v_mov_b32_e32 v56, v51
	s_wait_alu 0xfffe
	s_xor_b32 exec_lo, exec_lo, s6
	s_cbranch_execz .LBB3_1
; %bb.49:                               ;   in Loop: Header=BB3_2 Depth=1
	ds_load_b32 v56, v55 offset:4
	s_wait_dscnt 0x1
	v_dual_mov_b32 v54, v49 :: v_dual_add_nc_u32 v53, 1, v49
	s_delay_alu instid0(VALU_DEP_1)
	v_dual_mov_b32 v52, v46 :: v_dual_mov_b32 v49, v53
	v_mov_b32_e32 v53, v50
	s_branch .LBB3_1
.LBB3_50:
	s_wait_dscnt 0x1
	v_add_nc_u32_e32 v1, v47, v49
	v_lshlrev_b32_e32 v0, 2, v0
	s_wait_dscnt 0x0
	v_add_nc_u32_e32 v2, v46, v48
	s_add_nc_u64 s[0:1], s[10:11], s[12:13]
	s_clause 0x1
	global_store_b32 v0, v1, s[0:1]
	global_store_b32 v0, v2, s[0:1] offset:256
	s_endpgm
	.section	.rodata,"a",@progbits
	.p2align	6, 0x0
	.amdhsa_kernel _Z17sort_pairs_kernelIiLj64ELj2EN10test_utils4lessELj10EEvPKT_PS2_T2_
		.amdhsa_group_segment_fixed_size 516
		.amdhsa_private_segment_fixed_size 0
		.amdhsa_kernarg_size 20
		.amdhsa_user_sgpr_count 2
		.amdhsa_user_sgpr_dispatch_ptr 0
		.amdhsa_user_sgpr_queue_ptr 0
		.amdhsa_user_sgpr_kernarg_segment_ptr 1
		.amdhsa_user_sgpr_dispatch_id 0
		.amdhsa_user_sgpr_private_segment_size 0
		.amdhsa_wavefront_size32 1
		.amdhsa_uses_dynamic_stack 0
		.amdhsa_enable_private_segment 0
		.amdhsa_system_sgpr_workgroup_id_x 1
		.amdhsa_system_sgpr_workgroup_id_y 0
		.amdhsa_system_sgpr_workgroup_id_z 0
		.amdhsa_system_sgpr_workgroup_info 0
		.amdhsa_system_vgpr_workitem_id 0
		.amdhsa_next_free_vgpr 57
		.amdhsa_next_free_sgpr 16
		.amdhsa_reserve_vcc 1
		.amdhsa_float_round_mode_32 0
		.amdhsa_float_round_mode_16_64 0
		.amdhsa_float_denorm_mode_32 3
		.amdhsa_float_denorm_mode_16_64 3
		.amdhsa_fp16_overflow 0
		.amdhsa_workgroup_processor_mode 1
		.amdhsa_memory_ordered 1
		.amdhsa_forward_progress 1
		.amdhsa_inst_pref_size 32
		.amdhsa_round_robin_scheduling 0
		.amdhsa_exception_fp_ieee_invalid_op 0
		.amdhsa_exception_fp_denorm_src 0
		.amdhsa_exception_fp_ieee_div_zero 0
		.amdhsa_exception_fp_ieee_overflow 0
		.amdhsa_exception_fp_ieee_underflow 0
		.amdhsa_exception_fp_ieee_inexact 0
		.amdhsa_exception_int_div_zero 0
	.end_amdhsa_kernel
	.section	.text._Z17sort_pairs_kernelIiLj64ELj2EN10test_utils4lessELj10EEvPKT_PS2_T2_,"axG",@progbits,_Z17sort_pairs_kernelIiLj64ELj2EN10test_utils4lessELj10EEvPKT_PS2_T2_,comdat
.Lfunc_end3:
	.size	_Z17sort_pairs_kernelIiLj64ELj2EN10test_utils4lessELj10EEvPKT_PS2_T2_, .Lfunc_end3-_Z17sort_pairs_kernelIiLj64ELj2EN10test_utils4lessELj10EEvPKT_PS2_T2_
                                        ; -- End function
	.set _Z17sort_pairs_kernelIiLj64ELj2EN10test_utils4lessELj10EEvPKT_PS2_T2_.num_vgpr, 57
	.set _Z17sort_pairs_kernelIiLj64ELj2EN10test_utils4lessELj10EEvPKT_PS2_T2_.num_agpr, 0
	.set _Z17sort_pairs_kernelIiLj64ELj2EN10test_utils4lessELj10EEvPKT_PS2_T2_.numbered_sgpr, 16
	.set _Z17sort_pairs_kernelIiLj64ELj2EN10test_utils4lessELj10EEvPKT_PS2_T2_.num_named_barrier, 0
	.set _Z17sort_pairs_kernelIiLj64ELj2EN10test_utils4lessELj10EEvPKT_PS2_T2_.private_seg_size, 0
	.set _Z17sort_pairs_kernelIiLj64ELj2EN10test_utils4lessELj10EEvPKT_PS2_T2_.uses_vcc, 1
	.set _Z17sort_pairs_kernelIiLj64ELj2EN10test_utils4lessELj10EEvPKT_PS2_T2_.uses_flat_scratch, 0
	.set _Z17sort_pairs_kernelIiLj64ELj2EN10test_utils4lessELj10EEvPKT_PS2_T2_.has_dyn_sized_stack, 0
	.set _Z17sort_pairs_kernelIiLj64ELj2EN10test_utils4lessELj10EEvPKT_PS2_T2_.has_recursion, 0
	.set _Z17sort_pairs_kernelIiLj64ELj2EN10test_utils4lessELj10EEvPKT_PS2_T2_.has_indirect_call, 0
	.section	.AMDGPU.csdata,"",@progbits
; Kernel info:
; codeLenInByte = 3980
; TotalNumSgprs: 18
; NumVgprs: 57
; ScratchSize: 0
; MemoryBound: 0
; FloatMode: 240
; IeeeMode: 1
; LDSByteSize: 516 bytes/workgroup (compile time only)
; SGPRBlocks: 0
; VGPRBlocks: 7
; NumSGPRsForWavesPerEU: 18
; NumVGPRsForWavesPerEU: 57
; Occupancy: 16
; WaveLimiterHint : 1
; COMPUTE_PGM_RSRC2:SCRATCH_EN: 0
; COMPUTE_PGM_RSRC2:USER_SGPR: 2
; COMPUTE_PGM_RSRC2:TRAP_HANDLER: 0
; COMPUTE_PGM_RSRC2:TGID_X_EN: 1
; COMPUTE_PGM_RSRC2:TGID_Y_EN: 0
; COMPUTE_PGM_RSRC2:TGID_Z_EN: 0
; COMPUTE_PGM_RSRC2:TIDIG_COMP_CNT: 0
	.section	.text._Z16sort_keys_kernelIiLj64ELj3EN10test_utils4lessELj10EEvPKT_PS2_T2_,"axG",@progbits,_Z16sort_keys_kernelIiLj64ELj3EN10test_utils4lessELj10EEvPKT_PS2_T2_,comdat
	.protected	_Z16sort_keys_kernelIiLj64ELj3EN10test_utils4lessELj10EEvPKT_PS2_T2_ ; -- Begin function _Z16sort_keys_kernelIiLj64ELj3EN10test_utils4lessELj10EEvPKT_PS2_T2_
	.globl	_Z16sort_keys_kernelIiLj64ELj3EN10test_utils4lessELj10EEvPKT_PS2_T2_
	.p2align	8
	.type	_Z16sort_keys_kernelIiLj64ELj3EN10test_utils4lessELj10EEvPKT_PS2_T2_,@function
_Z16sort_keys_kernelIiLj64ELj3EN10test_utils4lessELj10EEvPKT_PS2_T2_: ; @_Z16sort_keys_kernelIiLj64ELj3EN10test_utils4lessELj10EEvPKT_PS2_T2_
; %bb.0:
	s_load_b128 s[8:11], s[0:1], 0x0
	s_mul_i32 s12, ttmp9, 0xc0
	s_mov_b32 s13, 0
	v_lshlrev_b32_e32 v1, 2, v0
	s_lshl_b64 s[14:15], s[12:13], 2
	v_and_b32_e32 v7, 60, v0
	v_and_b32_e32 v8, 56, v0
	;; [unrolled: 1-line block ×5, first 2 shown]
	v_mul_u32_u24_e32 v11, 3, v7
	v_mul_u32_u24_e32 v14, 3, v8
	;; [unrolled: 1-line block ×4, first 2 shown]
	v_and_b32_e32 v50, 3, v0
	v_min_u32_e32 v49, 0xba, v11
	v_min_u32_e32 v10, 0xb4, v11
	;; [unrolled: 1-line block ×5, first 2 shown]
	s_wait_kmcnt 0x0
	s_add_nc_u64 s[0:1], s[8:9], s[14:15]
	v_min_u32_e32 v24, 0x90, v25
	s_clause 0x2
	global_load_b32 v53, v1, s[0:1]
	global_load_b32 v54, v1, s[0:1] offset:256
	global_load_b32 v52, v1, s[0:1] offset:512
	v_and_b32_e32 v1, 62, v0
	v_min_u32_e32 v58, 0x90, v28
	v_min_u32_e32 v27, 0x60, v28
	v_add_nc_u32_e32 v9, 6, v49
	v_add_nc_u32_e32 v10, 12, v10
	v_mul_u32_u24_e32 v3, 3, v1
	v_and_b32_e32 v55, 7, v0
	v_add_nc_u32_e32 v12, 12, v51
	v_add_nc_u32_e32 v13, 24, v13
	v_and_b32_e32 v57, 15, v0
	v_min_u32_e32 v47, 0xbd, v3
	v_min_u32_e32 v2, 0xba, v3
	v_add_nc_u32_e32 v23, 24, v56
	v_add_nc_u32_e32 v24, 48, v24
	v_and_b32_e32 v59, 31, v0
	v_add_nc_u32_e32 v26, 48, v58
	v_add_nc_u32_e32 v27, 0x60, v27
	;; [unrolled: 1-line block ×4, first 2 shown]
	v_cmp_eq_u32_e32 vcc_lo, 1, v4
	v_mul_u32_u24_e32 v41, 3, v50
	v_min_u32_e32 v11, 0xc0, v11
	v_sub_nc_u32_e32 v15, v10, v9
	v_mul_u32_u24_e32 v42, 3, v55
	v_min_u32_e32 v14, 0xc0, v14
	v_sub_nc_u32_e32 v18, v13, v12
	;; [unrolled: 3-line block ×4, first 2 shown]
	v_cndmask_b32_e64 v48, 0, 3, vcc_lo
	v_sub_nc_u32_e32 v4, v2, v1
	v_min_u32_e32 v3, 0xc0, v3
	v_sub_nc_u32_e32 v16, v9, v11
	v_sub_nc_u32_e32 v17, v41, v15
	v_cmp_ge_i32_e64 s0, v41, v15
	v_sub_nc_u32_e32 v19, v42, v18
	v_sub_nc_u32_e32 v20, v12, v14
	v_cmp_ge_i32_e64 s1, v42, v18
	;; [unrolled: 3-line block ×3, first 2 shown]
	v_sub_nc_u32_e32 v34, v44, v33
	v_sub_nc_u32_e32 v35, v26, v28
	v_mul_u32_u24_e32 v32, 3, v0
	v_cmp_ge_i32_e64 s3, v44, v33
	v_sub_nc_u32_e32 v5, v48, v4
	v_sub_nc_u32_e32 v6, v1, v3
	v_cmp_ge_i32_e32 vcc_lo, v48, v4
	v_cndmask_b32_e64 v15, 0, v17, s0
	v_min_i32_e32 v16, v41, v16
	v_cndmask_b32_e64 v18, 0, v19, s1
	v_min_i32_e32 v19, v42, v20
	;; [unrolled: 2-line block ×4, first 2 shown]
	v_subrev_nc_u32_e64 v35, 0x60, v32 clamp
	v_min_i32_e32 v36, 0x60, v32
	v_lshlrev_b32_e32 v45, 2, v48
	v_lshlrev_b32_e32 v46, 2, v41
	;; [unrolled: 1-line block ×5, first 2 shown]
	s_wait_alu 0xfffd
	v_cndmask_b32_e32 v4, 0, v5, vcc_lo
	v_min_i32_e32 v5, v48, v6
	v_mul_u32_u24_e32 v6, 12, v0
	v_lshlrev_b32_e32 v7, 2, v3
	v_add_nc_u32_e32 v8, v1, v48
	v_lshlrev_b32_e32 v17, 2, v11
	v_cmp_lt_i32_e64 s0, v15, v16
	v_mad_u32_u24 v20, v50, 3, v9
	v_lshlrev_b32_e32 v21, 2, v14
	v_cmp_lt_i32_e64 s1, v18, v19
	v_mad_u32_u24 v22, v55, 3, v12
	;; [unrolled: 3-line block ×4, first 2 shown]
	v_cmp_lt_i32_e64 s4, v35, v36
	v_mad_u32_u24 v40, v0, 3, 0x60
	v_lshl_add_u32 v41, v47, 2, v45
	v_lshl_add_u32 v42, v49, 2, v46
	;; [unrolled: 1-line block ×5, first 2 shown]
	v_lshlrev_b32_e32 v46, 2, v32
	v_add_nc_u32_e32 v47, v47, v48
	v_mad_u32_u24 v48, v50, 3, v49
	v_mad_u32_u24 v49, v55, 3, v51
	;; [unrolled: 1-line block ×4, first 2 shown]
	v_cmp_lt_i32_e32 vcc_lo, v4, v5
	s_branch .LBB4_2
.LBB4_1:                                ;   in Loop: Header=BB4_2 Depth=1
	s_or_b32 exec_lo, exec_lo, s7
	v_cmp_le_i32_e64 s7, 0x60, v59
	s_wait_dscnt 0x0
	v_cmp_lt_i32_e64 s8, v60, v57
	v_cmp_gt_i32_e64 s9, 0xc0, v54
	v_cndmask_b32_e64 v53, v52, v53, s5
	v_cndmask_b32_e64 v54, v55, v56, s6
	s_add_co_i32 s13, s13, 1
	s_or_b32 s5, s7, s8
	s_wait_alu 0xfffe
	s_and_b32 s5, s9, s5
	s_cmp_eq_u32 s13, 10
	s_wait_alu 0xfffe
	v_cndmask_b32_e64 v52, v57, v60, s5
	s_cbranch_scc1 .LBB4_74
.LBB4_2:                                ; =>This Loop Header: Depth=1
                                        ;     Child Loop BB4_4 Depth 2
                                        ;     Child Loop BB4_16 Depth 2
	;; [unrolled: 1-line block ×6, first 2 shown]
	s_wait_loadcnt 0x1
	v_cmp_lt_i32_e64 s5, v54, v53
	v_max_i32_e32 v55, v54, v53
	v_min_i32_e32 v57, v54, v53
	s_wait_loadcnt 0x0
	s_barrier_signal -1
	s_wait_alu 0xf1ff
	v_cndmask_b32_e64 v56, v53, v54, s5
	v_cndmask_b32_e64 v53, v54, v53, s5
	v_cmp_lt_i32_e64 s5, v52, v55
	v_min_i32_e32 v54, v52, v55
	v_cmp_lt_i32_e64 s6, v52, v57
	s_barrier_wait -1
	global_inv scope:SCOPE_SE
	s_wait_alu 0xf1ff
	v_cndmask_b32_e64 v58, v52, v55, s5
	v_cndmask_b32_e64 v52, v53, v52, s5
	v_cndmask_b32_e64 v53, v56, v54, s6
	v_mov_b32_e32 v54, v4
	s_delay_alu instid0(VALU_DEP_3)
	v_cndmask_b32_e64 v52, v52, v57, s6
	ds_store_2addr_b32 v6, v53, v52 offset1:1
	ds_store_b32 v6, v58 offset:8
	s_wait_loadcnt_dscnt 0x0
	s_barrier_signal -1
	s_barrier_wait -1
	global_inv scope:SCOPE_SE
	s_and_saveexec_b32 s6, vcc_lo
	s_cbranch_execz .LBB4_6
; %bb.3:                                ;   in Loop: Header=BB4_2 Depth=1
	v_mov_b32_e32 v54, v4
	v_mov_b32_e32 v52, v5
	s_mov_b32 s7, 0
.LBB4_4:                                ;   Parent Loop BB4_2 Depth=1
                                        ; =>  This Inner Loop Header: Depth=2
	s_delay_alu instid0(VALU_DEP_1) | instskip(NEXT) | instid1(VALU_DEP_1)
	v_sub_nc_u32_e32 v53, v52, v54
	v_lshrrev_b32_e32 v53, 1, v53
	s_delay_alu instid0(VALU_DEP_1) | instskip(NEXT) | instid1(VALU_DEP_1)
	v_add_nc_u32_e32 v53, v53, v54
	v_not_b32_e32 v55, v53
	v_lshl_add_u32 v56, v53, 2, v7
	v_add_nc_u32_e32 v57, 1, v53
	s_delay_alu instid0(VALU_DEP_3)
	v_lshl_add_u32 v55, v55, 2, v41
	ds_load_b32 v56, v56
	ds_load_b32 v55, v55 offset:12
	s_wait_dscnt 0x0
	v_cmp_lt_i32_e64 s5, v55, v56
	s_wait_alu 0xf1ff
	s_delay_alu instid0(VALU_DEP_1) | instskip(SKIP_1) | instid1(VALU_DEP_1)
	v_cndmask_b32_e64 v52, v52, v53, s5
	v_cndmask_b32_e64 v54, v57, v54, s5
	v_cmp_ge_i32_e64 s5, v54, v52
	s_wait_alu 0xfffe
	s_or_b32 s7, s5, s7
	s_wait_alu 0xfffe
	s_and_not1_b32 exec_lo, exec_lo, s7
	s_cbranch_execnz .LBB4_4
; %bb.5:                                ;   in Loop: Header=BB4_2 Depth=1
	s_or_b32 exec_lo, exec_lo, s7
.LBB4_6:                                ;   in Loop: Header=BB4_2 Depth=1
	s_wait_alu 0xfffe
	s_or_b32 exec_lo, exec_lo, s6
	v_sub_nc_u32_e32 v52, v47, v54
	v_lshl_add_u32 v55, v54, 2, v7
	v_add_nc_u32_e32 v56, v54, v3
	v_sub_nc_u32_e32 v57, v8, v54
                                        ; implicit-def: $vgpr54
	s_delay_alu instid0(VALU_DEP_4)
	v_lshlrev_b32_e32 v58, 2, v52
	ds_load_b32 v52, v55
	ds_load_b32 v53, v58 offset:12
	v_cmp_le_i32_e64 s5, v1, v56
	v_cmp_gt_i32_e64 s7, v2, v57
	s_wait_dscnt 0x0
	v_cmp_lt_i32_e64 s6, v53, v52
	s_or_b32 s5, s5, s6
	s_wait_alu 0xfffe
	s_and_b32 s5, s7, s5
	s_wait_alu 0xfffe
	s_xor_b32 s6, s5, -1
	s_wait_alu 0xfffe
	s_and_saveexec_b32 s7, s6
	s_wait_alu 0xfffe
	s_xor_b32 s6, exec_lo, s7
; %bb.7:                                ;   in Loop: Header=BB4_2 Depth=1
	ds_load_b32 v54, v55 offset:4
                                        ; implicit-def: $vgpr58
; %bb.8:                                ;   in Loop: Header=BB4_2 Depth=1
	s_wait_alu 0xfffe
	s_or_saveexec_b32 s6, s6
	v_mov_b32_e32 v55, v53
	s_wait_alu 0xfffe
	s_xor_b32 exec_lo, exec_lo, s6
	s_cbranch_execz .LBB4_10
; %bb.9:                                ;   in Loop: Header=BB4_2 Depth=1
	ds_load_b32 v55, v58 offset:16
	s_wait_dscnt 0x1
	v_mov_b32_e32 v54, v52
.LBB4_10:                               ;   in Loop: Header=BB4_2 Depth=1
	s_or_b32 exec_lo, exec_lo, s6
	v_add_nc_u32_e32 v58, 1, v56
	v_add_nc_u32_e32 v59, 1, v57
	s_wait_dscnt 0x0
	v_cmp_lt_i32_e64 s7, v55, v54
	s_delay_alu instid0(VALU_DEP_3) | instskip(NEXT) | instid1(VALU_DEP_3)
	v_cndmask_b32_e64 v58, v58, v56, s5
	v_cndmask_b32_e64 v57, v57, v59, s5
                                        ; implicit-def: $vgpr56
	s_delay_alu instid0(VALU_DEP_2) | instskip(NEXT) | instid1(VALU_DEP_2)
	v_cmp_ge_i32_e64 s6, v58, v1
	v_cmp_lt_i32_e64 s8, v57, v2
	s_or_b32 s6, s6, s7
	s_wait_alu 0xfffe
	s_and_b32 s6, s8, s6
	s_wait_alu 0xfffe
	s_xor_b32 s7, s6, -1
	s_wait_alu 0xfffe
	s_and_saveexec_b32 s8, s7
	s_delay_alu instid0(SALU_CYCLE_1)
	s_xor_b32 s7, exec_lo, s8
; %bb.11:                               ;   in Loop: Header=BB4_2 Depth=1
	v_lshlrev_b32_e32 v56, 2, v58
	ds_load_b32 v56, v56 offset:4
; %bb.12:                               ;   in Loop: Header=BB4_2 Depth=1
	s_wait_alu 0xfffe
	s_or_saveexec_b32 s7, s7
	v_mov_b32_e32 v59, v55
	s_wait_alu 0xfffe
	s_xor_b32 exec_lo, exec_lo, s7
	s_cbranch_execz .LBB4_14
; %bb.13:                               ;   in Loop: Header=BB4_2 Depth=1
	s_wait_dscnt 0x0
	v_lshlrev_b32_e32 v56, 2, v57
	ds_load_b32 v59, v56 offset:4
	v_mov_b32_e32 v56, v54
.LBB4_14:                               ;   in Loop: Header=BB4_2 Depth=1
	s_or_b32 exec_lo, exec_lo, s7
	v_add_nc_u32_e32 v60, 1, v58
	v_add_nc_u32_e32 v61, 1, v57
	v_cndmask_b32_e64 v55, v54, v55, s6
	v_mov_b32_e32 v54, v15
	s_wait_dscnt 0x0
	v_cmp_lt_i32_e64 s7, v59, v56
	v_cndmask_b32_e64 v58, v60, v58, s6
	v_cndmask_b32_e64 v57, v57, v61, s6
	;; [unrolled: 1-line block ×3, first 2 shown]
	s_wait_loadcnt 0x0
	s_barrier_signal -1
	v_cmp_ge_i32_e64 s8, v58, v1
	v_cmp_lt_i32_e64 s6, v57, v2
	s_barrier_wait -1
	global_inv scope:SCOPE_SE
	s_or_b32 s5, s8, s7
	s_wait_alu 0xfffe
	s_and_b32 s5, s6, s5
	s_wait_alu 0xfffe
	v_cndmask_b32_e64 v53, v56, v59, s5
	ds_store_2addr_b32 v6, v52, v55 offset1:1
	ds_store_b32 v6, v53 offset:8
	s_wait_loadcnt_dscnt 0x0
	s_barrier_signal -1
	s_barrier_wait -1
	global_inv scope:SCOPE_SE
	s_and_saveexec_b32 s6, s0
	s_cbranch_execz .LBB4_18
; %bb.15:                               ;   in Loop: Header=BB4_2 Depth=1
	v_mov_b32_e32 v54, v15
	v_mov_b32_e32 v52, v16
	s_mov_b32 s7, 0
.LBB4_16:                               ;   Parent Loop BB4_2 Depth=1
                                        ; =>  This Inner Loop Header: Depth=2
	s_delay_alu instid0(VALU_DEP_1) | instskip(NEXT) | instid1(VALU_DEP_1)
	v_sub_nc_u32_e32 v53, v52, v54
	v_lshrrev_b32_e32 v53, 1, v53
	s_delay_alu instid0(VALU_DEP_1) | instskip(NEXT) | instid1(VALU_DEP_1)
	v_add_nc_u32_e32 v53, v53, v54
	v_not_b32_e32 v55, v53
	v_lshl_add_u32 v56, v53, 2, v17
	v_add_nc_u32_e32 v57, 1, v53
	s_delay_alu instid0(VALU_DEP_3)
	v_lshl_add_u32 v55, v55, 2, v42
	ds_load_b32 v56, v56
	ds_load_b32 v55, v55 offset:24
	s_wait_dscnt 0x0
	v_cmp_lt_i32_e64 s5, v55, v56
	s_wait_alu 0xf1ff
	s_delay_alu instid0(VALU_DEP_1) | instskip(SKIP_1) | instid1(VALU_DEP_1)
	v_cndmask_b32_e64 v52, v52, v53, s5
	v_cndmask_b32_e64 v54, v57, v54, s5
	v_cmp_ge_i32_e64 s5, v54, v52
	s_wait_alu 0xfffe
	s_or_b32 s7, s5, s7
	s_wait_alu 0xfffe
	s_and_not1_b32 exec_lo, exec_lo, s7
	s_cbranch_execnz .LBB4_16
; %bb.17:                               ;   in Loop: Header=BB4_2 Depth=1
	s_or_b32 exec_lo, exec_lo, s7
.LBB4_18:                               ;   in Loop: Header=BB4_2 Depth=1
	s_wait_alu 0xfffe
	s_or_b32 exec_lo, exec_lo, s6
	v_sub_nc_u32_e32 v52, v48, v54
	v_lshl_add_u32 v55, v54, 2, v17
	v_add_nc_u32_e32 v56, v54, v11
	v_sub_nc_u32_e32 v57, v20, v54
                                        ; implicit-def: $vgpr54
	s_delay_alu instid0(VALU_DEP_4)
	v_lshlrev_b32_e32 v58, 2, v52
	ds_load_b32 v52, v55
	ds_load_b32 v53, v58 offset:24
	v_cmp_le_i32_e64 s5, v9, v56
	v_cmp_gt_i32_e64 s7, v10, v57
	s_wait_dscnt 0x0
	v_cmp_lt_i32_e64 s6, v53, v52
	s_or_b32 s5, s5, s6
	s_wait_alu 0xfffe
	s_and_b32 s5, s7, s5
	s_wait_alu 0xfffe
	s_xor_b32 s6, s5, -1
	s_wait_alu 0xfffe
	s_and_saveexec_b32 s7, s6
	s_wait_alu 0xfffe
	s_xor_b32 s6, exec_lo, s7
; %bb.19:                               ;   in Loop: Header=BB4_2 Depth=1
	ds_load_b32 v54, v55 offset:4
                                        ; implicit-def: $vgpr58
; %bb.20:                               ;   in Loop: Header=BB4_2 Depth=1
	s_wait_alu 0xfffe
	s_or_saveexec_b32 s6, s6
	v_mov_b32_e32 v55, v53
	s_wait_alu 0xfffe
	s_xor_b32 exec_lo, exec_lo, s6
	s_cbranch_execz .LBB4_22
; %bb.21:                               ;   in Loop: Header=BB4_2 Depth=1
	ds_load_b32 v55, v58 offset:28
	s_wait_dscnt 0x1
	v_mov_b32_e32 v54, v52
.LBB4_22:                               ;   in Loop: Header=BB4_2 Depth=1
	s_or_b32 exec_lo, exec_lo, s6
	v_add_nc_u32_e32 v58, 1, v56
	v_add_nc_u32_e32 v59, 1, v57
	s_wait_dscnt 0x0
	v_cmp_lt_i32_e64 s7, v55, v54
	s_delay_alu instid0(VALU_DEP_3) | instskip(NEXT) | instid1(VALU_DEP_3)
	v_cndmask_b32_e64 v58, v58, v56, s5
	v_cndmask_b32_e64 v57, v57, v59, s5
                                        ; implicit-def: $vgpr56
	s_delay_alu instid0(VALU_DEP_2) | instskip(NEXT) | instid1(VALU_DEP_2)
	v_cmp_ge_i32_e64 s6, v58, v9
	v_cmp_lt_i32_e64 s8, v57, v10
	s_or_b32 s6, s6, s7
	s_wait_alu 0xfffe
	s_and_b32 s6, s8, s6
	s_wait_alu 0xfffe
	s_xor_b32 s7, s6, -1
	s_wait_alu 0xfffe
	s_and_saveexec_b32 s8, s7
	s_delay_alu instid0(SALU_CYCLE_1)
	s_xor_b32 s7, exec_lo, s8
; %bb.23:                               ;   in Loop: Header=BB4_2 Depth=1
	v_lshlrev_b32_e32 v56, 2, v58
	ds_load_b32 v56, v56 offset:4
; %bb.24:                               ;   in Loop: Header=BB4_2 Depth=1
	s_wait_alu 0xfffe
	s_or_saveexec_b32 s7, s7
	v_mov_b32_e32 v59, v55
	s_wait_alu 0xfffe
	s_xor_b32 exec_lo, exec_lo, s7
	s_cbranch_execz .LBB4_26
; %bb.25:                               ;   in Loop: Header=BB4_2 Depth=1
	s_wait_dscnt 0x0
	v_lshlrev_b32_e32 v56, 2, v57
	ds_load_b32 v59, v56 offset:4
	v_mov_b32_e32 v56, v54
.LBB4_26:                               ;   in Loop: Header=BB4_2 Depth=1
	s_or_b32 exec_lo, exec_lo, s7
	v_add_nc_u32_e32 v60, 1, v58
	v_add_nc_u32_e32 v61, 1, v57
	v_cndmask_b32_e64 v55, v54, v55, s6
	v_mov_b32_e32 v54, v18
	s_wait_dscnt 0x0
	v_cmp_lt_i32_e64 s7, v59, v56
	v_cndmask_b32_e64 v58, v60, v58, s6
	v_cndmask_b32_e64 v57, v57, v61, s6
	;; [unrolled: 1-line block ×3, first 2 shown]
	s_wait_loadcnt 0x0
	s_barrier_signal -1
	v_cmp_ge_i32_e64 s8, v58, v9
	v_cmp_lt_i32_e64 s6, v57, v10
	s_barrier_wait -1
	global_inv scope:SCOPE_SE
	s_or_b32 s5, s8, s7
	s_wait_alu 0xfffe
	s_and_b32 s5, s6, s5
	s_wait_alu 0xfffe
	v_cndmask_b32_e64 v53, v56, v59, s5
	ds_store_2addr_b32 v6, v52, v55 offset1:1
	ds_store_b32 v6, v53 offset:8
	s_wait_loadcnt_dscnt 0x0
	s_barrier_signal -1
	s_barrier_wait -1
	global_inv scope:SCOPE_SE
	s_and_saveexec_b32 s6, s1
	s_cbranch_execz .LBB4_30
; %bb.27:                               ;   in Loop: Header=BB4_2 Depth=1
	v_mov_b32_e32 v54, v18
	v_mov_b32_e32 v52, v19
	s_mov_b32 s7, 0
.LBB4_28:                               ;   Parent Loop BB4_2 Depth=1
                                        ; =>  This Inner Loop Header: Depth=2
	s_delay_alu instid0(VALU_DEP_1) | instskip(NEXT) | instid1(VALU_DEP_1)
	v_sub_nc_u32_e32 v53, v52, v54
	v_lshrrev_b32_e32 v53, 1, v53
	s_delay_alu instid0(VALU_DEP_1) | instskip(NEXT) | instid1(VALU_DEP_1)
	v_add_nc_u32_e32 v53, v53, v54
	v_not_b32_e32 v55, v53
	v_lshl_add_u32 v56, v53, 2, v21
	v_add_nc_u32_e32 v57, 1, v53
	s_delay_alu instid0(VALU_DEP_3)
	v_lshl_add_u32 v55, v55, 2, v43
	ds_load_b32 v56, v56
	ds_load_b32 v55, v55 offset:48
	s_wait_dscnt 0x0
	v_cmp_lt_i32_e64 s5, v55, v56
	s_wait_alu 0xf1ff
	s_delay_alu instid0(VALU_DEP_1) | instskip(SKIP_1) | instid1(VALU_DEP_1)
	v_cndmask_b32_e64 v52, v52, v53, s5
	v_cndmask_b32_e64 v54, v57, v54, s5
	v_cmp_ge_i32_e64 s5, v54, v52
	s_wait_alu 0xfffe
	s_or_b32 s7, s5, s7
	s_wait_alu 0xfffe
	s_and_not1_b32 exec_lo, exec_lo, s7
	s_cbranch_execnz .LBB4_28
; %bb.29:                               ;   in Loop: Header=BB4_2 Depth=1
	s_or_b32 exec_lo, exec_lo, s7
.LBB4_30:                               ;   in Loop: Header=BB4_2 Depth=1
	s_wait_alu 0xfffe
	s_or_b32 exec_lo, exec_lo, s6
	v_sub_nc_u32_e32 v52, v49, v54
	v_lshl_add_u32 v55, v54, 2, v21
	v_add_nc_u32_e32 v56, v54, v14
	v_sub_nc_u32_e32 v57, v22, v54
                                        ; implicit-def: $vgpr54
	s_delay_alu instid0(VALU_DEP_4)
	v_lshlrev_b32_e32 v58, 2, v52
	ds_load_b32 v52, v55
	ds_load_b32 v53, v58 offset:48
	v_cmp_le_i32_e64 s5, v12, v56
	v_cmp_gt_i32_e64 s7, v13, v57
	s_wait_dscnt 0x0
	v_cmp_lt_i32_e64 s6, v53, v52
	s_or_b32 s5, s5, s6
	s_wait_alu 0xfffe
	s_and_b32 s5, s7, s5
	s_wait_alu 0xfffe
	s_xor_b32 s6, s5, -1
	s_wait_alu 0xfffe
	s_and_saveexec_b32 s7, s6
	s_wait_alu 0xfffe
	s_xor_b32 s6, exec_lo, s7
; %bb.31:                               ;   in Loop: Header=BB4_2 Depth=1
	ds_load_b32 v54, v55 offset:4
                                        ; implicit-def: $vgpr58
; %bb.32:                               ;   in Loop: Header=BB4_2 Depth=1
	s_wait_alu 0xfffe
	s_or_saveexec_b32 s6, s6
	v_mov_b32_e32 v55, v53
	s_wait_alu 0xfffe
	s_xor_b32 exec_lo, exec_lo, s6
	s_cbranch_execz .LBB4_34
; %bb.33:                               ;   in Loop: Header=BB4_2 Depth=1
	ds_load_b32 v55, v58 offset:52
	s_wait_dscnt 0x1
	v_mov_b32_e32 v54, v52
.LBB4_34:                               ;   in Loop: Header=BB4_2 Depth=1
	s_or_b32 exec_lo, exec_lo, s6
	v_add_nc_u32_e32 v58, 1, v56
	v_add_nc_u32_e32 v59, 1, v57
	s_wait_dscnt 0x0
	v_cmp_lt_i32_e64 s7, v55, v54
	s_delay_alu instid0(VALU_DEP_3) | instskip(NEXT) | instid1(VALU_DEP_3)
	v_cndmask_b32_e64 v58, v58, v56, s5
	v_cndmask_b32_e64 v57, v57, v59, s5
                                        ; implicit-def: $vgpr56
	s_delay_alu instid0(VALU_DEP_2) | instskip(NEXT) | instid1(VALU_DEP_2)
	v_cmp_ge_i32_e64 s6, v58, v12
	v_cmp_lt_i32_e64 s8, v57, v13
	s_or_b32 s6, s6, s7
	s_wait_alu 0xfffe
	s_and_b32 s6, s8, s6
	s_wait_alu 0xfffe
	s_xor_b32 s7, s6, -1
	s_wait_alu 0xfffe
	s_and_saveexec_b32 s8, s7
	s_delay_alu instid0(SALU_CYCLE_1)
	s_xor_b32 s7, exec_lo, s8
; %bb.35:                               ;   in Loop: Header=BB4_2 Depth=1
	v_lshlrev_b32_e32 v56, 2, v58
	ds_load_b32 v56, v56 offset:4
; %bb.36:                               ;   in Loop: Header=BB4_2 Depth=1
	s_wait_alu 0xfffe
	s_or_saveexec_b32 s7, s7
	v_mov_b32_e32 v59, v55
	s_wait_alu 0xfffe
	s_xor_b32 exec_lo, exec_lo, s7
	s_cbranch_execz .LBB4_38
; %bb.37:                               ;   in Loop: Header=BB4_2 Depth=1
	s_wait_dscnt 0x0
	v_lshlrev_b32_e32 v56, 2, v57
	ds_load_b32 v59, v56 offset:4
	v_mov_b32_e32 v56, v54
.LBB4_38:                               ;   in Loop: Header=BB4_2 Depth=1
	s_or_b32 exec_lo, exec_lo, s7
	v_add_nc_u32_e32 v60, 1, v58
	v_add_nc_u32_e32 v61, 1, v57
	v_cndmask_b32_e64 v55, v54, v55, s6
	v_mov_b32_e32 v54, v29
	s_wait_dscnt 0x0
	v_cmp_lt_i32_e64 s7, v59, v56
	v_cndmask_b32_e64 v58, v60, v58, s6
	v_cndmask_b32_e64 v57, v57, v61, s6
	;; [unrolled: 1-line block ×3, first 2 shown]
	s_wait_loadcnt 0x0
	s_barrier_signal -1
	v_cmp_ge_i32_e64 s8, v58, v12
	v_cmp_lt_i32_e64 s6, v57, v13
	s_barrier_wait -1
	global_inv scope:SCOPE_SE
	s_or_b32 s5, s8, s7
	s_wait_alu 0xfffe
	s_and_b32 s5, s6, s5
	s_wait_alu 0xfffe
	v_cndmask_b32_e64 v53, v56, v59, s5
	ds_store_2addr_b32 v6, v52, v55 offset1:1
	ds_store_b32 v6, v53 offset:8
	s_wait_loadcnt_dscnt 0x0
	s_barrier_signal -1
	s_barrier_wait -1
	global_inv scope:SCOPE_SE
	s_and_saveexec_b32 s6, s2
	s_cbranch_execz .LBB4_42
; %bb.39:                               ;   in Loop: Header=BB4_2 Depth=1
	v_mov_b32_e32 v54, v29
	v_mov_b32_e32 v52, v30
	s_mov_b32 s7, 0
.LBB4_40:                               ;   Parent Loop BB4_2 Depth=1
                                        ; =>  This Inner Loop Header: Depth=2
	s_delay_alu instid0(VALU_DEP_1) | instskip(NEXT) | instid1(VALU_DEP_1)
	v_sub_nc_u32_e32 v53, v52, v54
	v_lshrrev_b32_e32 v53, 1, v53
	s_delay_alu instid0(VALU_DEP_1) | instskip(NEXT) | instid1(VALU_DEP_1)
	v_add_nc_u32_e32 v53, v53, v54
	v_not_b32_e32 v55, v53
	v_lshl_add_u32 v56, v53, 2, v31
	v_add_nc_u32_e32 v57, 1, v53
	s_delay_alu instid0(VALU_DEP_3)
	v_lshl_add_u32 v55, v55, 2, v44
	ds_load_b32 v56, v56
	ds_load_b32 v55, v55 offset:96
	s_wait_dscnt 0x0
	v_cmp_lt_i32_e64 s5, v55, v56
	s_wait_alu 0xf1ff
	s_delay_alu instid0(VALU_DEP_1) | instskip(SKIP_1) | instid1(VALU_DEP_1)
	v_cndmask_b32_e64 v52, v52, v53, s5
	v_cndmask_b32_e64 v54, v57, v54, s5
	v_cmp_ge_i32_e64 s5, v54, v52
	s_wait_alu 0xfffe
	s_or_b32 s7, s5, s7
	s_wait_alu 0xfffe
	s_and_not1_b32 exec_lo, exec_lo, s7
	s_cbranch_execnz .LBB4_40
; %bb.41:                               ;   in Loop: Header=BB4_2 Depth=1
	s_or_b32 exec_lo, exec_lo, s7
.LBB4_42:                               ;   in Loop: Header=BB4_2 Depth=1
	s_wait_alu 0xfffe
	s_or_b32 exec_lo, exec_lo, s6
	v_sub_nc_u32_e32 v52, v50, v54
	v_lshl_add_u32 v55, v54, 2, v31
	v_add_nc_u32_e32 v56, v54, v25
	v_sub_nc_u32_e32 v57, v37, v54
                                        ; implicit-def: $vgpr54
	s_delay_alu instid0(VALU_DEP_4)
	v_lshlrev_b32_e32 v58, 2, v52
	ds_load_b32 v52, v55
	ds_load_b32 v53, v58 offset:96
	v_cmp_le_i32_e64 s5, v23, v56
	v_cmp_gt_i32_e64 s7, v24, v57
	s_wait_dscnt 0x0
	v_cmp_lt_i32_e64 s6, v53, v52
	s_or_b32 s5, s5, s6
	s_wait_alu 0xfffe
	s_and_b32 s5, s7, s5
	s_wait_alu 0xfffe
	s_xor_b32 s6, s5, -1
	s_wait_alu 0xfffe
	s_and_saveexec_b32 s7, s6
	s_wait_alu 0xfffe
	s_xor_b32 s6, exec_lo, s7
; %bb.43:                               ;   in Loop: Header=BB4_2 Depth=1
	ds_load_b32 v54, v55 offset:4
                                        ; implicit-def: $vgpr58
; %bb.44:                               ;   in Loop: Header=BB4_2 Depth=1
	s_wait_alu 0xfffe
	s_or_saveexec_b32 s6, s6
	v_mov_b32_e32 v55, v53
	s_wait_alu 0xfffe
	s_xor_b32 exec_lo, exec_lo, s6
	s_cbranch_execz .LBB4_46
; %bb.45:                               ;   in Loop: Header=BB4_2 Depth=1
	ds_load_b32 v55, v58 offset:100
	s_wait_dscnt 0x1
	v_mov_b32_e32 v54, v52
.LBB4_46:                               ;   in Loop: Header=BB4_2 Depth=1
	s_or_b32 exec_lo, exec_lo, s6
	v_add_nc_u32_e32 v58, 1, v56
	v_add_nc_u32_e32 v59, 1, v57
	s_wait_dscnt 0x0
	v_cmp_lt_i32_e64 s7, v55, v54
	s_delay_alu instid0(VALU_DEP_3) | instskip(NEXT) | instid1(VALU_DEP_3)
	v_cndmask_b32_e64 v58, v58, v56, s5
	v_cndmask_b32_e64 v57, v57, v59, s5
                                        ; implicit-def: $vgpr56
	s_delay_alu instid0(VALU_DEP_2) | instskip(NEXT) | instid1(VALU_DEP_2)
	v_cmp_ge_i32_e64 s6, v58, v23
	v_cmp_lt_i32_e64 s8, v57, v24
	s_or_b32 s6, s6, s7
	s_wait_alu 0xfffe
	s_and_b32 s6, s8, s6
	s_wait_alu 0xfffe
	s_xor_b32 s7, s6, -1
	s_wait_alu 0xfffe
	s_and_saveexec_b32 s8, s7
	s_delay_alu instid0(SALU_CYCLE_1)
	s_xor_b32 s7, exec_lo, s8
; %bb.47:                               ;   in Loop: Header=BB4_2 Depth=1
	v_lshlrev_b32_e32 v56, 2, v58
	ds_load_b32 v56, v56 offset:4
; %bb.48:                               ;   in Loop: Header=BB4_2 Depth=1
	s_wait_alu 0xfffe
	s_or_saveexec_b32 s7, s7
	v_mov_b32_e32 v59, v55
	s_wait_alu 0xfffe
	s_xor_b32 exec_lo, exec_lo, s7
	s_cbranch_execz .LBB4_50
; %bb.49:                               ;   in Loop: Header=BB4_2 Depth=1
	s_wait_dscnt 0x0
	v_lshlrev_b32_e32 v56, 2, v57
	ds_load_b32 v59, v56 offset:4
	v_mov_b32_e32 v56, v54
.LBB4_50:                               ;   in Loop: Header=BB4_2 Depth=1
	s_or_b32 exec_lo, exec_lo, s7
	v_add_nc_u32_e32 v60, 1, v58
	v_add_nc_u32_e32 v61, 1, v57
	v_cndmask_b32_e64 v55, v54, v55, s6
	v_mov_b32_e32 v54, v33
	s_wait_dscnt 0x0
	v_cmp_lt_i32_e64 s7, v59, v56
	v_cndmask_b32_e64 v58, v60, v58, s6
	v_cndmask_b32_e64 v57, v57, v61, s6
	;; [unrolled: 1-line block ×3, first 2 shown]
	s_wait_loadcnt 0x0
	s_barrier_signal -1
	v_cmp_ge_i32_e64 s8, v58, v23
	v_cmp_lt_i32_e64 s6, v57, v24
	s_barrier_wait -1
	global_inv scope:SCOPE_SE
	s_or_b32 s5, s8, s7
	s_wait_alu 0xfffe
	s_and_b32 s5, s6, s5
	s_wait_alu 0xfffe
	v_cndmask_b32_e64 v53, v56, v59, s5
	ds_store_2addr_b32 v6, v52, v55 offset1:1
	ds_store_b32 v6, v53 offset:8
	s_wait_loadcnt_dscnt 0x0
	s_barrier_signal -1
	s_barrier_wait -1
	global_inv scope:SCOPE_SE
	s_and_saveexec_b32 s6, s3
	s_cbranch_execz .LBB4_54
; %bb.51:                               ;   in Loop: Header=BB4_2 Depth=1
	v_mov_b32_e32 v54, v33
	v_mov_b32_e32 v52, v34
	s_mov_b32 s7, 0
.LBB4_52:                               ;   Parent Loop BB4_2 Depth=1
                                        ; =>  This Inner Loop Header: Depth=2
	s_delay_alu instid0(VALU_DEP_1) | instskip(NEXT) | instid1(VALU_DEP_1)
	v_sub_nc_u32_e32 v53, v52, v54
	v_lshrrev_b32_e32 v53, 1, v53
	s_delay_alu instid0(VALU_DEP_1) | instskip(NEXT) | instid1(VALU_DEP_1)
	v_add_nc_u32_e32 v53, v53, v54
	v_not_b32_e32 v55, v53
	v_lshl_add_u32 v56, v53, 2, v38
	v_add_nc_u32_e32 v57, 1, v53
	s_delay_alu instid0(VALU_DEP_3)
	v_lshl_add_u32 v55, v55, 2, v45
	ds_load_b32 v56, v56
	ds_load_b32 v55, v55 offset:192
	s_wait_dscnt 0x0
	v_cmp_lt_i32_e64 s5, v55, v56
	s_wait_alu 0xf1ff
	s_delay_alu instid0(VALU_DEP_1) | instskip(SKIP_1) | instid1(VALU_DEP_1)
	v_cndmask_b32_e64 v52, v52, v53, s5
	v_cndmask_b32_e64 v54, v57, v54, s5
	v_cmp_ge_i32_e64 s5, v54, v52
	s_wait_alu 0xfffe
	s_or_b32 s7, s5, s7
	s_wait_alu 0xfffe
	s_and_not1_b32 exec_lo, exec_lo, s7
	s_cbranch_execnz .LBB4_52
; %bb.53:                               ;   in Loop: Header=BB4_2 Depth=1
	s_or_b32 exec_lo, exec_lo, s7
.LBB4_54:                               ;   in Loop: Header=BB4_2 Depth=1
	s_wait_alu 0xfffe
	s_or_b32 exec_lo, exec_lo, s6
	v_sub_nc_u32_e32 v52, v51, v54
	v_lshl_add_u32 v55, v54, 2, v38
	v_add_nc_u32_e32 v56, v54, v28
	v_sub_nc_u32_e32 v57, v39, v54
                                        ; implicit-def: $vgpr54
	s_delay_alu instid0(VALU_DEP_4)
	v_lshlrev_b32_e32 v58, 2, v52
	ds_load_b32 v52, v55
	ds_load_b32 v53, v58 offset:192
	v_cmp_le_i32_e64 s5, v26, v56
	v_cmp_gt_i32_e64 s7, v27, v57
	s_wait_dscnt 0x0
	v_cmp_lt_i32_e64 s6, v53, v52
	s_or_b32 s5, s5, s6
	s_wait_alu 0xfffe
	s_and_b32 s5, s7, s5
	s_wait_alu 0xfffe
	s_xor_b32 s6, s5, -1
	s_wait_alu 0xfffe
	s_and_saveexec_b32 s7, s6
	s_wait_alu 0xfffe
	s_xor_b32 s6, exec_lo, s7
; %bb.55:                               ;   in Loop: Header=BB4_2 Depth=1
	ds_load_b32 v54, v55 offset:4
                                        ; implicit-def: $vgpr58
; %bb.56:                               ;   in Loop: Header=BB4_2 Depth=1
	s_wait_alu 0xfffe
	s_or_saveexec_b32 s6, s6
	v_mov_b32_e32 v55, v53
	s_wait_alu 0xfffe
	s_xor_b32 exec_lo, exec_lo, s6
	s_cbranch_execz .LBB4_58
; %bb.57:                               ;   in Loop: Header=BB4_2 Depth=1
	ds_load_b32 v55, v58 offset:196
	s_wait_dscnt 0x1
	v_mov_b32_e32 v54, v52
.LBB4_58:                               ;   in Loop: Header=BB4_2 Depth=1
	s_or_b32 exec_lo, exec_lo, s6
	v_add_nc_u32_e32 v58, 1, v56
	v_add_nc_u32_e32 v59, 1, v57
	s_wait_dscnt 0x0
	v_cmp_lt_i32_e64 s7, v55, v54
	s_delay_alu instid0(VALU_DEP_3) | instskip(NEXT) | instid1(VALU_DEP_3)
	v_cndmask_b32_e64 v58, v58, v56, s5
	v_cndmask_b32_e64 v57, v57, v59, s5
                                        ; implicit-def: $vgpr56
	s_delay_alu instid0(VALU_DEP_2) | instskip(NEXT) | instid1(VALU_DEP_2)
	v_cmp_ge_i32_e64 s6, v58, v26
	v_cmp_lt_i32_e64 s8, v57, v27
	s_or_b32 s6, s6, s7
	s_wait_alu 0xfffe
	s_and_b32 s6, s8, s6
	s_wait_alu 0xfffe
	s_xor_b32 s7, s6, -1
	s_wait_alu 0xfffe
	s_and_saveexec_b32 s8, s7
	s_delay_alu instid0(SALU_CYCLE_1)
	s_xor_b32 s7, exec_lo, s8
; %bb.59:                               ;   in Loop: Header=BB4_2 Depth=1
	v_lshlrev_b32_e32 v56, 2, v58
	ds_load_b32 v56, v56 offset:4
; %bb.60:                               ;   in Loop: Header=BB4_2 Depth=1
	s_wait_alu 0xfffe
	s_or_saveexec_b32 s7, s7
	v_mov_b32_e32 v59, v55
	s_wait_alu 0xfffe
	s_xor_b32 exec_lo, exec_lo, s7
	s_cbranch_execz .LBB4_62
; %bb.61:                               ;   in Loop: Header=BB4_2 Depth=1
	s_wait_dscnt 0x0
	v_lshlrev_b32_e32 v56, 2, v57
	ds_load_b32 v59, v56 offset:4
	v_mov_b32_e32 v56, v54
.LBB4_62:                               ;   in Loop: Header=BB4_2 Depth=1
	s_or_b32 exec_lo, exec_lo, s7
	v_add_nc_u32_e32 v60, 1, v58
	v_add_nc_u32_e32 v61, 1, v57
	v_cndmask_b32_e64 v55, v54, v55, s6
	v_mov_b32_e32 v54, v35
	s_wait_dscnt 0x0
	v_cmp_lt_i32_e64 s7, v59, v56
	v_cndmask_b32_e64 v58, v60, v58, s6
	v_cndmask_b32_e64 v57, v57, v61, s6
	;; [unrolled: 1-line block ×3, first 2 shown]
	s_wait_loadcnt 0x0
	s_barrier_signal -1
	v_cmp_ge_i32_e64 s8, v58, v26
	v_cmp_lt_i32_e64 s6, v57, v27
	s_barrier_wait -1
	global_inv scope:SCOPE_SE
	s_or_b32 s5, s8, s7
	s_wait_alu 0xfffe
	s_and_b32 s5, s6, s5
	s_wait_alu 0xfffe
	v_cndmask_b32_e64 v53, v56, v59, s5
	ds_store_2addr_b32 v6, v52, v55 offset1:1
	ds_store_b32 v6, v53 offset:8
	s_wait_loadcnt_dscnt 0x0
	s_barrier_signal -1
	s_barrier_wait -1
	global_inv scope:SCOPE_SE
	s_and_saveexec_b32 s6, s4
	s_cbranch_execz .LBB4_66
; %bb.63:                               ;   in Loop: Header=BB4_2 Depth=1
	v_mov_b32_e32 v54, v35
	v_mov_b32_e32 v52, v36
	s_mov_b32 s7, 0
.LBB4_64:                               ;   Parent Loop BB4_2 Depth=1
                                        ; =>  This Inner Loop Header: Depth=2
	s_delay_alu instid0(VALU_DEP_1) | instskip(NEXT) | instid1(VALU_DEP_1)
	v_sub_nc_u32_e32 v53, v52, v54
	v_lshrrev_b32_e32 v53, 1, v53
	s_delay_alu instid0(VALU_DEP_1) | instskip(NEXT) | instid1(VALU_DEP_1)
	v_add_nc_u32_e32 v53, v53, v54
	v_not_b32_e32 v55, v53
	v_lshlrev_b32_e32 v56, 2, v53
	v_add_nc_u32_e32 v57, 1, v53
	s_delay_alu instid0(VALU_DEP_3)
	v_lshl_add_u32 v55, v55, 2, v46
	ds_load_b32 v56, v56
	ds_load_b32 v55, v55 offset:384
	s_wait_dscnt 0x0
	v_cmp_lt_i32_e64 s5, v55, v56
	s_wait_alu 0xf1ff
	s_delay_alu instid0(VALU_DEP_1) | instskip(SKIP_1) | instid1(VALU_DEP_1)
	v_cndmask_b32_e64 v52, v52, v53, s5
	v_cndmask_b32_e64 v54, v57, v54, s5
	v_cmp_ge_i32_e64 s5, v54, v52
	s_wait_alu 0xfffe
	s_or_b32 s7, s5, s7
	s_wait_alu 0xfffe
	s_and_not1_b32 exec_lo, exec_lo, s7
	s_cbranch_execnz .LBB4_64
; %bb.65:                               ;   in Loop: Header=BB4_2 Depth=1
	s_or_b32 exec_lo, exec_lo, s7
.LBB4_66:                               ;   in Loop: Header=BB4_2 Depth=1
	s_wait_alu 0xfffe
	s_or_b32 exec_lo, exec_lo, s6
	v_sub_nc_u32_e32 v52, v32, v54
	v_lshlrev_b32_e32 v56, 2, v54
	v_sub_nc_u32_e32 v57, v40, v54
	v_cmp_le_i32_e64 s5, 0x60, v54
                                        ; implicit-def: $vgpr55
	s_delay_alu instid0(VALU_DEP_4)
	v_lshlrev_b32_e32 v58, 2, v52
	ds_load_b32 v52, v56
	ds_load_b32 v53, v58 offset:384
	v_cmp_gt_i32_e64 s7, 0xc0, v57
	s_wait_dscnt 0x0
	v_cmp_lt_i32_e64 s6, v53, v52
	s_or_b32 s5, s5, s6
	s_wait_alu 0xfffe
	s_and_b32 s5, s7, s5
	s_wait_alu 0xfffe
	s_xor_b32 s6, s5, -1
	s_wait_alu 0xfffe
	s_and_saveexec_b32 s7, s6
	s_wait_alu 0xfffe
	s_xor_b32 s6, exec_lo, s7
; %bb.67:                               ;   in Loop: Header=BB4_2 Depth=1
	ds_load_b32 v55, v56 offset:4
                                        ; implicit-def: $vgpr58
; %bb.68:                               ;   in Loop: Header=BB4_2 Depth=1
	s_wait_alu 0xfffe
	s_or_saveexec_b32 s6, s6
	v_mov_b32_e32 v56, v53
	s_wait_alu 0xfffe
	s_xor_b32 exec_lo, exec_lo, s6
	s_cbranch_execz .LBB4_70
; %bb.69:                               ;   in Loop: Header=BB4_2 Depth=1
	ds_load_b32 v56, v58 offset:388
	s_wait_dscnt 0x1
	v_mov_b32_e32 v55, v52
.LBB4_70:                               ;   in Loop: Header=BB4_2 Depth=1
	s_or_b32 exec_lo, exec_lo, s6
	v_add_nc_u32_e32 v58, 1, v54
	v_add_nc_u32_e32 v59, 1, v57
	s_wait_dscnt 0x0
	v_cmp_lt_i32_e64 s7, v56, v55
	s_delay_alu instid0(VALU_DEP_3) | instskip(NEXT) | instid1(VALU_DEP_3)
	v_cndmask_b32_e64 v58, v58, v54, s5
	v_cndmask_b32_e64 v54, v57, v59, s5
                                        ; implicit-def: $vgpr57
                                        ; implicit-def: $vgpr59
	s_delay_alu instid0(VALU_DEP_2) | instskip(NEXT) | instid1(VALU_DEP_2)
	v_cmp_le_i32_e64 s6, 0x60, v58
	v_cmp_gt_i32_e64 s8, 0xc0, v54
	s_or_b32 s6, s6, s7
	s_wait_alu 0xfffe
	s_and_b32 s6, s8, s6
	s_wait_alu 0xfffe
	s_xor_b32 s7, s6, -1
	s_wait_alu 0xfffe
	s_and_saveexec_b32 s8, s7
	s_delay_alu instid0(SALU_CYCLE_1)
	s_xor_b32 s7, exec_lo, s8
; %bb.71:                               ;   in Loop: Header=BB4_2 Depth=1
	v_lshlrev_b32_e32 v57, 2, v58
	v_add_nc_u32_e32 v59, 1, v58
                                        ; implicit-def: $vgpr58
	ds_load_b32 v57, v57 offset:4
; %bb.72:                               ;   in Loop: Header=BB4_2 Depth=1
	s_wait_alu 0xfffe
	s_or_saveexec_b32 s7, s7
	v_mov_b32_e32 v60, v56
	s_wait_alu 0xfffe
	s_xor_b32 exec_lo, exec_lo, s7
	s_cbranch_execz .LBB4_1
; %bb.73:                               ;   in Loop: Header=BB4_2 Depth=1
	s_wait_dscnt 0x0
	v_lshlrev_b32_e32 v57, 2, v54
	v_dual_mov_b32 v59, v58 :: v_dual_add_nc_u32 v54, 1, v54
	ds_load_b32 v60, v57 offset:4
	v_mov_b32_e32 v57, v55
	s_branch .LBB4_1
.LBB4_74:
	v_lshlrev_b32_e32 v0, 2, v0
	s_add_nc_u64 s[0:1], s[10:11], s[14:15]
	s_clause 0x2
	global_store_b32 v0, v53, s[0:1]
	global_store_b32 v0, v54, s[0:1] offset:256
	global_store_b32 v0, v52, s[0:1] offset:512
	s_endpgm
	.section	.rodata,"a",@progbits
	.p2align	6, 0x0
	.amdhsa_kernel _Z16sort_keys_kernelIiLj64ELj3EN10test_utils4lessELj10EEvPKT_PS2_T2_
		.amdhsa_group_segment_fixed_size 772
		.amdhsa_private_segment_fixed_size 0
		.amdhsa_kernarg_size 20
		.amdhsa_user_sgpr_count 2
		.amdhsa_user_sgpr_dispatch_ptr 0
		.amdhsa_user_sgpr_queue_ptr 0
		.amdhsa_user_sgpr_kernarg_segment_ptr 1
		.amdhsa_user_sgpr_dispatch_id 0
		.amdhsa_user_sgpr_private_segment_size 0
		.amdhsa_wavefront_size32 1
		.amdhsa_uses_dynamic_stack 0
		.amdhsa_enable_private_segment 0
		.amdhsa_system_sgpr_workgroup_id_x 1
		.amdhsa_system_sgpr_workgroup_id_y 0
		.amdhsa_system_sgpr_workgroup_id_z 0
		.amdhsa_system_sgpr_workgroup_info 0
		.amdhsa_system_vgpr_workitem_id 0
		.amdhsa_next_free_vgpr 63
		.amdhsa_next_free_sgpr 16
		.amdhsa_reserve_vcc 1
		.amdhsa_float_round_mode_32 0
		.amdhsa_float_round_mode_16_64 0
		.amdhsa_float_denorm_mode_32 3
		.amdhsa_float_denorm_mode_16_64 3
		.amdhsa_fp16_overflow 0
		.amdhsa_workgroup_processor_mode 1
		.amdhsa_memory_ordered 1
		.amdhsa_forward_progress 1
		.amdhsa_inst_pref_size 37
		.amdhsa_round_robin_scheduling 0
		.amdhsa_exception_fp_ieee_invalid_op 0
		.amdhsa_exception_fp_denorm_src 0
		.amdhsa_exception_fp_ieee_div_zero 0
		.amdhsa_exception_fp_ieee_overflow 0
		.amdhsa_exception_fp_ieee_underflow 0
		.amdhsa_exception_fp_ieee_inexact 0
		.amdhsa_exception_int_div_zero 0
	.end_amdhsa_kernel
	.section	.text._Z16sort_keys_kernelIiLj64ELj3EN10test_utils4lessELj10EEvPKT_PS2_T2_,"axG",@progbits,_Z16sort_keys_kernelIiLj64ELj3EN10test_utils4lessELj10EEvPKT_PS2_T2_,comdat
.Lfunc_end4:
	.size	_Z16sort_keys_kernelIiLj64ELj3EN10test_utils4lessELj10EEvPKT_PS2_T2_, .Lfunc_end4-_Z16sort_keys_kernelIiLj64ELj3EN10test_utils4lessELj10EEvPKT_PS2_T2_
                                        ; -- End function
	.set _Z16sort_keys_kernelIiLj64ELj3EN10test_utils4lessELj10EEvPKT_PS2_T2_.num_vgpr, 63
	.set _Z16sort_keys_kernelIiLj64ELj3EN10test_utils4lessELj10EEvPKT_PS2_T2_.num_agpr, 0
	.set _Z16sort_keys_kernelIiLj64ELj3EN10test_utils4lessELj10EEvPKT_PS2_T2_.numbered_sgpr, 16
	.set _Z16sort_keys_kernelIiLj64ELj3EN10test_utils4lessELj10EEvPKT_PS2_T2_.num_named_barrier, 0
	.set _Z16sort_keys_kernelIiLj64ELj3EN10test_utils4lessELj10EEvPKT_PS2_T2_.private_seg_size, 0
	.set _Z16sort_keys_kernelIiLj64ELj3EN10test_utils4lessELj10EEvPKT_PS2_T2_.uses_vcc, 1
	.set _Z16sort_keys_kernelIiLj64ELj3EN10test_utils4lessELj10EEvPKT_PS2_T2_.uses_flat_scratch, 0
	.set _Z16sort_keys_kernelIiLj64ELj3EN10test_utils4lessELj10EEvPKT_PS2_T2_.has_dyn_sized_stack, 0
	.set _Z16sort_keys_kernelIiLj64ELj3EN10test_utils4lessELj10EEvPKT_PS2_T2_.has_recursion, 0
	.set _Z16sort_keys_kernelIiLj64ELj3EN10test_utils4lessELj10EEvPKT_PS2_T2_.has_indirect_call, 0
	.section	.AMDGPU.csdata,"",@progbits
; Kernel info:
; codeLenInByte = 4712
; TotalNumSgprs: 18
; NumVgprs: 63
; ScratchSize: 0
; MemoryBound: 0
; FloatMode: 240
; IeeeMode: 1
; LDSByteSize: 772 bytes/workgroup (compile time only)
; SGPRBlocks: 0
; VGPRBlocks: 7
; NumSGPRsForWavesPerEU: 18
; NumVGPRsForWavesPerEU: 63
; Occupancy: 16
; WaveLimiterHint : 1
; COMPUTE_PGM_RSRC2:SCRATCH_EN: 0
; COMPUTE_PGM_RSRC2:USER_SGPR: 2
; COMPUTE_PGM_RSRC2:TRAP_HANDLER: 0
; COMPUTE_PGM_RSRC2:TGID_X_EN: 1
; COMPUTE_PGM_RSRC2:TGID_Y_EN: 0
; COMPUTE_PGM_RSRC2:TGID_Z_EN: 0
; COMPUTE_PGM_RSRC2:TIDIG_COMP_CNT: 0
	.section	.text._Z17sort_pairs_kernelIiLj64ELj3EN10test_utils4lessELj10EEvPKT_PS2_T2_,"axG",@progbits,_Z17sort_pairs_kernelIiLj64ELj3EN10test_utils4lessELj10EEvPKT_PS2_T2_,comdat
	.protected	_Z17sort_pairs_kernelIiLj64ELj3EN10test_utils4lessELj10EEvPKT_PS2_T2_ ; -- Begin function _Z17sort_pairs_kernelIiLj64ELj3EN10test_utils4lessELj10EEvPKT_PS2_T2_
	.globl	_Z17sort_pairs_kernelIiLj64ELj3EN10test_utils4lessELj10EEvPKT_PS2_T2_
	.p2align	8
	.type	_Z17sort_pairs_kernelIiLj64ELj3EN10test_utils4lessELj10EEvPKT_PS2_T2_,@function
_Z17sort_pairs_kernelIiLj64ELj3EN10test_utils4lessELj10EEvPKT_PS2_T2_: ; @_Z17sort_pairs_kernelIiLj64ELj3EN10test_utils4lessELj10EEvPKT_PS2_T2_
; %bb.0:
	s_load_b128 s[12:15], s[0:1], 0x0
	s_mul_i32 s18, ttmp9, 0xc0
	s_mov_b32 s19, 0
	v_lshlrev_b32_e32 v1, 2, v0
	s_lshl_b64 s[16:17], s[18:19], 2
	v_and_b32_e32 v4, 62, v0
	v_and_b32_e32 v6, 60, v0
	;; [unrolled: 1-line block ×5, first 2 shown]
	v_mul_u32_u24_e32 v10, 3, v4
	v_and_b32_e32 v9, 32, v0
	v_mul_u32_u24_e32 v11, 3, v6
	v_mul_u32_u24_e32 v12, 3, v7
	;; [unrolled: 1-line block ×3, first 2 shown]
	v_min_u32_e32 v32, 0xbd, v10
	v_min_u32_e32 v15, 0xba, v10
	v_cmp_eq_u32_e32 vcc_lo, 1, v5
	v_mul_u32_u24_e32 v14, 3, v9
	v_min_u32_e32 v7, 0xc0, v10
	s_wait_kmcnt 0x0
	s_add_nc_u64 s[0:1], s[12:13], s[16:17]
	v_min_u32_e32 v33, 0xba, v11
	s_clause 0x2
	global_load_b32 v54, v1, s[0:1]
	global_load_b32 v53, v1, s[0:1] offset:256
	global_load_b32 v52, v1, s[0:1] offset:512
	v_min_u32_e32 v16, 0xb4, v11
	v_min_u32_e32 v9, 0xc0, v12
	;; [unrolled: 1-line block ×7, first 2 shown]
	v_add_nc_u32_e32 v12, 3, v32
	v_add_nc_u32_e32 v13, 6, v15
	v_and_b32_e32 v37, 3, v0
	v_cndmask_b32_e64 v46, 0, 3, vcc_lo
	v_add_nc_u32_e32 v15, 6, v33
	v_add_nc_u32_e32 v16, 12, v16
	v_sub_nc_u32_e32 v55, v13, v12
	v_and_b32_e32 v38, 7, v0
	v_mul_u32_u24_e32 v47, 3, v37
	v_min_u32_e32 v8, 0xc0, v11
	v_lshlrev_b32_e32 v27, 2, v46
	v_add_nc_u32_e32 v18, 12, v34
	v_add_nc_u32_e32 v19, 24, v19
	v_sub_nc_u32_e32 v41, v12, v7
	v_sub_nc_u32_e32 v56, v16, v15
	;; [unrolled: 1-line block ×3, first 2 shown]
	v_cmp_ge_i32_e64 s0, v46, v55
	v_and_b32_e32 v39, 15, v0
	v_mul_u32_u24_e32 v48, 3, v38
	v_min_u32_e32 v58, 0x90, v14
	v_min_u32_e32 v25, 0x60, v14
	v_add_nc_u32_e32 v21, 24, v35
	v_add_nc_u32_e32 v22, 48, v22
	v_lshl_add_u32 v27, v32, 2, v27
	v_add_nc_u32_e32 v32, v32, v46
	v_add_nc_u32_e32 v36, v12, v46
	v_sub_nc_u32_e32 v42, v15, v8
	v_sub_nc_u32_e32 v57, v19, v18
	v_min_i32_e32 v41, v46, v41
	v_sub_nc_u32_e32 v62, v47, v56
	v_cndmask_b32_e64 v46, 0, v61, s0
	v_cmp_ge_i32_e64 s0, v47, v56
	v_and_b32_e32 v51, 31, v0
	v_mul_u32_u24_e32 v49, 3, v39
	v_lshlrev_b32_e32 v28, 2, v47
	v_add_nc_u32_e32 v24, 48, v58
	v_add_nc_u32_e32 v25, 0x60, v25
	v_sub_nc_u32_e32 v43, v18, v9
	v_sub_nc_u32_e32 v59, v22, v21
	v_min_i32_e32 v42, v47, v42
	v_sub_nc_u32_e32 v63, v48, v57
	s_wait_alu 0xf1ff
	v_cndmask_b32_e64 v47, 0, v62, s0
	v_cmp_ge_i32_e64 s0, v48, v57
	v_mul_u32_u24_e32 v50, 3, v51
	v_min_u32_e32 v11, 0xc0, v14
	v_lshlrev_b32_e32 v29, 2, v48
	v_sub_nc_u32_e32 v44, v21, v10
	v_sub_nc_u32_e32 v60, v25, v24
	v_min_i32_e32 v43, v48, v43
	v_sub_nc_u32_e32 v64, v49, v59
	s_wait_alu 0xf1ff
	v_cndmask_b32_e64 v48, 0, v63, s0
	v_cmp_ge_i32_e64 s0, v49, v59
	v_lshlrev_b32_e32 v30, 2, v49
	v_sub_nc_u32_e32 v45, v24, v11
	v_min_i32_e32 v44, v49, v44
	v_sub_nc_u32_e32 v65, v50, v60
	s_wait_alu 0xf1ff
	v_cndmask_b32_e64 v49, 0, v64, s0
	v_cmp_ge_i32_e64 s0, v50, v60
	v_mul_u32_u24_e32 v2, 3, v0
	v_lshlrev_b32_e32 v31, 2, v50
	v_min_i32_e32 v45, v50, v45
	v_mul_u32_u24_e32 v1, 12, v0
	s_wait_alu 0xf1ff
	v_cndmask_b32_e64 v50, 0, v65, s0
	v_mad_u32_u24 v3, v0, 3, 0x60
	v_subrev_nc_u32_e64 v4, 0x60, v2 clamp
	v_min_i32_e32 v5, 0x60, v2
	v_lshlrev_b32_e32 v6, 2, v2
	v_lshlrev_b32_e32 v14, 2, v7
	;; [unrolled: 1-line block ×6, first 2 shown]
	v_lshl_add_u32 v28, v33, 2, v28
	v_lshl_add_u32 v29, v34, 2, v29
	;; [unrolled: 1-line block ×4, first 2 shown]
	v_mad_u32_u24 v33, v37, 3, v33
	v_mad_u32_u24 v34, v38, 3, v34
	;; [unrolled: 1-line block ×7, first 2 shown]
	v_cmp_lt_i32_e64 s0, v46, v41
	v_cmp_lt_i32_e64 s1, v47, v42
	;; [unrolled: 1-line block ×5, first 2 shown]
	v_mad_u32_u24 v51, v51, 3, v58
	v_cmp_lt_i32_e32 vcc_lo, v4, v5
	s_wait_loadcnt 0x2
	v_add_nc_u32_e32 v57, 1, v54
	s_wait_loadcnt 0x1
	v_add_nc_u32_e32 v56, 1, v53
	;; [unrolled: 2-line block ×3, first 2 shown]
	s_branch .LBB5_2
.LBB5_1:                                ;   in Loop: Header=BB5_2 Depth=1
	s_or_b32 exec_lo, exec_lo, s7
	s_delay_alu instid0(VALU_DEP_1)
	v_cmp_le_i32_e64 s7, 0x60, v62
	s_wait_dscnt 0x0
	v_cmp_lt_i32_e64 s8, v66, v63
	v_cmp_gt_i32_e64 s9, 0xc0, v57
	v_cndmask_b32_e64 v56, v52, v56, s5
	s_wait_loadcnt 0x0
	s_barrier_signal -1
	s_or_b32 s7, s7, s8
	s_barrier_wait -1
	s_wait_alu 0xfffe
	s_and_b32 s7, s9, s7
	global_inv scope:SCOPE_SE
	s_wait_alu 0xfffe
	v_cndmask_b32_e64 v57, v62, v57, s7
	ds_store_2addr_b32 v1, v53, v54 offset1:1
	ds_store_b32 v1, v55 offset:8
	v_lshlrev_b32_e32 v53, 2, v56
	v_lshlrev_b32_e32 v54, 2, v64
	s_wait_loadcnt_dscnt 0x0
	v_lshlrev_b32_e32 v55, 2, v57
	s_barrier_signal -1
	s_barrier_wait -1
	global_inv scope:SCOPE_SE
	ds_load_b32 v57, v53
	ds_load_b32 v56, v54
	;; [unrolled: 1-line block ×3, first 2 shown]
	v_cndmask_b32_e64 v52, v63, v66, s7
	v_cndmask_b32_e64 v54, v58, v59, s5
	;; [unrolled: 1-line block ×3, first 2 shown]
	s_add_co_i32 s19, s19, 1
	s_delay_alu instid0(SALU_CYCLE_1)
	s_cmp_eq_u32 s19, 10
	s_cbranch_scc1 .LBB5_74
.LBB5_2:                                ; =>This Loop Header: Depth=1
                                        ;     Child Loop BB5_4 Depth 2
                                        ;     Child Loop BB5_16 Depth 2
                                        ;     Child Loop BB5_28 Depth 2
                                        ;     Child Loop BB5_40 Depth 2
                                        ;     Child Loop BB5_52 Depth 2
                                        ;     Child Loop BB5_64 Depth 2
	s_delay_alu instid0(VALU_DEP_1)
	v_cmp_lt_i32_e64 s7, v53, v54
	v_max_i32_e32 v58, v53, v54
	s_barrier_signal -1
	s_barrier_wait -1
	s_wait_alu 0xf1ff
	v_cndmask_b32_e64 v59, v54, v53, s7
	v_cndmask_b32_e64 v53, v53, v54, s7
	v_cmp_lt_i32_e64 s5, v52, v58
	v_min_i32_e32 v54, v52, v58
	global_inv scope:SCOPE_SE
	s_wait_alu 0xf1ff
	v_cndmask_b32_e64 v58, v52, v58, s5
	v_cndmask_b32_e64 v52, v53, v52, s5
	v_cmp_lt_i32_e64 s6, v54, v59
	v_mov_b32_e32 v53, v46
	s_wait_alu 0xf1ff
	s_delay_alu instid0(VALU_DEP_2)
	v_cndmask_b32_e64 v52, v52, v59, s6
	v_cndmask_b32_e64 v54, v59, v54, s6
	ds_store_2addr_b32 v1, v54, v52 offset1:1
	ds_store_b32 v1, v58 offset:8
	s_wait_loadcnt_dscnt 0x0
	s_barrier_signal -1
	s_barrier_wait -1
	global_inv scope:SCOPE_SE
	s_and_saveexec_b32 s9, s0
	s_cbranch_execz .LBB5_6
; %bb.3:                                ;   in Loop: Header=BB5_2 Depth=1
	v_dual_mov_b32 v53, v46 :: v_dual_mov_b32 v52, v41
	s_mov_b32 s10, 0
.LBB5_4:                                ;   Parent Loop BB5_2 Depth=1
                                        ; =>  This Inner Loop Header: Depth=2
	s_delay_alu instid0(VALU_DEP_1) | instskip(NEXT) | instid1(VALU_DEP_1)
	v_sub_nc_u32_e32 v54, v52, v53
	v_lshrrev_b32_e32 v54, 1, v54
	s_delay_alu instid0(VALU_DEP_1) | instskip(NEXT) | instid1(VALU_DEP_1)
	v_add_nc_u32_e32 v54, v54, v53
	v_not_b32_e32 v58, v54
	v_lshl_add_u32 v59, v54, 2, v14
	v_add_nc_u32_e32 v60, 1, v54
	s_delay_alu instid0(VALU_DEP_3)
	v_lshl_add_u32 v58, v58, 2, v27
	ds_load_b32 v59, v59
	ds_load_b32 v58, v58 offset:12
	s_wait_dscnt 0x0
	v_cmp_lt_i32_e64 s8, v58, v59
	s_wait_alu 0xf1ff
	s_delay_alu instid0(VALU_DEP_1) | instskip(SKIP_1) | instid1(VALU_DEP_1)
	v_cndmask_b32_e64 v52, v52, v54, s8
	v_cndmask_b32_e64 v53, v60, v53, s8
	v_cmp_ge_i32_e64 s8, v53, v52
	s_or_b32 s10, s8, s10
	s_delay_alu instid0(SALU_CYCLE_1)
	s_and_not1_b32 exec_lo, exec_lo, s10
	s_cbranch_execnz .LBB5_4
; %bb.5:                                ;   in Loop: Header=BB5_2 Depth=1
	s_or_b32 exec_lo, exec_lo, s10
.LBB5_6:                                ;   in Loop: Header=BB5_2 Depth=1
	s_wait_alu 0xfffe
	s_or_b32 exec_lo, exec_lo, s9
	v_sub_nc_u32_e32 v52, v32, v53
	v_lshl_add_u32 v61, v53, 2, v14
                                        ; implicit-def: $vgpr60
	s_delay_alu instid0(VALU_DEP_2)
	v_lshlrev_b32_e32 v54, 2, v52
	v_add_nc_u32_e32 v52, v53, v7
	v_sub_nc_u32_e32 v53, v36, v53
	ds_load_b32 v58, v61
	ds_load_b32 v59, v54 offset:12
	v_cmp_le_i32_e64 s8, v12, v52
	v_cmp_gt_i32_e64 s10, v13, v53
	s_wait_dscnt 0x0
	v_cmp_lt_i32_e64 s9, v59, v58
	s_or_b32 s8, s8, s9
	s_wait_alu 0xfffe
	s_and_b32 s8, s10, s8
	s_wait_alu 0xfffe
	s_xor_b32 s9, s8, -1
	s_wait_alu 0xfffe
	s_and_saveexec_b32 s10, s9
	s_delay_alu instid0(SALU_CYCLE_1)
	s_xor_b32 s9, exec_lo, s10
; %bb.7:                                ;   in Loop: Header=BB5_2 Depth=1
	ds_load_b32 v60, v61 offset:4
                                        ; implicit-def: $vgpr54
; %bb.8:                                ;   in Loop: Header=BB5_2 Depth=1
	s_wait_alu 0xfffe
	s_or_saveexec_b32 s9, s9
	v_mov_b32_e32 v61, v59
	s_wait_alu 0xfffe
	s_xor_b32 exec_lo, exec_lo, s9
	s_cbranch_execz .LBB5_10
; %bb.9:                                ;   in Loop: Header=BB5_2 Depth=1
	ds_load_b32 v61, v54 offset:16
	s_wait_dscnt 0x1
	v_mov_b32_e32 v60, v58
.LBB5_10:                               ;   in Loop: Header=BB5_2 Depth=1
	s_or_b32 exec_lo, exec_lo, s9
	v_add_nc_u32_e32 v54, 1, v52
	v_add_nc_u32_e32 v62, 1, v53
	s_wait_dscnt 0x0
	v_cmp_lt_i32_e64 s10, v61, v60
	s_delay_alu instid0(VALU_DEP_3) | instskip(NEXT) | instid1(VALU_DEP_3)
	v_cndmask_b32_e64 v63, v54, v52, s8
	v_cndmask_b32_e64 v62, v53, v62, s8
                                        ; implicit-def: $vgpr54
	s_delay_alu instid0(VALU_DEP_2) | instskip(NEXT) | instid1(VALU_DEP_2)
	v_cmp_ge_i32_e64 s9, v63, v12
	v_cmp_lt_i32_e64 s11, v62, v13
	s_or_b32 s9, s9, s10
	s_wait_alu 0xfffe
	s_and_b32 s9, s11, s9
	s_wait_alu 0xfffe
	s_xor_b32 s10, s9, -1
	s_delay_alu instid0(SALU_CYCLE_1) | instskip(NEXT) | instid1(SALU_CYCLE_1)
	s_and_saveexec_b32 s11, s10
	s_xor_b32 s10, exec_lo, s11
; %bb.11:                               ;   in Loop: Header=BB5_2 Depth=1
	v_lshlrev_b32_e32 v54, 2, v63
	ds_load_b32 v54, v54 offset:4
; %bb.12:                               ;   in Loop: Header=BB5_2 Depth=1
	s_or_saveexec_b32 s10, s10
	v_mov_b32_e32 v64, v61
	s_xor_b32 exec_lo, exec_lo, s10
	s_cbranch_execz .LBB5_14
; %bb.13:                               ;   in Loop: Header=BB5_2 Depth=1
	s_wait_dscnt 0x0
	v_lshlrev_b32_e32 v54, 2, v62
	ds_load_b32 v64, v54 offset:4
	v_mov_b32_e32 v54, v60
.LBB5_14:                               ;   in Loop: Header=BB5_2 Depth=1
	s_or_b32 exec_lo, exec_lo, s10
	v_add_nc_u32_e32 v65, 1, v63
	v_add_nc_u32_e32 v66, 1, v62
	v_cndmask_b32_e64 v67, v63, v62, s9
	v_cndmask_b32_e64 v52, v52, v53, s8
	;; [unrolled: 1-line block ×6, first 2 shown]
	s_wait_dscnt 0x0
	v_cmp_lt_i32_e64 s7, v64, v54
	v_cndmask_b32_e64 v62, v53, v55, s5
	v_cmp_ge_i32_e64 s10, v63, v12
	v_cndmask_b32_e64 v53, v55, v53, s5
	v_cmp_lt_i32_e64 s11, v57, v13
	v_lshlrev_b32_e32 v52, 2, v52
	v_cndmask_b32_e64 v55, v62, v56, s6
	s_or_b32 s5, s10, s7
	v_cndmask_b32_e64 v56, v56, v62, s6
	s_wait_alu 0xfffe
	s_and_b32 s5, s11, s5
	s_wait_loadcnt 0x0
	s_wait_alu 0xfffe
	v_cndmask_b32_e64 v62, v54, v64, s5
	v_cndmask_b32_e64 v54, v63, v57, s5
	s_barrier_signal -1
	s_barrier_wait -1
	global_inv scope:SCOPE_SE
	ds_store_2addr_b32 v1, v56, v55 offset1:1
	ds_store_b32 v1, v53 offset:8
	v_lshlrev_b32_e32 v53, 2, v67
	v_lshlrev_b32_e32 v54, 2, v54
	s_wait_loadcnt_dscnt 0x0
	s_barrier_signal -1
	s_barrier_wait -1
	global_inv scope:SCOPE_SE
	ds_load_b32 v52, v52
	ds_load_b32 v53, v53
	;; [unrolled: 1-line block ×3, first 2 shown]
	v_cndmask_b32_e64 v55, v60, v61, s9
	v_cndmask_b32_e64 v56, v58, v59, s8
	v_mov_b32_e32 v57, v47
	s_wait_loadcnt_dscnt 0x0
	s_barrier_signal -1
	s_barrier_wait -1
	global_inv scope:SCOPE_SE
	ds_store_2addr_b32 v1, v56, v55 offset1:1
	ds_store_b32 v1, v62 offset:8
	s_wait_loadcnt_dscnt 0x0
	s_barrier_signal -1
	s_barrier_wait -1
	global_inv scope:SCOPE_SE
	s_and_saveexec_b32 s6, s1
	s_cbranch_execz .LBB5_18
; %bb.15:                               ;   in Loop: Header=BB5_2 Depth=1
	v_mov_b32_e32 v57, v47
	v_mov_b32_e32 v55, v42
	s_mov_b32 s7, 0
.LBB5_16:                               ;   Parent Loop BB5_2 Depth=1
                                        ; =>  This Inner Loop Header: Depth=2
	s_delay_alu instid0(VALU_DEP_1) | instskip(NEXT) | instid1(VALU_DEP_1)
	v_sub_nc_u32_e32 v56, v55, v57
	v_lshrrev_b32_e32 v56, 1, v56
	s_delay_alu instid0(VALU_DEP_1) | instskip(NEXT) | instid1(VALU_DEP_1)
	v_add_nc_u32_e32 v56, v56, v57
	v_not_b32_e32 v58, v56
	v_lshl_add_u32 v59, v56, 2, v17
	v_add_nc_u32_e32 v60, 1, v56
	s_delay_alu instid0(VALU_DEP_3)
	v_lshl_add_u32 v58, v58, 2, v28
	ds_load_b32 v59, v59
	ds_load_b32 v58, v58 offset:24
	s_wait_dscnt 0x0
	v_cmp_lt_i32_e64 s5, v58, v59
	s_wait_alu 0xf1ff
	s_delay_alu instid0(VALU_DEP_1) | instskip(SKIP_1) | instid1(VALU_DEP_1)
	v_cndmask_b32_e64 v55, v55, v56, s5
	v_cndmask_b32_e64 v57, v60, v57, s5
	v_cmp_ge_i32_e64 s5, v57, v55
	s_wait_alu 0xfffe
	s_or_b32 s7, s5, s7
	s_wait_alu 0xfffe
	s_and_not1_b32 exec_lo, exec_lo, s7
	s_cbranch_execnz .LBB5_16
; %bb.17:                               ;   in Loop: Header=BB5_2 Depth=1
	s_or_b32 exec_lo, exec_lo, s7
.LBB5_18:                               ;   in Loop: Header=BB5_2 Depth=1
	s_wait_alu 0xfffe
	s_or_b32 exec_lo, exec_lo, s6
	v_sub_nc_u32_e32 v55, v33, v57
	v_lshl_add_u32 v58, v57, 2, v17
	v_add_nc_u32_e32 v59, v57, v8
	v_sub_nc_u32_e32 v60, v37, v57
                                        ; implicit-def: $vgpr57
	s_delay_alu instid0(VALU_DEP_4)
	v_lshlrev_b32_e32 v61, 2, v55
	ds_load_b32 v55, v58
	ds_load_b32 v56, v61 offset:24
	v_cmp_le_i32_e64 s5, v15, v59
	v_cmp_gt_i32_e64 s7, v16, v60
	s_wait_dscnt 0x0
	v_cmp_lt_i32_e64 s6, v56, v55
	s_or_b32 s5, s5, s6
	s_wait_alu 0xfffe
	s_and_b32 s5, s7, s5
	s_wait_alu 0xfffe
	s_xor_b32 s6, s5, -1
	s_wait_alu 0xfffe
	s_and_saveexec_b32 s7, s6
	s_wait_alu 0xfffe
	s_xor_b32 s6, exec_lo, s7
; %bb.19:                               ;   in Loop: Header=BB5_2 Depth=1
	ds_load_b32 v57, v58 offset:4
                                        ; implicit-def: $vgpr61
; %bb.20:                               ;   in Loop: Header=BB5_2 Depth=1
	s_wait_alu 0xfffe
	s_or_saveexec_b32 s6, s6
	v_mov_b32_e32 v58, v56
	s_wait_alu 0xfffe
	s_xor_b32 exec_lo, exec_lo, s6
	s_cbranch_execz .LBB5_22
; %bb.21:                               ;   in Loop: Header=BB5_2 Depth=1
	ds_load_b32 v58, v61 offset:28
	s_wait_dscnt 0x1
	v_mov_b32_e32 v57, v55
.LBB5_22:                               ;   in Loop: Header=BB5_2 Depth=1
	s_or_b32 exec_lo, exec_lo, s6
	v_add_nc_u32_e32 v61, 1, v59
	v_add_nc_u32_e32 v62, 1, v60
	s_wait_dscnt 0x0
	v_cmp_lt_i32_e64 s7, v58, v57
	s_delay_alu instid0(VALU_DEP_3) | instskip(NEXT) | instid1(VALU_DEP_3)
	v_cndmask_b32_e64 v63, v61, v59, s5
	v_cndmask_b32_e64 v62, v60, v62, s5
                                        ; implicit-def: $vgpr61
	s_delay_alu instid0(VALU_DEP_2) | instskip(NEXT) | instid1(VALU_DEP_2)
	v_cmp_ge_i32_e64 s6, v63, v15
	v_cmp_lt_i32_e64 s8, v62, v16
	s_or_b32 s6, s6, s7
	s_wait_alu 0xfffe
	s_and_b32 s6, s8, s6
	s_wait_alu 0xfffe
	s_xor_b32 s7, s6, -1
	s_wait_alu 0xfffe
	s_and_saveexec_b32 s8, s7
	s_wait_alu 0xfffe
	s_xor_b32 s7, exec_lo, s8
; %bb.23:                               ;   in Loop: Header=BB5_2 Depth=1
	v_lshlrev_b32_e32 v61, 2, v63
	ds_load_b32 v61, v61 offset:4
; %bb.24:                               ;   in Loop: Header=BB5_2 Depth=1
	s_wait_alu 0xfffe
	s_or_saveexec_b32 s7, s7
	v_mov_b32_e32 v64, v58
	s_wait_alu 0xfffe
	s_xor_b32 exec_lo, exec_lo, s7
	s_cbranch_execz .LBB5_26
; %bb.25:                               ;   in Loop: Header=BB5_2 Depth=1
	s_wait_dscnt 0x0
	v_lshlrev_b32_e32 v61, 2, v62
	ds_load_b32 v64, v61 offset:4
	v_mov_b32_e32 v61, v57
.LBB5_26:                               ;   in Loop: Header=BB5_2 Depth=1
	s_or_b32 exec_lo, exec_lo, s7
	v_add_nc_u32_e32 v65, 1, v63
	v_add_nc_u32_e32 v66, 1, v62
	s_wait_dscnt 0x0
	v_cmp_lt_i32_e64 s7, v64, v61
	v_cndmask_b32_e64 v59, v59, v60, s5
	s_wait_loadcnt 0x0
	v_cndmask_b32_e64 v65, v65, v63, s6
	v_cndmask_b32_e64 v63, v63, v62, s6
	v_cndmask_b32_e64 v62, v62, v66, s6
	s_barrier_signal -1
	s_barrier_wait -1
	v_cmp_ge_i32_e64 s8, v65, v15
	global_inv scope:SCOPE_SE
	v_cmp_lt_i32_e64 s9, v62, v16
	ds_store_2addr_b32 v1, v52, v53 offset1:1
	ds_store_b32 v1, v54 offset:8
	v_lshlrev_b32_e32 v52, 2, v59
	s_or_b32 s7, s8, s7
	v_lshlrev_b32_e32 v53, 2, v63
	s_wait_alu 0xfffe
	s_and_b32 s7, s9, s7
	s_wait_loadcnt_dscnt 0x0
	s_wait_alu 0xfffe
	v_cndmask_b32_e64 v60, v61, v64, s7
	v_cndmask_b32_e64 v61, v65, v62, s7
	s_barrier_signal -1
	s_barrier_wait -1
	global_inv scope:SCOPE_SE
	v_cndmask_b32_e64 v57, v57, v58, s6
	v_lshlrev_b32_e32 v54, 2, v61
	v_cndmask_b32_e64 v55, v55, v56, s5
	ds_load_b32 v52, v52
	ds_load_b32 v53, v53
	;; [unrolled: 1-line block ×3, first 2 shown]
	s_wait_loadcnt_dscnt 0x0
	s_barrier_signal -1
	s_barrier_wait -1
	global_inv scope:SCOPE_SE
	ds_store_2addr_b32 v1, v55, v57 offset1:1
	ds_store_b32 v1, v60 offset:8
	v_mov_b32_e32 v57, v48
	s_wait_loadcnt_dscnt 0x0
	s_barrier_signal -1
	s_barrier_wait -1
	global_inv scope:SCOPE_SE
	s_and_saveexec_b32 s6, s2
	s_cbranch_execz .LBB5_30
; %bb.27:                               ;   in Loop: Header=BB5_2 Depth=1
	v_mov_b32_e32 v57, v48
	v_mov_b32_e32 v55, v43
	s_mov_b32 s7, 0
.LBB5_28:                               ;   Parent Loop BB5_2 Depth=1
                                        ; =>  This Inner Loop Header: Depth=2
	s_delay_alu instid0(VALU_DEP_1) | instskip(NEXT) | instid1(VALU_DEP_1)
	v_sub_nc_u32_e32 v56, v55, v57
	v_lshrrev_b32_e32 v56, 1, v56
	s_delay_alu instid0(VALU_DEP_1) | instskip(NEXT) | instid1(VALU_DEP_1)
	v_add_nc_u32_e32 v56, v56, v57
	v_not_b32_e32 v58, v56
	v_lshl_add_u32 v59, v56, 2, v20
	v_add_nc_u32_e32 v60, 1, v56
	s_delay_alu instid0(VALU_DEP_3)
	v_lshl_add_u32 v58, v58, 2, v29
	ds_load_b32 v59, v59
	ds_load_b32 v58, v58 offset:48
	s_wait_dscnt 0x0
	v_cmp_lt_i32_e64 s5, v58, v59
	s_wait_alu 0xf1ff
	s_delay_alu instid0(VALU_DEP_1) | instskip(SKIP_1) | instid1(VALU_DEP_1)
	v_cndmask_b32_e64 v55, v55, v56, s5
	v_cndmask_b32_e64 v57, v60, v57, s5
	v_cmp_ge_i32_e64 s5, v57, v55
	s_wait_alu 0xfffe
	s_or_b32 s7, s5, s7
	s_wait_alu 0xfffe
	s_and_not1_b32 exec_lo, exec_lo, s7
	s_cbranch_execnz .LBB5_28
; %bb.29:                               ;   in Loop: Header=BB5_2 Depth=1
	s_or_b32 exec_lo, exec_lo, s7
.LBB5_30:                               ;   in Loop: Header=BB5_2 Depth=1
	s_wait_alu 0xfffe
	s_or_b32 exec_lo, exec_lo, s6
	v_sub_nc_u32_e32 v55, v34, v57
	v_lshl_add_u32 v58, v57, 2, v20
	v_add_nc_u32_e32 v59, v57, v9
	v_sub_nc_u32_e32 v60, v38, v57
                                        ; implicit-def: $vgpr57
	s_delay_alu instid0(VALU_DEP_4)
	v_lshlrev_b32_e32 v61, 2, v55
	ds_load_b32 v55, v58
	ds_load_b32 v56, v61 offset:48
	v_cmp_le_i32_e64 s5, v18, v59
	v_cmp_gt_i32_e64 s7, v19, v60
	s_wait_dscnt 0x0
	v_cmp_lt_i32_e64 s6, v56, v55
	s_or_b32 s5, s5, s6
	s_wait_alu 0xfffe
	s_and_b32 s5, s7, s5
	s_wait_alu 0xfffe
	s_xor_b32 s6, s5, -1
	s_wait_alu 0xfffe
	s_and_saveexec_b32 s7, s6
	s_wait_alu 0xfffe
	s_xor_b32 s6, exec_lo, s7
; %bb.31:                               ;   in Loop: Header=BB5_2 Depth=1
	ds_load_b32 v57, v58 offset:4
                                        ; implicit-def: $vgpr61
; %bb.32:                               ;   in Loop: Header=BB5_2 Depth=1
	s_wait_alu 0xfffe
	s_or_saveexec_b32 s6, s6
	v_mov_b32_e32 v58, v56
	s_wait_alu 0xfffe
	s_xor_b32 exec_lo, exec_lo, s6
	s_cbranch_execz .LBB5_34
; %bb.33:                               ;   in Loop: Header=BB5_2 Depth=1
	ds_load_b32 v58, v61 offset:52
	s_wait_dscnt 0x1
	v_mov_b32_e32 v57, v55
.LBB5_34:                               ;   in Loop: Header=BB5_2 Depth=1
	s_or_b32 exec_lo, exec_lo, s6
	v_add_nc_u32_e32 v61, 1, v59
	v_add_nc_u32_e32 v62, 1, v60
	s_wait_dscnt 0x0
	v_cmp_lt_i32_e64 s7, v58, v57
	s_delay_alu instid0(VALU_DEP_3) | instskip(NEXT) | instid1(VALU_DEP_3)
	v_cndmask_b32_e64 v63, v61, v59, s5
	v_cndmask_b32_e64 v62, v60, v62, s5
                                        ; implicit-def: $vgpr61
	s_delay_alu instid0(VALU_DEP_2) | instskip(NEXT) | instid1(VALU_DEP_2)
	v_cmp_ge_i32_e64 s6, v63, v18
	v_cmp_lt_i32_e64 s8, v62, v19
	s_or_b32 s6, s6, s7
	s_wait_alu 0xfffe
	s_and_b32 s6, s8, s6
	s_wait_alu 0xfffe
	s_xor_b32 s7, s6, -1
	s_wait_alu 0xfffe
	s_and_saveexec_b32 s8, s7
	s_wait_alu 0xfffe
	s_xor_b32 s7, exec_lo, s8
; %bb.35:                               ;   in Loop: Header=BB5_2 Depth=1
	v_lshlrev_b32_e32 v61, 2, v63
	ds_load_b32 v61, v61 offset:4
; %bb.36:                               ;   in Loop: Header=BB5_2 Depth=1
	s_wait_alu 0xfffe
	s_or_saveexec_b32 s7, s7
	v_mov_b32_e32 v64, v58
	s_wait_alu 0xfffe
	s_xor_b32 exec_lo, exec_lo, s7
	s_cbranch_execz .LBB5_38
; %bb.37:                               ;   in Loop: Header=BB5_2 Depth=1
	s_wait_dscnt 0x0
	v_lshlrev_b32_e32 v61, 2, v62
	ds_load_b32 v64, v61 offset:4
	v_mov_b32_e32 v61, v57
.LBB5_38:                               ;   in Loop: Header=BB5_2 Depth=1
	s_or_b32 exec_lo, exec_lo, s7
	v_add_nc_u32_e32 v65, 1, v63
	v_add_nc_u32_e32 v66, 1, v62
	s_wait_dscnt 0x0
	v_cmp_lt_i32_e64 s7, v64, v61
	v_cndmask_b32_e64 v59, v59, v60, s5
	s_wait_loadcnt 0x0
	v_cndmask_b32_e64 v65, v65, v63, s6
	v_cndmask_b32_e64 v63, v63, v62, s6
	;; [unrolled: 1-line block ×3, first 2 shown]
	s_barrier_signal -1
	s_barrier_wait -1
	v_cmp_ge_i32_e64 s8, v65, v18
	global_inv scope:SCOPE_SE
	v_cmp_lt_i32_e64 s9, v62, v19
	ds_store_2addr_b32 v1, v52, v53 offset1:1
	ds_store_b32 v1, v54 offset:8
	v_lshlrev_b32_e32 v52, 2, v59
	s_or_b32 s7, s8, s7
	v_lshlrev_b32_e32 v53, 2, v63
	s_wait_alu 0xfffe
	s_and_b32 s7, s9, s7
	s_wait_loadcnt_dscnt 0x0
	s_wait_alu 0xfffe
	v_cndmask_b32_e64 v60, v61, v64, s7
	v_cndmask_b32_e64 v61, v65, v62, s7
	s_barrier_signal -1
	s_barrier_wait -1
	global_inv scope:SCOPE_SE
	v_cndmask_b32_e64 v57, v57, v58, s6
	v_lshlrev_b32_e32 v54, 2, v61
	v_cndmask_b32_e64 v55, v55, v56, s5
	ds_load_b32 v52, v52
	ds_load_b32 v53, v53
	;; [unrolled: 1-line block ×3, first 2 shown]
	s_wait_loadcnt_dscnt 0x0
	s_barrier_signal -1
	s_barrier_wait -1
	global_inv scope:SCOPE_SE
	ds_store_2addr_b32 v1, v55, v57 offset1:1
	ds_store_b32 v1, v60 offset:8
	v_mov_b32_e32 v57, v49
	s_wait_loadcnt_dscnt 0x0
	s_barrier_signal -1
	s_barrier_wait -1
	global_inv scope:SCOPE_SE
	s_and_saveexec_b32 s6, s3
	s_cbranch_execz .LBB5_42
; %bb.39:                               ;   in Loop: Header=BB5_2 Depth=1
	v_mov_b32_e32 v57, v49
	v_mov_b32_e32 v55, v44
	s_mov_b32 s7, 0
.LBB5_40:                               ;   Parent Loop BB5_2 Depth=1
                                        ; =>  This Inner Loop Header: Depth=2
	s_delay_alu instid0(VALU_DEP_1) | instskip(NEXT) | instid1(VALU_DEP_1)
	v_sub_nc_u32_e32 v56, v55, v57
	v_lshrrev_b32_e32 v56, 1, v56
	s_delay_alu instid0(VALU_DEP_1) | instskip(NEXT) | instid1(VALU_DEP_1)
	v_add_nc_u32_e32 v56, v56, v57
	v_not_b32_e32 v58, v56
	v_lshl_add_u32 v59, v56, 2, v23
	v_add_nc_u32_e32 v60, 1, v56
	s_delay_alu instid0(VALU_DEP_3)
	v_lshl_add_u32 v58, v58, 2, v30
	ds_load_b32 v59, v59
	ds_load_b32 v58, v58 offset:96
	s_wait_dscnt 0x0
	v_cmp_lt_i32_e64 s5, v58, v59
	s_wait_alu 0xf1ff
	s_delay_alu instid0(VALU_DEP_1) | instskip(SKIP_1) | instid1(VALU_DEP_1)
	v_cndmask_b32_e64 v55, v55, v56, s5
	v_cndmask_b32_e64 v57, v60, v57, s5
	v_cmp_ge_i32_e64 s5, v57, v55
	s_wait_alu 0xfffe
	s_or_b32 s7, s5, s7
	s_wait_alu 0xfffe
	s_and_not1_b32 exec_lo, exec_lo, s7
	s_cbranch_execnz .LBB5_40
; %bb.41:                               ;   in Loop: Header=BB5_2 Depth=1
	s_or_b32 exec_lo, exec_lo, s7
.LBB5_42:                               ;   in Loop: Header=BB5_2 Depth=1
	s_wait_alu 0xfffe
	s_or_b32 exec_lo, exec_lo, s6
	v_sub_nc_u32_e32 v55, v35, v57
	v_lshl_add_u32 v58, v57, 2, v23
	v_add_nc_u32_e32 v59, v57, v10
	v_sub_nc_u32_e32 v60, v39, v57
                                        ; implicit-def: $vgpr57
	s_delay_alu instid0(VALU_DEP_4)
	v_lshlrev_b32_e32 v61, 2, v55
	ds_load_b32 v55, v58
	ds_load_b32 v56, v61 offset:96
	v_cmp_le_i32_e64 s5, v21, v59
	v_cmp_gt_i32_e64 s7, v22, v60
	s_wait_dscnt 0x0
	v_cmp_lt_i32_e64 s6, v56, v55
	s_or_b32 s5, s5, s6
	s_wait_alu 0xfffe
	s_and_b32 s5, s7, s5
	s_wait_alu 0xfffe
	s_xor_b32 s6, s5, -1
	s_wait_alu 0xfffe
	s_and_saveexec_b32 s7, s6
	s_wait_alu 0xfffe
	s_xor_b32 s6, exec_lo, s7
; %bb.43:                               ;   in Loop: Header=BB5_2 Depth=1
	ds_load_b32 v57, v58 offset:4
                                        ; implicit-def: $vgpr61
; %bb.44:                               ;   in Loop: Header=BB5_2 Depth=1
	s_wait_alu 0xfffe
	s_or_saveexec_b32 s6, s6
	v_mov_b32_e32 v58, v56
	s_wait_alu 0xfffe
	s_xor_b32 exec_lo, exec_lo, s6
	s_cbranch_execz .LBB5_46
; %bb.45:                               ;   in Loop: Header=BB5_2 Depth=1
	ds_load_b32 v58, v61 offset:100
	s_wait_dscnt 0x1
	v_mov_b32_e32 v57, v55
.LBB5_46:                               ;   in Loop: Header=BB5_2 Depth=1
	s_or_b32 exec_lo, exec_lo, s6
	v_add_nc_u32_e32 v61, 1, v59
	v_add_nc_u32_e32 v62, 1, v60
	s_wait_dscnt 0x0
	v_cmp_lt_i32_e64 s7, v58, v57
	s_delay_alu instid0(VALU_DEP_3) | instskip(NEXT) | instid1(VALU_DEP_3)
	v_cndmask_b32_e64 v63, v61, v59, s5
	v_cndmask_b32_e64 v62, v60, v62, s5
                                        ; implicit-def: $vgpr61
	s_delay_alu instid0(VALU_DEP_2) | instskip(NEXT) | instid1(VALU_DEP_2)
	v_cmp_ge_i32_e64 s6, v63, v21
	v_cmp_lt_i32_e64 s8, v62, v22
	s_or_b32 s6, s6, s7
	s_wait_alu 0xfffe
	s_and_b32 s6, s8, s6
	s_wait_alu 0xfffe
	s_xor_b32 s7, s6, -1
	s_wait_alu 0xfffe
	s_and_saveexec_b32 s8, s7
	s_wait_alu 0xfffe
	s_xor_b32 s7, exec_lo, s8
; %bb.47:                               ;   in Loop: Header=BB5_2 Depth=1
	v_lshlrev_b32_e32 v61, 2, v63
	ds_load_b32 v61, v61 offset:4
; %bb.48:                               ;   in Loop: Header=BB5_2 Depth=1
	s_wait_alu 0xfffe
	s_or_saveexec_b32 s7, s7
	v_mov_b32_e32 v64, v58
	s_wait_alu 0xfffe
	s_xor_b32 exec_lo, exec_lo, s7
	s_cbranch_execz .LBB5_50
; %bb.49:                               ;   in Loop: Header=BB5_2 Depth=1
	s_wait_dscnt 0x0
	v_lshlrev_b32_e32 v61, 2, v62
	ds_load_b32 v64, v61 offset:4
	v_mov_b32_e32 v61, v57
.LBB5_50:                               ;   in Loop: Header=BB5_2 Depth=1
	s_or_b32 exec_lo, exec_lo, s7
	v_add_nc_u32_e32 v65, 1, v63
	v_add_nc_u32_e32 v66, 1, v62
	v_cndmask_b32_e64 v57, v57, v58, s6
	v_mov_b32_e32 v58, v50
	s_wait_dscnt 0x0
	v_cmp_lt_i32_e64 s7, v64, v61
	v_cndmask_b32_e64 v65, v65, v63, s6
	v_cndmask_b32_e64 v63, v63, v62, s6
	;; [unrolled: 1-line block ×4, first 2 shown]
	s_wait_loadcnt 0x0
	v_cmp_ge_i32_e64 s8, v65, v21
	s_barrier_signal -1
	v_cmp_lt_i32_e64 s9, v62, v22
	s_barrier_wait -1
	global_inv scope:SCOPE_SE
	s_or_b32 s7, s8, s7
	ds_store_2addr_b32 v1, v52, v53 offset1:1
	ds_store_b32 v1, v54 offset:8
	s_wait_alu 0xfffe
	s_and_b32 s7, s9, s7
	v_lshlrev_b32_e32 v52, 2, v59
	s_wait_alu 0xfffe
	v_cndmask_b32_e64 v60, v61, v64, s7
	v_cndmask_b32_e64 v61, v65, v62, s7
	v_lshlrev_b32_e32 v53, 2, v63
	s_wait_loadcnt_dscnt 0x0
	s_barrier_signal -1
	s_barrier_wait -1
	v_lshlrev_b32_e32 v54, 2, v61
	global_inv scope:SCOPE_SE
	ds_load_b32 v52, v52
	ds_load_b32 v53, v53
	;; [unrolled: 1-line block ×3, first 2 shown]
	v_cndmask_b32_e64 v55, v55, v56, s5
	s_wait_loadcnt_dscnt 0x0
	s_barrier_signal -1
	s_barrier_wait -1
	global_inv scope:SCOPE_SE
	ds_store_2addr_b32 v1, v55, v57 offset1:1
	ds_store_b32 v1, v60 offset:8
	s_wait_loadcnt_dscnt 0x0
	s_barrier_signal -1
	s_barrier_wait -1
	global_inv scope:SCOPE_SE
	s_and_saveexec_b32 s6, s4
	s_cbranch_execz .LBB5_54
; %bb.51:                               ;   in Loop: Header=BB5_2 Depth=1
	v_dual_mov_b32 v58, v50 :: v_dual_mov_b32 v55, v45
	s_mov_b32 s7, 0
.LBB5_52:                               ;   Parent Loop BB5_2 Depth=1
                                        ; =>  This Inner Loop Header: Depth=2
	s_delay_alu instid0(VALU_DEP_1) | instskip(NEXT) | instid1(VALU_DEP_1)
	v_sub_nc_u32_e32 v56, v55, v58
	v_lshrrev_b32_e32 v56, 1, v56
	s_delay_alu instid0(VALU_DEP_1) | instskip(NEXT) | instid1(VALU_DEP_1)
	v_add_nc_u32_e32 v56, v56, v58
	v_not_b32_e32 v57, v56
	v_lshl_add_u32 v59, v56, 2, v26
	v_add_nc_u32_e32 v60, 1, v56
	s_delay_alu instid0(VALU_DEP_3)
	v_lshl_add_u32 v57, v57, 2, v31
	ds_load_b32 v59, v59
	ds_load_b32 v57, v57 offset:192
	s_wait_dscnt 0x0
	v_cmp_lt_i32_e64 s5, v57, v59
	s_wait_alu 0xf1ff
	s_delay_alu instid0(VALU_DEP_1) | instskip(SKIP_1) | instid1(VALU_DEP_1)
	v_cndmask_b32_e64 v55, v55, v56, s5
	v_cndmask_b32_e64 v58, v60, v58, s5
	v_cmp_ge_i32_e64 s5, v58, v55
	s_wait_alu 0xfffe
	s_or_b32 s7, s5, s7
	s_wait_alu 0xfffe
	s_and_not1_b32 exec_lo, exec_lo, s7
	s_cbranch_execnz .LBB5_52
; %bb.53:                               ;   in Loop: Header=BB5_2 Depth=1
	s_or_b32 exec_lo, exec_lo, s7
.LBB5_54:                               ;   in Loop: Header=BB5_2 Depth=1
	s_wait_alu 0xfffe
	s_or_b32 exec_lo, exec_lo, s6
	v_sub_nc_u32_e32 v55, v51, v58
	v_lshl_add_u32 v59, v58, 2, v26
	v_sub_nc_u32_e32 v60, v40, v58
	s_delay_alu instid0(VALU_DEP_3) | instskip(SKIP_1) | instid1(VALU_DEP_3)
	v_lshlrev_b32_e32 v61, 2, v55
	v_add_nc_u32_e32 v55, v58, v11
	v_cmp_gt_i32_e64 s7, v25, v60
                                        ; implicit-def: $vgpr58
	ds_load_b32 v56, v59
	ds_load_b32 v57, v61 offset:192
	v_cmp_le_i32_e64 s5, v24, v55
	s_wait_dscnt 0x0
	v_cmp_lt_i32_e64 s6, v57, v56
	s_or_b32 s5, s5, s6
	s_wait_alu 0xfffe
	s_and_b32 s5, s7, s5
	s_wait_alu 0xfffe
	s_xor_b32 s6, s5, -1
	s_wait_alu 0xfffe
	s_and_saveexec_b32 s7, s6
	s_wait_alu 0xfffe
	s_xor_b32 s6, exec_lo, s7
; %bb.55:                               ;   in Loop: Header=BB5_2 Depth=1
	ds_load_b32 v58, v59 offset:4
                                        ; implicit-def: $vgpr61
; %bb.56:                               ;   in Loop: Header=BB5_2 Depth=1
	s_wait_alu 0xfffe
	s_or_saveexec_b32 s6, s6
	v_mov_b32_e32 v59, v57
	s_wait_alu 0xfffe
	s_xor_b32 exec_lo, exec_lo, s6
	s_cbranch_execz .LBB5_58
; %bb.57:                               ;   in Loop: Header=BB5_2 Depth=1
	ds_load_b32 v59, v61 offset:196
	s_wait_dscnt 0x1
	v_mov_b32_e32 v58, v56
.LBB5_58:                               ;   in Loop: Header=BB5_2 Depth=1
	s_or_b32 exec_lo, exec_lo, s6
	v_add_nc_u32_e32 v61, 1, v55
	v_add_nc_u32_e32 v62, 1, v60
	s_wait_dscnt 0x0
	v_cmp_lt_i32_e64 s7, v59, v58
	s_delay_alu instid0(VALU_DEP_3) | instskip(NEXT) | instid1(VALU_DEP_3)
	v_cndmask_b32_e64 v63, v61, v55, s5
	v_cndmask_b32_e64 v62, v60, v62, s5
                                        ; implicit-def: $vgpr61
	s_delay_alu instid0(VALU_DEP_2) | instskip(NEXT) | instid1(VALU_DEP_2)
	v_cmp_ge_i32_e64 s6, v63, v24
	v_cmp_lt_i32_e64 s8, v62, v25
	s_or_b32 s6, s6, s7
	s_wait_alu 0xfffe
	s_and_b32 s6, s8, s6
	s_wait_alu 0xfffe
	s_xor_b32 s7, s6, -1
	s_wait_alu 0xfffe
	s_and_saveexec_b32 s8, s7
	s_wait_alu 0xfffe
	s_xor_b32 s7, exec_lo, s8
; %bb.59:                               ;   in Loop: Header=BB5_2 Depth=1
	v_lshlrev_b32_e32 v61, 2, v63
	ds_load_b32 v61, v61 offset:4
; %bb.60:                               ;   in Loop: Header=BB5_2 Depth=1
	s_wait_alu 0xfffe
	s_or_saveexec_b32 s7, s7
	v_mov_b32_e32 v64, v59
	s_wait_alu 0xfffe
	s_xor_b32 exec_lo, exec_lo, s7
	s_cbranch_execz .LBB5_62
; %bb.61:                               ;   in Loop: Header=BB5_2 Depth=1
	s_wait_dscnt 0x0
	v_lshlrev_b32_e32 v61, 2, v62
	ds_load_b32 v64, v61 offset:4
	v_mov_b32_e32 v61, v58
.LBB5_62:                               ;   in Loop: Header=BB5_2 Depth=1
	s_or_b32 exec_lo, exec_lo, s7
	v_add_nc_u32_e32 v65, 1, v63
	v_add_nc_u32_e32 v66, 1, v62
	s_wait_dscnt 0x0
	v_cmp_lt_i32_e64 s7, v64, v61
	v_cndmask_b32_e64 v55, v55, v60, s5
	s_wait_loadcnt 0x0
	v_cndmask_b32_e64 v65, v65, v63, s6
	v_cndmask_b32_e64 v63, v63, v62, s6
	v_cndmask_b32_e64 v62, v62, v66, s6
	s_barrier_signal -1
	s_barrier_wait -1
	v_cmp_ge_i32_e64 s8, v65, v24
	global_inv scope:SCOPE_SE
	v_cmp_lt_i32_e64 s9, v62, v25
	ds_store_2addr_b32 v1, v52, v53 offset1:1
	ds_store_b32 v1, v54 offset:8
	v_lshlrev_b32_e32 v52, 2, v55
	s_or_b32 s7, s8, s7
	v_lshlrev_b32_e32 v54, 2, v63
	s_wait_alu 0xfffe
	s_and_b32 s7, s9, s7
	s_wait_loadcnt_dscnt 0x0
	s_wait_alu 0xfffe
	v_cndmask_b32_e64 v60, v61, v64, s7
	v_cndmask_b32_e64 v61, v65, v62, s7
	s_barrier_signal -1
	s_barrier_wait -1
	global_inv scope:SCOPE_SE
	v_cndmask_b32_e64 v56, v56, v57, s5
	v_lshlrev_b32_e32 v55, 2, v61
	ds_load_b32 v53, v52
	ds_load_b32 v54, v54
	;; [unrolled: 1-line block ×3, first 2 shown]
	v_cndmask_b32_e64 v52, v58, v59, s6
	s_wait_loadcnt_dscnt 0x0
	s_barrier_signal -1
	s_barrier_wait -1
	global_inv scope:SCOPE_SE
	ds_store_2addr_b32 v1, v56, v52 offset1:1
	ds_store_b32 v1, v60 offset:8
	v_mov_b32_e32 v52, v4
	s_wait_loadcnt_dscnt 0x0
	s_barrier_signal -1
	s_barrier_wait -1
	global_inv scope:SCOPE_SE
	s_and_saveexec_b32 s6, vcc_lo
	s_cbranch_execz .LBB5_66
; %bb.63:                               ;   in Loop: Header=BB5_2 Depth=1
	v_mov_b32_e32 v52, v4
	v_mov_b32_e32 v56, v5
	s_mov_b32 s7, 0
.LBB5_64:                               ;   Parent Loop BB5_2 Depth=1
                                        ; =>  This Inner Loop Header: Depth=2
	s_delay_alu instid0(VALU_DEP_1) | instskip(NEXT) | instid1(VALU_DEP_1)
	v_sub_nc_u32_e32 v57, v56, v52
	v_lshrrev_b32_e32 v57, 1, v57
	s_delay_alu instid0(VALU_DEP_1) | instskip(NEXT) | instid1(VALU_DEP_1)
	v_add_nc_u32_e32 v57, v57, v52
	v_not_b32_e32 v58, v57
	v_lshlrev_b32_e32 v59, 2, v57
	v_add_nc_u32_e32 v60, 1, v57
	s_delay_alu instid0(VALU_DEP_3)
	v_lshl_add_u32 v58, v58, 2, v6
	ds_load_b32 v59, v59
	ds_load_b32 v58, v58 offset:384
	s_wait_dscnt 0x0
	v_cmp_lt_i32_e64 s5, v58, v59
	s_wait_alu 0xf1ff
	s_delay_alu instid0(VALU_DEP_1) | instskip(SKIP_1) | instid1(VALU_DEP_1)
	v_cndmask_b32_e64 v56, v56, v57, s5
	v_cndmask_b32_e64 v52, v60, v52, s5
	v_cmp_ge_i32_e64 s5, v52, v56
	s_wait_alu 0xfffe
	s_or_b32 s7, s5, s7
	s_wait_alu 0xfffe
	s_and_not1_b32 exec_lo, exec_lo, s7
	s_cbranch_execnz .LBB5_64
; %bb.65:                               ;   in Loop: Header=BB5_2 Depth=1
	s_or_b32 exec_lo, exec_lo, s7
.LBB5_66:                               ;   in Loop: Header=BB5_2 Depth=1
	s_wait_alu 0xfffe
	s_or_b32 exec_lo, exec_lo, s6
	v_sub_nc_u32_e32 v56, v2, v52
	v_lshlrev_b32_e32 v61, 2, v52
	v_cmp_le_i32_e64 s5, 0x60, v52
                                        ; implicit-def: $vgpr60
	s_delay_alu instid0(VALU_DEP_3)
	v_lshlrev_b32_e32 v57, 2, v56
	v_sub_nc_u32_e32 v56, v3, v52
	ds_load_b32 v58, v61
	ds_load_b32 v59, v57 offset:384
	v_cmp_gt_i32_e64 s7, 0xc0, v56
	s_wait_dscnt 0x0
	v_cmp_lt_i32_e64 s6, v59, v58
	s_or_b32 s5, s5, s6
	s_wait_alu 0xfffe
	s_and_b32 s5, s7, s5
	s_wait_alu 0xfffe
	s_xor_b32 s6, s5, -1
	s_wait_alu 0xfffe
	s_and_saveexec_b32 s7, s6
	s_wait_alu 0xfffe
	s_xor_b32 s6, exec_lo, s7
; %bb.67:                               ;   in Loop: Header=BB5_2 Depth=1
	ds_load_b32 v60, v61 offset:4
                                        ; implicit-def: $vgpr57
; %bb.68:                               ;   in Loop: Header=BB5_2 Depth=1
	s_wait_alu 0xfffe
	s_or_saveexec_b32 s6, s6
	v_mov_b32_e32 v61, v59
	s_wait_alu 0xfffe
	s_xor_b32 exec_lo, exec_lo, s6
	s_cbranch_execz .LBB5_70
; %bb.69:                               ;   in Loop: Header=BB5_2 Depth=1
	ds_load_b32 v61, v57 offset:388
	s_wait_dscnt 0x1
	v_mov_b32_e32 v60, v58
.LBB5_70:                               ;   in Loop: Header=BB5_2 Depth=1
	s_or_b32 exec_lo, exec_lo, s6
	v_add_nc_u32_e32 v57, 1, v52
	v_add_nc_u32_e32 v62, 1, v56
	s_wait_dscnt 0x0
	v_cmp_lt_i32_e64 s7, v61, v60
                                        ; implicit-def: $vgpr63
	s_delay_alu instid0(VALU_DEP_3) | instskip(NEXT) | instid1(VALU_DEP_3)
	v_cndmask_b32_e64 v65, v57, v52, s5
	v_cndmask_b32_e64 v57, v56, v62, s5
                                        ; implicit-def: $vgpr62
	s_delay_alu instid0(VALU_DEP_2) | instskip(NEXT) | instid1(VALU_DEP_2)
	v_cmp_le_i32_e64 s6, 0x60, v65
	v_cmp_gt_i32_e64 s8, 0xc0, v57
	s_or_b32 s6, s6, s7
	s_wait_alu 0xfffe
	s_and_b32 s6, s8, s6
	s_wait_alu 0xfffe
	s_xor_b32 s7, s6, -1
	s_wait_alu 0xfffe
	s_and_saveexec_b32 s8, s7
	s_wait_alu 0xfffe
	s_xor_b32 s7, exec_lo, s8
; %bb.71:                               ;   in Loop: Header=BB5_2 Depth=1
	v_lshlrev_b32_e32 v62, 2, v65
	ds_load_b32 v63, v62 offset:4
	v_add_nc_u32_e32 v62, 1, v65
; %bb.72:                               ;   in Loop: Header=BB5_2 Depth=1
	s_wait_alu 0xfffe
	s_or_saveexec_b32 s7, s7
	v_mov_b32_e32 v64, v65
	v_mov_b32_e32 v66, v61
	s_wait_alu 0xfffe
	s_xor_b32 exec_lo, exec_lo, s7
	s_cbranch_execz .LBB5_1
; %bb.73:                               ;   in Loop: Header=BB5_2 Depth=1
	s_wait_dscnt 0x0
	v_dual_mov_b32 v64, v57 :: v_dual_add_nc_u32 v63, 1, v57
	s_delay_alu instid0(VALU_DEP_1)
	v_dual_mov_b32 v57, v63 :: v_dual_lshlrev_b32 v62, 2, v57
	v_mov_b32_e32 v63, v60
	ds_load_b32 v66, v62 offset:4
	v_mov_b32_e32 v62, v65
	s_branch .LBB5_1
.LBB5_74:
	s_wait_dscnt 0x2
	v_add_nc_u32_e32 v1, v54, v57
	v_lshlrev_b32_e32 v0, 2, v0
	s_wait_dscnt 0x1
	v_add_nc_u32_e32 v2, v53, v56
	s_wait_dscnt 0x0
	v_add_nc_u32_e32 v3, v52, v55
	s_add_nc_u64 s[0:1], s[14:15], s[16:17]
	s_clause 0x2
	global_store_b32 v0, v1, s[0:1]
	global_store_b32 v0, v2, s[0:1] offset:256
	global_store_b32 v0, v3, s[0:1] offset:512
	s_endpgm
	.section	.rodata,"a",@progbits
	.p2align	6, 0x0
	.amdhsa_kernel _Z17sort_pairs_kernelIiLj64ELj3EN10test_utils4lessELj10EEvPKT_PS2_T2_
		.amdhsa_group_segment_fixed_size 772
		.amdhsa_private_segment_fixed_size 0
		.amdhsa_kernarg_size 20
		.amdhsa_user_sgpr_count 2
		.amdhsa_user_sgpr_dispatch_ptr 0
		.amdhsa_user_sgpr_queue_ptr 0
		.amdhsa_user_sgpr_kernarg_segment_ptr 1
		.amdhsa_user_sgpr_dispatch_id 0
		.amdhsa_user_sgpr_private_segment_size 0
		.amdhsa_wavefront_size32 1
		.amdhsa_uses_dynamic_stack 0
		.amdhsa_enable_private_segment 0
		.amdhsa_system_sgpr_workgroup_id_x 1
		.amdhsa_system_sgpr_workgroup_id_y 0
		.amdhsa_system_sgpr_workgroup_id_z 0
		.amdhsa_system_sgpr_workgroup_info 0
		.amdhsa_system_vgpr_workitem_id 0
		.amdhsa_next_free_vgpr 68
		.amdhsa_next_free_sgpr 20
		.amdhsa_reserve_vcc 1
		.amdhsa_float_round_mode_32 0
		.amdhsa_float_round_mode_16_64 0
		.amdhsa_float_denorm_mode_32 3
		.amdhsa_float_denorm_mode_16_64 3
		.amdhsa_fp16_overflow 0
		.amdhsa_workgroup_processor_mode 1
		.amdhsa_memory_ordered 1
		.amdhsa_forward_progress 1
		.amdhsa_inst_pref_size 44
		.amdhsa_round_robin_scheduling 0
		.amdhsa_exception_fp_ieee_invalid_op 0
		.amdhsa_exception_fp_denorm_src 0
		.amdhsa_exception_fp_ieee_div_zero 0
		.amdhsa_exception_fp_ieee_overflow 0
		.amdhsa_exception_fp_ieee_underflow 0
		.amdhsa_exception_fp_ieee_inexact 0
		.amdhsa_exception_int_div_zero 0
	.end_amdhsa_kernel
	.section	.text._Z17sort_pairs_kernelIiLj64ELj3EN10test_utils4lessELj10EEvPKT_PS2_T2_,"axG",@progbits,_Z17sort_pairs_kernelIiLj64ELj3EN10test_utils4lessELj10EEvPKT_PS2_T2_,comdat
.Lfunc_end5:
	.size	_Z17sort_pairs_kernelIiLj64ELj3EN10test_utils4lessELj10EEvPKT_PS2_T2_, .Lfunc_end5-_Z17sort_pairs_kernelIiLj64ELj3EN10test_utils4lessELj10EEvPKT_PS2_T2_
                                        ; -- End function
	.set _Z17sort_pairs_kernelIiLj64ELj3EN10test_utils4lessELj10EEvPKT_PS2_T2_.num_vgpr, 68
	.set _Z17sort_pairs_kernelIiLj64ELj3EN10test_utils4lessELj10EEvPKT_PS2_T2_.num_agpr, 0
	.set _Z17sort_pairs_kernelIiLj64ELj3EN10test_utils4lessELj10EEvPKT_PS2_T2_.numbered_sgpr, 20
	.set _Z17sort_pairs_kernelIiLj64ELj3EN10test_utils4lessELj10EEvPKT_PS2_T2_.num_named_barrier, 0
	.set _Z17sort_pairs_kernelIiLj64ELj3EN10test_utils4lessELj10EEvPKT_PS2_T2_.private_seg_size, 0
	.set _Z17sort_pairs_kernelIiLj64ELj3EN10test_utils4lessELj10EEvPKT_PS2_T2_.uses_vcc, 1
	.set _Z17sort_pairs_kernelIiLj64ELj3EN10test_utils4lessELj10EEvPKT_PS2_T2_.uses_flat_scratch, 0
	.set _Z17sort_pairs_kernelIiLj64ELj3EN10test_utils4lessELj10EEvPKT_PS2_T2_.has_dyn_sized_stack, 0
	.set _Z17sort_pairs_kernelIiLj64ELj3EN10test_utils4lessELj10EEvPKT_PS2_T2_.has_recursion, 0
	.set _Z17sort_pairs_kernelIiLj64ELj3EN10test_utils4lessELj10EEvPKT_PS2_T2_.has_indirect_call, 0
	.section	.AMDGPU.csdata,"",@progbits
; Kernel info:
; codeLenInByte = 5568
; TotalNumSgprs: 22
; NumVgprs: 68
; ScratchSize: 0
; MemoryBound: 0
; FloatMode: 240
; IeeeMode: 1
; LDSByteSize: 772 bytes/workgroup (compile time only)
; SGPRBlocks: 0
; VGPRBlocks: 8
; NumSGPRsForWavesPerEU: 22
; NumVGPRsForWavesPerEU: 68
; Occupancy: 16
; WaveLimiterHint : 1
; COMPUTE_PGM_RSRC2:SCRATCH_EN: 0
; COMPUTE_PGM_RSRC2:USER_SGPR: 2
; COMPUTE_PGM_RSRC2:TRAP_HANDLER: 0
; COMPUTE_PGM_RSRC2:TGID_X_EN: 1
; COMPUTE_PGM_RSRC2:TGID_Y_EN: 0
; COMPUTE_PGM_RSRC2:TGID_Z_EN: 0
; COMPUTE_PGM_RSRC2:TIDIG_COMP_CNT: 0
	.section	.text._Z16sort_keys_kernelIiLj64ELj4EN10test_utils4lessELj10EEvPKT_PS2_T2_,"axG",@progbits,_Z16sort_keys_kernelIiLj64ELj4EN10test_utils4lessELj10EEvPKT_PS2_T2_,comdat
	.protected	_Z16sort_keys_kernelIiLj64ELj4EN10test_utils4lessELj10EEvPKT_PS2_T2_ ; -- Begin function _Z16sort_keys_kernelIiLj64ELj4EN10test_utils4lessELj10EEvPKT_PS2_T2_
	.globl	_Z16sort_keys_kernelIiLj64ELj4EN10test_utils4lessELj10EEvPKT_PS2_T2_
	.p2align	8
	.type	_Z16sort_keys_kernelIiLj64ELj4EN10test_utils4lessELj10EEvPKT_PS2_T2_,@function
_Z16sort_keys_kernelIiLj64ELj4EN10test_utils4lessELj10EEvPKT_PS2_T2_: ; @_Z16sort_keys_kernelIiLj64ELj4EN10test_utils4lessELj10EEvPKT_PS2_T2_
; %bb.0:
	v_lshlrev_b32_e32 v39, 2, v0
	s_load_b128 s[12:15], s[0:1], 0x0
	s_lshl_b32 s10, ttmp9, 8
	s_mov_b32 s11, 0
	v_lshlrev_b32_e32 v5, 4, v0
	v_and_b32_e32 v1, 0xf8, v39
	v_and_b32_e32 v40, 4, v39
	s_lshl_b64 s[16:17], s[10:11], 2
	s_delay_alu instid0(VALU_DEP_3) | instskip(NEXT) | instid1(VALU_DEP_3)
	v_add_nc_u32_e32 v45, 0x200, v5
	v_or_b32_e32 v2, 4, v1
	v_add_nc_u32_e32 v3, 8, v1
	s_delay_alu instid0(VALU_DEP_2) | instskip(NEXT) | instid1(VALU_DEP_2)
	v_sub_nc_u32_e32 v10, v2, v1
	v_sub_nc_u32_e32 v8, v3, v2
	v_add_nc_u32_e32 v12, v2, v40
	s_delay_alu instid0(VALU_DEP_2) | instskip(SKIP_3) | instid1(VALU_DEP_2)
	v_sub_nc_u32_e32 v9, v40, v8
	v_cmp_ge_i32_e32 vcc_lo, v40, v8
	s_wait_kmcnt 0x0
	s_add_nc_u64 s[0:1], s[12:13], s[16:17]
	v_cndmask_b32_e32 v8, 0, v9, vcc_lo
	s_clause 0x3
	global_load_b32 v46, v39, s[0:1]
	global_load_b32 v47, v39, s[0:1] offset:256
	global_load_b32 v48, v39, s[0:1] offset:512
	;; [unrolled: 1-line block ×3, first 2 shown]
	v_and_b32_e32 v11, 0xe0, v39
	v_and_b32_e32 v42, 28, v39
	;; [unrolled: 1-line block ×5, first 2 shown]
	v_or_b32_e32 v13, 16, v11
	v_add_nc_u32_e32 v14, 32, v11
	v_or_b32_e32 v6, 8, v4
	v_add_nc_u32_e32 v7, 16, v4
	;; [unrolled: 2-line block ×3, first 2 shown]
	v_sub_nc_u32_e32 v22, v14, v13
	v_and_b32_e32 v43, 60, v39
	v_sub_nc_u32_e32 v15, v7, v6
	v_and_b32_e32 v44, 0x7c, v39
	v_sub_nc_u32_e32 v28, v21, v20
	v_sub_nc_u32_e32 v23, v42, v22
	v_cmp_ge_i32_e64 s1, v42, v22
	v_sub_nc_u32_e32 v16, v41, v15
	v_sub_nc_u32_e32 v17, v6, v4
	v_cmp_ge_i32_e64 s0, v41, v15
	v_sub_nc_u32_e32 v24, v13, v11
	v_cndmask_b32_e64 v22, 0, v23, s1
	v_and_b32_e32 v23, 0x80, v39
	v_sub_nc_u32_e32 v29, v43, v28
	v_sub_nc_u32_e32 v30, v20, v18
	v_cmp_ge_i32_e64 s2, v43, v28
	v_min_i32_e32 v9, v40, v10
	v_or_b32_e32 v26, 64, v23
	v_add_nc_u32_e32 v27, 0x80, v23
	v_cndmask_b32_e64 v15, 0, v16, s0
	v_min_i32_e32 v16, v41, v17
	v_add_nc_u32_e32 v19, v6, v41
	v_sub_nc_u32_e32 v34, v26, v23
	v_sub_nc_u32_e32 v32, v27, v26
	v_min_i32_e32 v24, v42, v24
	v_cndmask_b32_e64 v28, 0, v29, s2
	v_min_i32_e32 v29, v43, v30
	v_add_nc_u32_e32 v30, v13, v42
	v_sub_nc_u32_e32 v33, v44, v32
	v_cmp_ge_i32_e64 s3, v44, v32
	v_min_i32_e32 v35, 0x80, v39
	v_add_nc_u32_e32 v36, v20, v43
	v_add_nc_u32_e32 v38, v26, v44
	v_lshlrev_b32_e32 v40, 2, v40
	s_wait_alu 0xf1ff
	v_cndmask_b32_e64 v32, 0, v33, s3
	v_min_i32_e32 v33, v44, v34
	v_subrev_nc_u32_e64 v34, 0x80, v39 clamp
	v_lshlrev_b32_e32 v41, 2, v41
	v_lshlrev_b32_e32 v42, 2, v42
	;; [unrolled: 1-line block ×6, first 2 shown]
	v_cmp_lt_i32_e64 s0, v15, v16
	v_lshlrev_b32_e32 v25, 2, v11
	v_cmp_lt_i32_e64 s1, v22, v24
	v_lshlrev_b32_e32 v31, 2, v18
	;; [unrolled: 2-line block ×3, first 2 shown]
	v_cmp_lt_i32_e64 s3, v32, v33
	v_cmp_lt_i32_e64 s4, v34, v35
	v_add_nc_u32_e32 v39, 0x80, v39
	v_lshl_add_u32 v40, v2, 2, v40
	v_lshl_add_u32 v41, v6, 2, v41
	;; [unrolled: 1-line block ×5, first 2 shown]
	v_cmp_lt_i32_e32 vcc_lo, v8, v9
	s_branch .LBB6_2
.LBB6_1:                                ;   in Loop: Header=BB6_2 Depth=1
	s_or_b32 exec_lo, exec_lo, s8
	v_cmp_le_i32_e64 s8, 0x80, v55
	s_wait_dscnt 0x0
	v_cmp_lt_i32_e64 s9, v56, v53
	v_cmp_gt_i32_e64 s10, 0x100, v52
	v_cndmask_b32_e64 v46, v46, v47, s5
	v_cndmask_b32_e64 v47, v48, v49, s6
	;; [unrolled: 1-line block ×3, first 2 shown]
	s_or_b32 s5, s8, s9
	s_add_co_i32 s11, s11, 1
	s_wait_alu 0xfffe
	s_and_b32 s5, s10, s5
	s_cmp_eq_u32 s11, 10
	s_wait_alu 0xfffe
	v_cndmask_b32_e64 v49, v53, v56, s5
	s_cbranch_scc1 .LBB6_98
.LBB6_2:                                ; =>This Loop Header: Depth=1
                                        ;     Child Loop BB6_4 Depth 2
                                        ;     Child Loop BB6_20 Depth 2
	;; [unrolled: 1-line block ×6, first 2 shown]
	s_wait_loadcnt 0x0
	s_delay_alu instid0(VALU_DEP_1)
	v_cmp_lt_i32_e64 s5, v49, v48
	v_cmp_lt_i32_e64 s6, v47, v46
	v_max_i32_e32 v51, v47, v46
	v_min_i32_e32 v53, v49, v48
	s_wait_alu 0xf1ff
	v_cndmask_b32_e64 v52, v49, v48, s5
	v_cndmask_b32_e64 v50, v46, v47, s6
	;; [unrolled: 1-line block ×4, first 2 shown]
	v_min_i32_e32 v46, v47, v46
	v_max_i32_e32 v47, v49, v48
	v_cmp_lt_i32_e64 s5, v53, v51
	v_min_i32_e32 v49, v53, v51
	s_barrier_signal -1
	v_cmp_lt_i32_e64 s6, v53, v46
	v_cmp_gt_i32_e64 s7, v51, v47
	s_wait_alu 0xf1ff
	v_cndmask_b32_e64 v48, v54, v51, s5
	v_max_i32_e32 v54, v53, v51
	v_cndmask_b32_e64 v51, v55, v53, s5
	v_cndmask_b32_e64 v50, v50, v49, s6
	v_cndmask_b32_e64 v49, v49, v46, s6
	s_barrier_wait -1
	v_cndmask_b32_e64 v53, v54, v47, s7
	v_cndmask_b32_e64 v46, v51, v46, s6
	v_cndmask_b32_e64 v47, v48, v47, s7
	v_mov_b32_e32 v48, v8
	v_cndmask_b32_e64 v52, v52, v54, s7
	v_cmp_lt_i32_e64 s5, v53, v49
	global_inv scope:SCOPE_SE
	s_wait_alu 0xf1ff
	v_cndmask_b32_e64 v46, v46, v53, s5
	v_cndmask_b32_e64 v47, v47, v49, s5
	ds_store_2addr_b32 v5, v50, v46 offset1:1
	ds_store_2addr_b32 v5, v47, v52 offset0:2 offset1:3
	s_wait_loadcnt_dscnt 0x0
	s_barrier_signal -1
	s_barrier_wait -1
	global_inv scope:SCOPE_SE
	s_and_saveexec_b32 s6, vcc_lo
	s_cbranch_execz .LBB6_6
; %bb.3:                                ;   in Loop: Header=BB6_2 Depth=1
	v_mov_b32_e32 v48, v8
	v_mov_b32_e32 v46, v9
	s_mov_b32 s7, 0
.LBB6_4:                                ;   Parent Loop BB6_2 Depth=1
                                        ; =>  This Inner Loop Header: Depth=2
	s_delay_alu instid0(VALU_DEP_1) | instskip(NEXT) | instid1(VALU_DEP_1)
	v_sub_nc_u32_e32 v47, v46, v48
	v_lshrrev_b32_e32 v47, 1, v47
	s_delay_alu instid0(VALU_DEP_1) | instskip(NEXT) | instid1(VALU_DEP_1)
	v_add_nc_u32_e32 v47, v47, v48
	v_not_b32_e32 v49, v47
	v_lshl_add_u32 v50, v47, 2, v10
	v_add_nc_u32_e32 v51, 1, v47
	s_delay_alu instid0(VALU_DEP_3)
	v_lshl_add_u32 v49, v49, 2, v40
	ds_load_b32 v50, v50
	ds_load_b32 v49, v49
	s_wait_dscnt 0x0
	v_cmp_lt_i32_e64 s5, v49, v50
	s_wait_alu 0xf1ff
	s_delay_alu instid0(VALU_DEP_1) | instskip(SKIP_1) | instid1(VALU_DEP_1)
	v_cndmask_b32_e64 v46, v46, v47, s5
	v_cndmask_b32_e64 v48, v51, v48, s5
	v_cmp_ge_i32_e64 s5, v48, v46
	s_wait_alu 0xfffe
	s_or_b32 s7, s5, s7
	s_wait_alu 0xfffe
	s_and_not1_b32 exec_lo, exec_lo, s7
	s_cbranch_execnz .LBB6_4
; %bb.5:                                ;   in Loop: Header=BB6_2 Depth=1
	s_or_b32 exec_lo, exec_lo, s7
.LBB6_6:                                ;   in Loop: Header=BB6_2 Depth=1
	s_wait_alu 0xfffe
	s_or_b32 exec_lo, exec_lo, s6
	v_sub_nc_u32_e32 v50, v12, v48
	v_lshl_add_u32 v49, v48, 2, v10
	v_add_nc_u32_e32 v51, v48, v1
                                        ; implicit-def: $vgpr48
	s_delay_alu instid0(VALU_DEP_3) | instskip(SKIP_1) | instid1(VALU_DEP_3)
	v_lshlrev_b32_e32 v52, 2, v50
	v_cmp_gt_i32_e64 s7, v3, v50
	v_cmp_le_i32_e64 s5, v2, v51
	ds_load_b32 v46, v49
	ds_load_b32 v47, v52
	s_wait_dscnt 0x0
	v_cmp_lt_i32_e64 s6, v47, v46
	s_or_b32 s5, s5, s6
	s_wait_alu 0xfffe
	s_and_b32 s5, s7, s5
	s_wait_alu 0xfffe
	s_xor_b32 s6, s5, -1
	s_wait_alu 0xfffe
	s_and_saveexec_b32 s7, s6
	s_wait_alu 0xfffe
	s_xor_b32 s6, exec_lo, s7
; %bb.7:                                ;   in Loop: Header=BB6_2 Depth=1
	ds_load_b32 v48, v49 offset:4
                                        ; implicit-def: $vgpr52
; %bb.8:                                ;   in Loop: Header=BB6_2 Depth=1
	s_wait_alu 0xfffe
	s_or_saveexec_b32 s6, s6
	v_mov_b32_e32 v49, v47
	s_wait_alu 0xfffe
	s_xor_b32 exec_lo, exec_lo, s6
	s_cbranch_execz .LBB6_10
; %bb.9:                                ;   in Loop: Header=BB6_2 Depth=1
	ds_load_b32 v49, v52 offset:4
	s_wait_dscnt 0x1
	v_mov_b32_e32 v48, v46
.LBB6_10:                               ;   in Loop: Header=BB6_2 Depth=1
	s_or_b32 exec_lo, exec_lo, s6
	v_add_nc_u32_e32 v52, 1, v51
	v_add_nc_u32_e32 v54, 1, v50
	s_wait_dscnt 0x0
	v_cmp_lt_i32_e64 s7, v49, v48
	s_delay_alu instid0(VALU_DEP_3) | instskip(NEXT) | instid1(VALU_DEP_3)
	v_cndmask_b32_e64 v53, v52, v51, s5
	v_cndmask_b32_e64 v52, v50, v54, s5
                                        ; implicit-def: $vgpr50
	s_delay_alu instid0(VALU_DEP_2) | instskip(NEXT) | instid1(VALU_DEP_2)
	v_cmp_ge_i32_e64 s6, v53, v2
	v_cmp_lt_i32_e64 s8, v52, v3
	s_or_b32 s6, s6, s7
	s_wait_alu 0xfffe
	s_and_b32 s6, s8, s6
	s_wait_alu 0xfffe
	s_xor_b32 s7, s6, -1
	s_wait_alu 0xfffe
	s_and_saveexec_b32 s8, s7
	s_delay_alu instid0(SALU_CYCLE_1)
	s_xor_b32 s7, exec_lo, s8
; %bb.11:                               ;   in Loop: Header=BB6_2 Depth=1
	v_lshlrev_b32_e32 v50, 2, v53
	ds_load_b32 v50, v50 offset:4
; %bb.12:                               ;   in Loop: Header=BB6_2 Depth=1
	s_wait_alu 0xfffe
	s_or_saveexec_b32 s7, s7
	v_mov_b32_e32 v51, v49
	s_wait_alu 0xfffe
	s_xor_b32 exec_lo, exec_lo, s7
	s_cbranch_execz .LBB6_14
; %bb.13:                               ;   in Loop: Header=BB6_2 Depth=1
	s_wait_dscnt 0x0
	v_lshlrev_b32_e32 v50, 2, v52
	ds_load_b32 v51, v50 offset:4
	v_mov_b32_e32 v50, v48
.LBB6_14:                               ;   in Loop: Header=BB6_2 Depth=1
	s_or_b32 exec_lo, exec_lo, s7
	v_add_nc_u32_e32 v54, 1, v53
	v_add_nc_u32_e32 v55, 1, v52
	s_wait_dscnt 0x0
	v_cmp_lt_i32_e64 s8, v51, v50
	s_delay_alu instid0(VALU_DEP_3) | instskip(NEXT) | instid1(VALU_DEP_3)
	v_cndmask_b32_e64 v54, v54, v53, s6
	v_cndmask_b32_e64 v53, v52, v55, s6
                                        ; implicit-def: $vgpr52
	s_delay_alu instid0(VALU_DEP_2) | instskip(NEXT) | instid1(VALU_DEP_2)
	v_cmp_ge_i32_e64 s7, v54, v2
	v_cmp_lt_i32_e64 s9, v53, v3
	s_or_b32 s7, s7, s8
	s_wait_alu 0xfffe
	s_and_b32 s7, s9, s7
	s_wait_alu 0xfffe
	s_xor_b32 s8, s7, -1
	s_delay_alu instid0(SALU_CYCLE_1) | instskip(NEXT) | instid1(SALU_CYCLE_1)
	s_and_saveexec_b32 s9, s8
	s_xor_b32 s8, exec_lo, s9
; %bb.15:                               ;   in Loop: Header=BB6_2 Depth=1
	v_lshlrev_b32_e32 v52, 2, v54
	ds_load_b32 v52, v52 offset:4
; %bb.16:                               ;   in Loop: Header=BB6_2 Depth=1
	s_or_saveexec_b32 s8, s8
	v_mov_b32_e32 v55, v51
	s_xor_b32 exec_lo, exec_lo, s8
	s_cbranch_execz .LBB6_18
; %bb.17:                               ;   in Loop: Header=BB6_2 Depth=1
	s_wait_dscnt 0x0
	v_lshlrev_b32_e32 v52, 2, v53
	ds_load_b32 v55, v52 offset:4
	v_mov_b32_e32 v52, v50
.LBB6_18:                               ;   in Loop: Header=BB6_2 Depth=1
	s_or_b32 exec_lo, exec_lo, s8
	v_add_nc_u32_e32 v56, 1, v54
	v_add_nc_u32_e32 v57, 1, v53
	v_cndmask_b32_e64 v49, v48, v49, s6
	v_mov_b32_e32 v48, v15
	v_cndmask_b32_e64 v50, v50, v51, s7
	v_cndmask_b32_e64 v54, v56, v54, s7
	;; [unrolled: 1-line block ×3, first 2 shown]
	s_wait_dscnt 0x0
	v_cmp_lt_i32_e64 s7, v55, v52
	v_cndmask_b32_e64 v46, v46, v47, s5
	s_wait_loadcnt 0x0
	v_cmp_ge_i32_e64 s8, v54, v2
	v_cmp_lt_i32_e64 s6, v53, v3
	s_barrier_signal -1
	s_barrier_wait -1
	global_inv scope:SCOPE_SE
	s_or_b32 s5, s8, s7
	s_wait_alu 0xfffe
	s_and_b32 s5, s6, s5
	s_wait_alu 0xfffe
	v_cndmask_b32_e64 v47, v52, v55, s5
	ds_store_2addr_b32 v5, v46, v49 offset1:1
	ds_store_2addr_b32 v5, v50, v47 offset0:2 offset1:3
	s_wait_loadcnt_dscnt 0x0
	s_barrier_signal -1
	s_barrier_wait -1
	global_inv scope:SCOPE_SE
	s_and_saveexec_b32 s6, s0
	s_cbranch_execz .LBB6_22
; %bb.19:                               ;   in Loop: Header=BB6_2 Depth=1
	v_mov_b32_e32 v48, v15
	v_mov_b32_e32 v46, v16
	s_mov_b32 s7, 0
.LBB6_20:                               ;   Parent Loop BB6_2 Depth=1
                                        ; =>  This Inner Loop Header: Depth=2
	s_delay_alu instid0(VALU_DEP_1) | instskip(NEXT) | instid1(VALU_DEP_1)
	v_sub_nc_u32_e32 v47, v46, v48
	v_lshrrev_b32_e32 v47, 1, v47
	s_delay_alu instid0(VALU_DEP_1) | instskip(NEXT) | instid1(VALU_DEP_1)
	v_add_nc_u32_e32 v47, v47, v48
	v_not_b32_e32 v49, v47
	v_lshl_add_u32 v50, v47, 2, v17
	v_add_nc_u32_e32 v51, 1, v47
	s_delay_alu instid0(VALU_DEP_3)
	v_lshl_add_u32 v49, v49, 2, v41
	ds_load_b32 v50, v50
	ds_load_b32 v49, v49
	s_wait_dscnt 0x0
	v_cmp_lt_i32_e64 s5, v49, v50
	s_wait_alu 0xf1ff
	s_delay_alu instid0(VALU_DEP_1) | instskip(SKIP_1) | instid1(VALU_DEP_1)
	v_cndmask_b32_e64 v46, v46, v47, s5
	v_cndmask_b32_e64 v48, v51, v48, s5
	v_cmp_ge_i32_e64 s5, v48, v46
	s_wait_alu 0xfffe
	s_or_b32 s7, s5, s7
	s_wait_alu 0xfffe
	s_and_not1_b32 exec_lo, exec_lo, s7
	s_cbranch_execnz .LBB6_20
; %bb.21:                               ;   in Loop: Header=BB6_2 Depth=1
	s_or_b32 exec_lo, exec_lo, s7
.LBB6_22:                               ;   in Loop: Header=BB6_2 Depth=1
	s_wait_alu 0xfffe
	s_or_b32 exec_lo, exec_lo, s6
	v_sub_nc_u32_e32 v50, v19, v48
	v_lshl_add_u32 v49, v48, 2, v17
	v_add_nc_u32_e32 v51, v48, v4
                                        ; implicit-def: $vgpr48
	s_delay_alu instid0(VALU_DEP_3) | instskip(SKIP_1) | instid1(VALU_DEP_3)
	v_lshlrev_b32_e32 v52, 2, v50
	v_cmp_gt_i32_e64 s7, v7, v50
	v_cmp_le_i32_e64 s5, v6, v51
	ds_load_b32 v46, v49
	ds_load_b32 v47, v52
	s_wait_dscnt 0x0
	v_cmp_lt_i32_e64 s6, v47, v46
	s_or_b32 s5, s5, s6
	s_wait_alu 0xfffe
	s_and_b32 s5, s7, s5
	s_wait_alu 0xfffe
	s_xor_b32 s6, s5, -1
	s_wait_alu 0xfffe
	s_and_saveexec_b32 s7, s6
	s_wait_alu 0xfffe
	s_xor_b32 s6, exec_lo, s7
; %bb.23:                               ;   in Loop: Header=BB6_2 Depth=1
	ds_load_b32 v48, v49 offset:4
                                        ; implicit-def: $vgpr52
; %bb.24:                               ;   in Loop: Header=BB6_2 Depth=1
	s_wait_alu 0xfffe
	s_or_saveexec_b32 s6, s6
	v_mov_b32_e32 v49, v47
	s_wait_alu 0xfffe
	s_xor_b32 exec_lo, exec_lo, s6
	s_cbranch_execz .LBB6_26
; %bb.25:                               ;   in Loop: Header=BB6_2 Depth=1
	ds_load_b32 v49, v52 offset:4
	s_wait_dscnt 0x1
	v_mov_b32_e32 v48, v46
.LBB6_26:                               ;   in Loop: Header=BB6_2 Depth=1
	s_or_b32 exec_lo, exec_lo, s6
	v_add_nc_u32_e32 v52, 1, v51
	v_add_nc_u32_e32 v54, 1, v50
	s_wait_dscnt 0x0
	v_cmp_lt_i32_e64 s7, v49, v48
	s_delay_alu instid0(VALU_DEP_3) | instskip(NEXT) | instid1(VALU_DEP_3)
	v_cndmask_b32_e64 v53, v52, v51, s5
	v_cndmask_b32_e64 v52, v50, v54, s5
                                        ; implicit-def: $vgpr50
	s_delay_alu instid0(VALU_DEP_2) | instskip(NEXT) | instid1(VALU_DEP_2)
	v_cmp_ge_i32_e64 s6, v53, v6
	v_cmp_lt_i32_e64 s8, v52, v7
	s_or_b32 s6, s6, s7
	s_wait_alu 0xfffe
	s_and_b32 s6, s8, s6
	s_wait_alu 0xfffe
	s_xor_b32 s7, s6, -1
	s_wait_alu 0xfffe
	s_and_saveexec_b32 s8, s7
	s_delay_alu instid0(SALU_CYCLE_1)
	s_xor_b32 s7, exec_lo, s8
; %bb.27:                               ;   in Loop: Header=BB6_2 Depth=1
	v_lshlrev_b32_e32 v50, 2, v53
	ds_load_b32 v50, v50 offset:4
; %bb.28:                               ;   in Loop: Header=BB6_2 Depth=1
	s_wait_alu 0xfffe
	s_or_saveexec_b32 s7, s7
	v_mov_b32_e32 v51, v49
	s_wait_alu 0xfffe
	s_xor_b32 exec_lo, exec_lo, s7
	s_cbranch_execz .LBB6_30
; %bb.29:                               ;   in Loop: Header=BB6_2 Depth=1
	s_wait_dscnt 0x0
	v_lshlrev_b32_e32 v50, 2, v52
	ds_load_b32 v51, v50 offset:4
	v_mov_b32_e32 v50, v48
.LBB6_30:                               ;   in Loop: Header=BB6_2 Depth=1
	s_or_b32 exec_lo, exec_lo, s7
	v_add_nc_u32_e32 v54, 1, v53
	v_add_nc_u32_e32 v55, 1, v52
	s_wait_dscnt 0x0
	v_cmp_lt_i32_e64 s8, v51, v50
	s_delay_alu instid0(VALU_DEP_3) | instskip(NEXT) | instid1(VALU_DEP_3)
	v_cndmask_b32_e64 v54, v54, v53, s6
	v_cndmask_b32_e64 v53, v52, v55, s6
                                        ; implicit-def: $vgpr52
	s_delay_alu instid0(VALU_DEP_2) | instskip(NEXT) | instid1(VALU_DEP_2)
	v_cmp_ge_i32_e64 s7, v54, v6
	v_cmp_lt_i32_e64 s9, v53, v7
	s_or_b32 s7, s7, s8
	s_wait_alu 0xfffe
	s_and_b32 s7, s9, s7
	s_wait_alu 0xfffe
	s_xor_b32 s8, s7, -1
	s_delay_alu instid0(SALU_CYCLE_1) | instskip(NEXT) | instid1(SALU_CYCLE_1)
	s_and_saveexec_b32 s9, s8
	s_xor_b32 s8, exec_lo, s9
; %bb.31:                               ;   in Loop: Header=BB6_2 Depth=1
	v_lshlrev_b32_e32 v52, 2, v54
	ds_load_b32 v52, v52 offset:4
; %bb.32:                               ;   in Loop: Header=BB6_2 Depth=1
	s_or_saveexec_b32 s8, s8
	v_mov_b32_e32 v55, v51
	s_xor_b32 exec_lo, exec_lo, s8
	s_cbranch_execz .LBB6_34
; %bb.33:                               ;   in Loop: Header=BB6_2 Depth=1
	s_wait_dscnt 0x0
	v_lshlrev_b32_e32 v52, 2, v53
	ds_load_b32 v55, v52 offset:4
	v_mov_b32_e32 v52, v50
.LBB6_34:                               ;   in Loop: Header=BB6_2 Depth=1
	s_or_b32 exec_lo, exec_lo, s8
	v_add_nc_u32_e32 v56, 1, v54
	v_add_nc_u32_e32 v57, 1, v53
	v_cndmask_b32_e64 v49, v48, v49, s6
	v_mov_b32_e32 v48, v22
	v_cndmask_b32_e64 v50, v50, v51, s7
	v_cndmask_b32_e64 v54, v56, v54, s7
	;; [unrolled: 1-line block ×3, first 2 shown]
	s_wait_dscnt 0x0
	v_cmp_lt_i32_e64 s7, v55, v52
	v_cndmask_b32_e64 v46, v46, v47, s5
	s_wait_loadcnt 0x0
	v_cmp_ge_i32_e64 s8, v54, v6
	v_cmp_lt_i32_e64 s6, v53, v7
	s_barrier_signal -1
	s_barrier_wait -1
	global_inv scope:SCOPE_SE
	s_or_b32 s5, s8, s7
	s_wait_alu 0xfffe
	s_and_b32 s5, s6, s5
	s_wait_alu 0xfffe
	v_cndmask_b32_e64 v47, v52, v55, s5
	ds_store_2addr_b32 v5, v46, v49 offset1:1
	ds_store_2addr_b32 v5, v50, v47 offset0:2 offset1:3
	s_wait_loadcnt_dscnt 0x0
	s_barrier_signal -1
	s_barrier_wait -1
	global_inv scope:SCOPE_SE
	s_and_saveexec_b32 s6, s1
	s_cbranch_execz .LBB6_38
; %bb.35:                               ;   in Loop: Header=BB6_2 Depth=1
	v_mov_b32_e32 v48, v22
	v_mov_b32_e32 v46, v24
	s_mov_b32 s7, 0
.LBB6_36:                               ;   Parent Loop BB6_2 Depth=1
                                        ; =>  This Inner Loop Header: Depth=2
	s_delay_alu instid0(VALU_DEP_1) | instskip(NEXT) | instid1(VALU_DEP_1)
	v_sub_nc_u32_e32 v47, v46, v48
	v_lshrrev_b32_e32 v47, 1, v47
	s_delay_alu instid0(VALU_DEP_1) | instskip(NEXT) | instid1(VALU_DEP_1)
	v_add_nc_u32_e32 v47, v47, v48
	v_not_b32_e32 v49, v47
	v_lshl_add_u32 v50, v47, 2, v25
	v_add_nc_u32_e32 v51, 1, v47
	s_delay_alu instid0(VALU_DEP_3)
	v_lshl_add_u32 v49, v49, 2, v42
	ds_load_b32 v50, v50
	ds_load_b32 v49, v49
	s_wait_dscnt 0x0
	v_cmp_lt_i32_e64 s5, v49, v50
	s_wait_alu 0xf1ff
	s_delay_alu instid0(VALU_DEP_1) | instskip(SKIP_1) | instid1(VALU_DEP_1)
	v_cndmask_b32_e64 v46, v46, v47, s5
	v_cndmask_b32_e64 v48, v51, v48, s5
	v_cmp_ge_i32_e64 s5, v48, v46
	s_wait_alu 0xfffe
	s_or_b32 s7, s5, s7
	s_wait_alu 0xfffe
	s_and_not1_b32 exec_lo, exec_lo, s7
	s_cbranch_execnz .LBB6_36
; %bb.37:                               ;   in Loop: Header=BB6_2 Depth=1
	s_or_b32 exec_lo, exec_lo, s7
.LBB6_38:                               ;   in Loop: Header=BB6_2 Depth=1
	s_wait_alu 0xfffe
	s_or_b32 exec_lo, exec_lo, s6
	v_sub_nc_u32_e32 v50, v30, v48
	v_lshl_add_u32 v49, v48, 2, v25
	v_add_nc_u32_e32 v51, v48, v11
                                        ; implicit-def: $vgpr48
	s_delay_alu instid0(VALU_DEP_3) | instskip(SKIP_1) | instid1(VALU_DEP_3)
	v_lshlrev_b32_e32 v52, 2, v50
	v_cmp_gt_i32_e64 s7, v14, v50
	v_cmp_le_i32_e64 s5, v13, v51
	ds_load_b32 v46, v49
	ds_load_b32 v47, v52
	s_wait_dscnt 0x0
	v_cmp_lt_i32_e64 s6, v47, v46
	s_or_b32 s5, s5, s6
	s_wait_alu 0xfffe
	s_and_b32 s5, s7, s5
	s_wait_alu 0xfffe
	s_xor_b32 s6, s5, -1
	s_wait_alu 0xfffe
	s_and_saveexec_b32 s7, s6
	s_wait_alu 0xfffe
	s_xor_b32 s6, exec_lo, s7
; %bb.39:                               ;   in Loop: Header=BB6_2 Depth=1
	ds_load_b32 v48, v49 offset:4
                                        ; implicit-def: $vgpr52
; %bb.40:                               ;   in Loop: Header=BB6_2 Depth=1
	s_wait_alu 0xfffe
	s_or_saveexec_b32 s6, s6
	v_mov_b32_e32 v49, v47
	s_wait_alu 0xfffe
	s_xor_b32 exec_lo, exec_lo, s6
	s_cbranch_execz .LBB6_42
; %bb.41:                               ;   in Loop: Header=BB6_2 Depth=1
	ds_load_b32 v49, v52 offset:4
	s_wait_dscnt 0x1
	v_mov_b32_e32 v48, v46
.LBB6_42:                               ;   in Loop: Header=BB6_2 Depth=1
	s_or_b32 exec_lo, exec_lo, s6
	v_add_nc_u32_e32 v52, 1, v51
	v_add_nc_u32_e32 v54, 1, v50
	s_wait_dscnt 0x0
	v_cmp_lt_i32_e64 s7, v49, v48
	s_delay_alu instid0(VALU_DEP_3) | instskip(NEXT) | instid1(VALU_DEP_3)
	v_cndmask_b32_e64 v53, v52, v51, s5
	v_cndmask_b32_e64 v52, v50, v54, s5
                                        ; implicit-def: $vgpr50
	s_delay_alu instid0(VALU_DEP_2) | instskip(NEXT) | instid1(VALU_DEP_2)
	v_cmp_ge_i32_e64 s6, v53, v13
	v_cmp_lt_i32_e64 s8, v52, v14
	s_or_b32 s6, s6, s7
	s_wait_alu 0xfffe
	s_and_b32 s6, s8, s6
	s_wait_alu 0xfffe
	s_xor_b32 s7, s6, -1
	s_wait_alu 0xfffe
	s_and_saveexec_b32 s8, s7
	s_delay_alu instid0(SALU_CYCLE_1)
	s_xor_b32 s7, exec_lo, s8
; %bb.43:                               ;   in Loop: Header=BB6_2 Depth=1
	v_lshlrev_b32_e32 v50, 2, v53
	ds_load_b32 v50, v50 offset:4
; %bb.44:                               ;   in Loop: Header=BB6_2 Depth=1
	s_wait_alu 0xfffe
	s_or_saveexec_b32 s7, s7
	v_mov_b32_e32 v51, v49
	s_wait_alu 0xfffe
	s_xor_b32 exec_lo, exec_lo, s7
	s_cbranch_execz .LBB6_46
; %bb.45:                               ;   in Loop: Header=BB6_2 Depth=1
	s_wait_dscnt 0x0
	v_lshlrev_b32_e32 v50, 2, v52
	ds_load_b32 v51, v50 offset:4
	v_mov_b32_e32 v50, v48
.LBB6_46:                               ;   in Loop: Header=BB6_2 Depth=1
	s_or_b32 exec_lo, exec_lo, s7
	v_add_nc_u32_e32 v54, 1, v53
	v_add_nc_u32_e32 v55, 1, v52
	s_wait_dscnt 0x0
	v_cmp_lt_i32_e64 s8, v51, v50
	s_delay_alu instid0(VALU_DEP_3) | instskip(NEXT) | instid1(VALU_DEP_3)
	v_cndmask_b32_e64 v54, v54, v53, s6
	v_cndmask_b32_e64 v53, v52, v55, s6
                                        ; implicit-def: $vgpr52
	s_delay_alu instid0(VALU_DEP_2) | instskip(NEXT) | instid1(VALU_DEP_2)
	v_cmp_ge_i32_e64 s7, v54, v13
	v_cmp_lt_i32_e64 s9, v53, v14
	s_or_b32 s7, s7, s8
	s_wait_alu 0xfffe
	s_and_b32 s7, s9, s7
	s_wait_alu 0xfffe
	s_xor_b32 s8, s7, -1
	s_delay_alu instid0(SALU_CYCLE_1) | instskip(NEXT) | instid1(SALU_CYCLE_1)
	s_and_saveexec_b32 s9, s8
	s_xor_b32 s8, exec_lo, s9
; %bb.47:                               ;   in Loop: Header=BB6_2 Depth=1
	v_lshlrev_b32_e32 v52, 2, v54
	ds_load_b32 v52, v52 offset:4
; %bb.48:                               ;   in Loop: Header=BB6_2 Depth=1
	s_or_saveexec_b32 s8, s8
	v_mov_b32_e32 v55, v51
	s_xor_b32 exec_lo, exec_lo, s8
	s_cbranch_execz .LBB6_50
; %bb.49:                               ;   in Loop: Header=BB6_2 Depth=1
	s_wait_dscnt 0x0
	v_lshlrev_b32_e32 v52, 2, v53
	ds_load_b32 v55, v52 offset:4
	v_mov_b32_e32 v52, v50
.LBB6_50:                               ;   in Loop: Header=BB6_2 Depth=1
	s_or_b32 exec_lo, exec_lo, s8
	v_add_nc_u32_e32 v56, 1, v54
	v_add_nc_u32_e32 v57, 1, v53
	v_cndmask_b32_e64 v49, v48, v49, s6
	v_mov_b32_e32 v48, v28
	v_cndmask_b32_e64 v50, v50, v51, s7
	v_cndmask_b32_e64 v54, v56, v54, s7
	;; [unrolled: 1-line block ×3, first 2 shown]
	s_wait_dscnt 0x0
	v_cmp_lt_i32_e64 s7, v55, v52
	v_cndmask_b32_e64 v46, v46, v47, s5
	s_wait_loadcnt 0x0
	v_cmp_ge_i32_e64 s8, v54, v13
	v_cmp_lt_i32_e64 s6, v53, v14
	s_barrier_signal -1
	s_barrier_wait -1
	global_inv scope:SCOPE_SE
	s_or_b32 s5, s8, s7
	s_wait_alu 0xfffe
	s_and_b32 s5, s6, s5
	s_wait_alu 0xfffe
	v_cndmask_b32_e64 v47, v52, v55, s5
	ds_store_2addr_b32 v5, v46, v49 offset1:1
	ds_store_2addr_b32 v5, v50, v47 offset0:2 offset1:3
	s_wait_loadcnt_dscnt 0x0
	s_barrier_signal -1
	s_barrier_wait -1
	global_inv scope:SCOPE_SE
	s_and_saveexec_b32 s6, s2
	s_cbranch_execz .LBB6_54
; %bb.51:                               ;   in Loop: Header=BB6_2 Depth=1
	v_mov_b32_e32 v48, v28
	v_mov_b32_e32 v46, v29
	s_mov_b32 s7, 0
.LBB6_52:                               ;   Parent Loop BB6_2 Depth=1
                                        ; =>  This Inner Loop Header: Depth=2
	s_delay_alu instid0(VALU_DEP_1) | instskip(NEXT) | instid1(VALU_DEP_1)
	v_sub_nc_u32_e32 v47, v46, v48
	v_lshrrev_b32_e32 v47, 1, v47
	s_delay_alu instid0(VALU_DEP_1) | instskip(NEXT) | instid1(VALU_DEP_1)
	v_add_nc_u32_e32 v47, v47, v48
	v_not_b32_e32 v49, v47
	v_lshl_add_u32 v50, v47, 2, v31
	v_add_nc_u32_e32 v51, 1, v47
	s_delay_alu instid0(VALU_DEP_3)
	v_lshl_add_u32 v49, v49, 2, v43
	ds_load_b32 v50, v50
	ds_load_b32 v49, v49
	s_wait_dscnt 0x0
	v_cmp_lt_i32_e64 s5, v49, v50
	s_wait_alu 0xf1ff
	s_delay_alu instid0(VALU_DEP_1) | instskip(SKIP_1) | instid1(VALU_DEP_1)
	v_cndmask_b32_e64 v46, v46, v47, s5
	v_cndmask_b32_e64 v48, v51, v48, s5
	v_cmp_ge_i32_e64 s5, v48, v46
	s_wait_alu 0xfffe
	s_or_b32 s7, s5, s7
	s_wait_alu 0xfffe
	s_and_not1_b32 exec_lo, exec_lo, s7
	s_cbranch_execnz .LBB6_52
; %bb.53:                               ;   in Loop: Header=BB6_2 Depth=1
	s_or_b32 exec_lo, exec_lo, s7
.LBB6_54:                               ;   in Loop: Header=BB6_2 Depth=1
	s_wait_alu 0xfffe
	s_or_b32 exec_lo, exec_lo, s6
	v_sub_nc_u32_e32 v50, v36, v48
	v_lshl_add_u32 v49, v48, 2, v31
	v_add_nc_u32_e32 v51, v48, v18
                                        ; implicit-def: $vgpr48
	s_delay_alu instid0(VALU_DEP_3) | instskip(SKIP_1) | instid1(VALU_DEP_3)
	v_lshlrev_b32_e32 v52, 2, v50
	v_cmp_gt_i32_e64 s7, v21, v50
	v_cmp_le_i32_e64 s5, v20, v51
	ds_load_b32 v46, v49
	ds_load_b32 v47, v52
	s_wait_dscnt 0x0
	v_cmp_lt_i32_e64 s6, v47, v46
	s_or_b32 s5, s5, s6
	s_wait_alu 0xfffe
	s_and_b32 s5, s7, s5
	s_wait_alu 0xfffe
	s_xor_b32 s6, s5, -1
	s_wait_alu 0xfffe
	s_and_saveexec_b32 s7, s6
	s_wait_alu 0xfffe
	s_xor_b32 s6, exec_lo, s7
; %bb.55:                               ;   in Loop: Header=BB6_2 Depth=1
	ds_load_b32 v48, v49 offset:4
                                        ; implicit-def: $vgpr52
; %bb.56:                               ;   in Loop: Header=BB6_2 Depth=1
	s_wait_alu 0xfffe
	s_or_saveexec_b32 s6, s6
	v_mov_b32_e32 v49, v47
	s_wait_alu 0xfffe
	s_xor_b32 exec_lo, exec_lo, s6
	s_cbranch_execz .LBB6_58
; %bb.57:                               ;   in Loop: Header=BB6_2 Depth=1
	ds_load_b32 v49, v52 offset:4
	s_wait_dscnt 0x1
	v_mov_b32_e32 v48, v46
.LBB6_58:                               ;   in Loop: Header=BB6_2 Depth=1
	s_or_b32 exec_lo, exec_lo, s6
	v_add_nc_u32_e32 v52, 1, v51
	v_add_nc_u32_e32 v54, 1, v50
	s_wait_dscnt 0x0
	v_cmp_lt_i32_e64 s7, v49, v48
	s_delay_alu instid0(VALU_DEP_3) | instskip(NEXT) | instid1(VALU_DEP_3)
	v_cndmask_b32_e64 v53, v52, v51, s5
	v_cndmask_b32_e64 v52, v50, v54, s5
                                        ; implicit-def: $vgpr50
	s_delay_alu instid0(VALU_DEP_2) | instskip(NEXT) | instid1(VALU_DEP_2)
	v_cmp_ge_i32_e64 s6, v53, v20
	v_cmp_lt_i32_e64 s8, v52, v21
	s_or_b32 s6, s6, s7
	s_wait_alu 0xfffe
	s_and_b32 s6, s8, s6
	s_wait_alu 0xfffe
	s_xor_b32 s7, s6, -1
	s_wait_alu 0xfffe
	s_and_saveexec_b32 s8, s7
	s_delay_alu instid0(SALU_CYCLE_1)
	s_xor_b32 s7, exec_lo, s8
; %bb.59:                               ;   in Loop: Header=BB6_2 Depth=1
	v_lshlrev_b32_e32 v50, 2, v53
	ds_load_b32 v50, v50 offset:4
; %bb.60:                               ;   in Loop: Header=BB6_2 Depth=1
	s_wait_alu 0xfffe
	s_or_saveexec_b32 s7, s7
	v_mov_b32_e32 v51, v49
	s_wait_alu 0xfffe
	s_xor_b32 exec_lo, exec_lo, s7
	s_cbranch_execz .LBB6_62
; %bb.61:                               ;   in Loop: Header=BB6_2 Depth=1
	s_wait_dscnt 0x0
	v_lshlrev_b32_e32 v50, 2, v52
	ds_load_b32 v51, v50 offset:4
	v_mov_b32_e32 v50, v48
.LBB6_62:                               ;   in Loop: Header=BB6_2 Depth=1
	s_or_b32 exec_lo, exec_lo, s7
	v_add_nc_u32_e32 v54, 1, v53
	v_add_nc_u32_e32 v55, 1, v52
	s_wait_dscnt 0x0
	v_cmp_lt_i32_e64 s8, v51, v50
	s_delay_alu instid0(VALU_DEP_3) | instskip(NEXT) | instid1(VALU_DEP_3)
	v_cndmask_b32_e64 v54, v54, v53, s6
	v_cndmask_b32_e64 v53, v52, v55, s6
                                        ; implicit-def: $vgpr52
	s_delay_alu instid0(VALU_DEP_2) | instskip(NEXT) | instid1(VALU_DEP_2)
	v_cmp_ge_i32_e64 s7, v54, v20
	v_cmp_lt_i32_e64 s9, v53, v21
	s_or_b32 s7, s7, s8
	s_wait_alu 0xfffe
	s_and_b32 s7, s9, s7
	s_wait_alu 0xfffe
	s_xor_b32 s8, s7, -1
	s_delay_alu instid0(SALU_CYCLE_1) | instskip(NEXT) | instid1(SALU_CYCLE_1)
	s_and_saveexec_b32 s9, s8
	s_xor_b32 s8, exec_lo, s9
; %bb.63:                               ;   in Loop: Header=BB6_2 Depth=1
	v_lshlrev_b32_e32 v52, 2, v54
	ds_load_b32 v52, v52 offset:4
; %bb.64:                               ;   in Loop: Header=BB6_2 Depth=1
	s_or_saveexec_b32 s8, s8
	v_mov_b32_e32 v55, v51
	s_xor_b32 exec_lo, exec_lo, s8
	s_cbranch_execz .LBB6_66
; %bb.65:                               ;   in Loop: Header=BB6_2 Depth=1
	s_wait_dscnt 0x0
	v_lshlrev_b32_e32 v52, 2, v53
	ds_load_b32 v55, v52 offset:4
	v_mov_b32_e32 v52, v50
.LBB6_66:                               ;   in Loop: Header=BB6_2 Depth=1
	s_or_b32 exec_lo, exec_lo, s8
	v_add_nc_u32_e32 v56, 1, v54
	v_add_nc_u32_e32 v57, 1, v53
	v_cndmask_b32_e64 v49, v48, v49, s6
	v_mov_b32_e32 v48, v32
	v_cndmask_b32_e64 v50, v50, v51, s7
	v_cndmask_b32_e64 v54, v56, v54, s7
	;; [unrolled: 1-line block ×3, first 2 shown]
	s_wait_dscnt 0x0
	v_cmp_lt_i32_e64 s7, v55, v52
	v_cndmask_b32_e64 v46, v46, v47, s5
	s_wait_loadcnt 0x0
	v_cmp_ge_i32_e64 s8, v54, v20
	v_cmp_lt_i32_e64 s6, v53, v21
	s_barrier_signal -1
	s_barrier_wait -1
	global_inv scope:SCOPE_SE
	s_or_b32 s5, s8, s7
	s_wait_alu 0xfffe
	s_and_b32 s5, s6, s5
	s_wait_alu 0xfffe
	v_cndmask_b32_e64 v47, v52, v55, s5
	ds_store_2addr_b32 v5, v46, v49 offset1:1
	ds_store_2addr_b32 v5, v50, v47 offset0:2 offset1:3
	s_wait_loadcnt_dscnt 0x0
	s_barrier_signal -1
	s_barrier_wait -1
	global_inv scope:SCOPE_SE
	s_and_saveexec_b32 s6, s3
	s_cbranch_execz .LBB6_70
; %bb.67:                               ;   in Loop: Header=BB6_2 Depth=1
	v_mov_b32_e32 v48, v32
	v_mov_b32_e32 v46, v33
	s_mov_b32 s7, 0
.LBB6_68:                               ;   Parent Loop BB6_2 Depth=1
                                        ; =>  This Inner Loop Header: Depth=2
	s_delay_alu instid0(VALU_DEP_1) | instskip(NEXT) | instid1(VALU_DEP_1)
	v_sub_nc_u32_e32 v47, v46, v48
	v_lshrrev_b32_e32 v47, 1, v47
	s_delay_alu instid0(VALU_DEP_1) | instskip(NEXT) | instid1(VALU_DEP_1)
	v_add_nc_u32_e32 v47, v47, v48
	v_not_b32_e32 v49, v47
	v_lshl_add_u32 v50, v47, 2, v37
	v_add_nc_u32_e32 v51, 1, v47
	s_delay_alu instid0(VALU_DEP_3)
	v_lshl_add_u32 v49, v49, 2, v44
	ds_load_b32 v50, v50
	ds_load_b32 v49, v49
	s_wait_dscnt 0x0
	v_cmp_lt_i32_e64 s5, v49, v50
	s_wait_alu 0xf1ff
	s_delay_alu instid0(VALU_DEP_1) | instskip(SKIP_1) | instid1(VALU_DEP_1)
	v_cndmask_b32_e64 v46, v46, v47, s5
	v_cndmask_b32_e64 v48, v51, v48, s5
	v_cmp_ge_i32_e64 s5, v48, v46
	s_wait_alu 0xfffe
	s_or_b32 s7, s5, s7
	s_wait_alu 0xfffe
	s_and_not1_b32 exec_lo, exec_lo, s7
	s_cbranch_execnz .LBB6_68
; %bb.69:                               ;   in Loop: Header=BB6_2 Depth=1
	s_or_b32 exec_lo, exec_lo, s7
.LBB6_70:                               ;   in Loop: Header=BB6_2 Depth=1
	s_wait_alu 0xfffe
	s_or_b32 exec_lo, exec_lo, s6
	v_sub_nc_u32_e32 v50, v38, v48
	v_lshl_add_u32 v49, v48, 2, v37
	v_add_nc_u32_e32 v51, v48, v23
                                        ; implicit-def: $vgpr48
	s_delay_alu instid0(VALU_DEP_3) | instskip(SKIP_1) | instid1(VALU_DEP_3)
	v_lshlrev_b32_e32 v52, 2, v50
	v_cmp_gt_i32_e64 s7, v27, v50
	v_cmp_le_i32_e64 s5, v26, v51
	ds_load_b32 v46, v49
	ds_load_b32 v47, v52
	s_wait_dscnt 0x0
	v_cmp_lt_i32_e64 s6, v47, v46
	s_or_b32 s5, s5, s6
	s_wait_alu 0xfffe
	s_and_b32 s5, s7, s5
	s_wait_alu 0xfffe
	s_xor_b32 s6, s5, -1
	s_wait_alu 0xfffe
	s_and_saveexec_b32 s7, s6
	s_wait_alu 0xfffe
	s_xor_b32 s6, exec_lo, s7
; %bb.71:                               ;   in Loop: Header=BB6_2 Depth=1
	ds_load_b32 v48, v49 offset:4
                                        ; implicit-def: $vgpr52
; %bb.72:                               ;   in Loop: Header=BB6_2 Depth=1
	s_wait_alu 0xfffe
	s_or_saveexec_b32 s6, s6
	v_mov_b32_e32 v49, v47
	s_wait_alu 0xfffe
	s_xor_b32 exec_lo, exec_lo, s6
	s_cbranch_execz .LBB6_74
; %bb.73:                               ;   in Loop: Header=BB6_2 Depth=1
	ds_load_b32 v49, v52 offset:4
	s_wait_dscnt 0x1
	v_mov_b32_e32 v48, v46
.LBB6_74:                               ;   in Loop: Header=BB6_2 Depth=1
	s_or_b32 exec_lo, exec_lo, s6
	v_add_nc_u32_e32 v52, 1, v51
	v_add_nc_u32_e32 v54, 1, v50
	s_wait_dscnt 0x0
	v_cmp_lt_i32_e64 s7, v49, v48
	s_delay_alu instid0(VALU_DEP_3) | instskip(NEXT) | instid1(VALU_DEP_3)
	v_cndmask_b32_e64 v53, v52, v51, s5
	v_cndmask_b32_e64 v52, v50, v54, s5
                                        ; implicit-def: $vgpr50
	s_delay_alu instid0(VALU_DEP_2) | instskip(NEXT) | instid1(VALU_DEP_2)
	v_cmp_ge_i32_e64 s6, v53, v26
	v_cmp_lt_i32_e64 s8, v52, v27
	s_or_b32 s6, s6, s7
	s_wait_alu 0xfffe
	s_and_b32 s6, s8, s6
	s_wait_alu 0xfffe
	s_xor_b32 s7, s6, -1
	s_wait_alu 0xfffe
	s_and_saveexec_b32 s8, s7
	s_delay_alu instid0(SALU_CYCLE_1)
	s_xor_b32 s7, exec_lo, s8
; %bb.75:                               ;   in Loop: Header=BB6_2 Depth=1
	v_lshlrev_b32_e32 v50, 2, v53
	ds_load_b32 v50, v50 offset:4
; %bb.76:                               ;   in Loop: Header=BB6_2 Depth=1
	s_wait_alu 0xfffe
	s_or_saveexec_b32 s7, s7
	v_mov_b32_e32 v51, v49
	s_wait_alu 0xfffe
	s_xor_b32 exec_lo, exec_lo, s7
	s_cbranch_execz .LBB6_78
; %bb.77:                               ;   in Loop: Header=BB6_2 Depth=1
	s_wait_dscnt 0x0
	v_lshlrev_b32_e32 v50, 2, v52
	ds_load_b32 v51, v50 offset:4
	v_mov_b32_e32 v50, v48
.LBB6_78:                               ;   in Loop: Header=BB6_2 Depth=1
	s_or_b32 exec_lo, exec_lo, s7
	v_add_nc_u32_e32 v54, 1, v53
	v_add_nc_u32_e32 v55, 1, v52
	s_wait_dscnt 0x0
	v_cmp_lt_i32_e64 s8, v51, v50
	s_delay_alu instid0(VALU_DEP_3) | instskip(NEXT) | instid1(VALU_DEP_3)
	v_cndmask_b32_e64 v54, v54, v53, s6
	v_cndmask_b32_e64 v53, v52, v55, s6
                                        ; implicit-def: $vgpr52
	s_delay_alu instid0(VALU_DEP_2) | instskip(NEXT) | instid1(VALU_DEP_2)
	v_cmp_ge_i32_e64 s7, v54, v26
	v_cmp_lt_i32_e64 s9, v53, v27
	s_or_b32 s7, s7, s8
	s_wait_alu 0xfffe
	s_and_b32 s7, s9, s7
	s_wait_alu 0xfffe
	s_xor_b32 s8, s7, -1
	s_delay_alu instid0(SALU_CYCLE_1) | instskip(NEXT) | instid1(SALU_CYCLE_1)
	s_and_saveexec_b32 s9, s8
	s_xor_b32 s8, exec_lo, s9
; %bb.79:                               ;   in Loop: Header=BB6_2 Depth=1
	v_lshlrev_b32_e32 v52, 2, v54
	ds_load_b32 v52, v52 offset:4
; %bb.80:                               ;   in Loop: Header=BB6_2 Depth=1
	s_or_saveexec_b32 s8, s8
	v_mov_b32_e32 v55, v51
	s_xor_b32 exec_lo, exec_lo, s8
	s_cbranch_execz .LBB6_82
; %bb.81:                               ;   in Loop: Header=BB6_2 Depth=1
	s_wait_dscnt 0x0
	v_lshlrev_b32_e32 v52, 2, v53
	ds_load_b32 v55, v52 offset:4
	v_mov_b32_e32 v52, v50
.LBB6_82:                               ;   in Loop: Header=BB6_2 Depth=1
	s_or_b32 exec_lo, exec_lo, s8
	v_add_nc_u32_e32 v56, 1, v54
	v_add_nc_u32_e32 v57, 1, v53
	v_cndmask_b32_e64 v51, v50, v51, s7
	v_mov_b32_e32 v50, v34
	v_cndmask_b32_e64 v48, v48, v49, s6
	v_cndmask_b32_e64 v54, v56, v54, s7
	;; [unrolled: 1-line block ×3, first 2 shown]
	s_wait_dscnt 0x0
	v_cmp_lt_i32_e64 s7, v55, v52
	v_cndmask_b32_e64 v46, v46, v47, s5
	s_wait_loadcnt 0x0
	v_cmp_ge_i32_e64 s8, v54, v26
	v_cmp_lt_i32_e64 s6, v53, v27
	s_barrier_signal -1
	s_barrier_wait -1
	global_inv scope:SCOPE_SE
	s_or_b32 s5, s8, s7
	s_wait_alu 0xfffe
	s_and_b32 s5, s6, s5
	s_wait_alu 0xfffe
	v_cndmask_b32_e64 v47, v52, v55, s5
	ds_store_2addr_b32 v5, v46, v48 offset1:1
	ds_store_2addr_b32 v5, v51, v47 offset0:2 offset1:3
	s_wait_loadcnt_dscnt 0x0
	s_barrier_signal -1
	s_barrier_wait -1
	global_inv scope:SCOPE_SE
	s_and_saveexec_b32 s6, s4
	s_cbranch_execz .LBB6_86
; %bb.83:                               ;   in Loop: Header=BB6_2 Depth=1
	v_mov_b32_e32 v50, v34
	v_mov_b32_e32 v46, v35
	s_mov_b32 s7, 0
.LBB6_84:                               ;   Parent Loop BB6_2 Depth=1
                                        ; =>  This Inner Loop Header: Depth=2
	s_delay_alu instid0(VALU_DEP_1) | instskip(NEXT) | instid1(VALU_DEP_1)
	v_sub_nc_u32_e32 v47, v46, v50
	v_lshrrev_b32_e32 v47, 1, v47
	s_delay_alu instid0(VALU_DEP_1) | instskip(NEXT) | instid1(VALU_DEP_1)
	v_add_nc_u32_e32 v47, v47, v50
	v_not_b32_e32 v48, v47
	v_lshlrev_b32_e32 v49, 2, v47
	v_add_nc_u32_e32 v51, 1, v47
	s_delay_alu instid0(VALU_DEP_3)
	v_lshl_add_u32 v48, v48, 2, v45
	ds_load_b32 v49, v49
	ds_load_b32 v48, v48
	s_wait_dscnt 0x0
	v_cmp_lt_i32_e64 s5, v48, v49
	s_wait_alu 0xf1ff
	s_delay_alu instid0(VALU_DEP_1) | instskip(SKIP_1) | instid1(VALU_DEP_1)
	v_cndmask_b32_e64 v46, v46, v47, s5
	v_cndmask_b32_e64 v50, v51, v50, s5
	v_cmp_ge_i32_e64 s5, v50, v46
	s_wait_alu 0xfffe
	s_or_b32 s7, s5, s7
	s_wait_alu 0xfffe
	s_and_not1_b32 exec_lo, exec_lo, s7
	s_cbranch_execnz .LBB6_84
; %bb.85:                               ;   in Loop: Header=BB6_2 Depth=1
	s_or_b32 exec_lo, exec_lo, s7
.LBB6_86:                               ;   in Loop: Header=BB6_2 Depth=1
	s_wait_alu 0xfffe
	s_or_b32 exec_lo, exec_lo, s6
	v_sub_nc_u32_e32 v51, v39, v50
	v_lshlrev_b32_e32 v49, 2, v50
	v_cmp_le_i32_e64 s5, 0x80, v50
                                        ; implicit-def: $vgpr48
	s_delay_alu instid0(VALU_DEP_3)
	v_lshlrev_b32_e32 v52, 2, v51
	v_cmp_gt_i32_e64 s7, 0x100, v51
	ds_load_b32 v46, v49
	ds_load_b32 v47, v52
	s_wait_dscnt 0x0
	v_cmp_lt_i32_e64 s6, v47, v46
	s_or_b32 s5, s5, s6
	s_wait_alu 0xfffe
	s_and_b32 s5, s7, s5
	s_wait_alu 0xfffe
	s_xor_b32 s6, s5, -1
	s_wait_alu 0xfffe
	s_and_saveexec_b32 s7, s6
	s_wait_alu 0xfffe
	s_xor_b32 s6, exec_lo, s7
; %bb.87:                               ;   in Loop: Header=BB6_2 Depth=1
	ds_load_b32 v48, v49 offset:4
                                        ; implicit-def: $vgpr52
; %bb.88:                               ;   in Loop: Header=BB6_2 Depth=1
	s_wait_alu 0xfffe
	s_or_saveexec_b32 s6, s6
	v_mov_b32_e32 v49, v47
	s_wait_alu 0xfffe
	s_xor_b32 exec_lo, exec_lo, s6
	s_cbranch_execz .LBB6_90
; %bb.89:                               ;   in Loop: Header=BB6_2 Depth=1
	ds_load_b32 v49, v52 offset:4
	s_wait_dscnt 0x1
	v_mov_b32_e32 v48, v46
.LBB6_90:                               ;   in Loop: Header=BB6_2 Depth=1
	s_or_b32 exec_lo, exec_lo, s6
	v_add_nc_u32_e32 v52, 1, v50
	v_add_nc_u32_e32 v54, 1, v51
	s_wait_dscnt 0x0
	v_cmp_lt_i32_e64 s7, v49, v48
	s_delay_alu instid0(VALU_DEP_3) | instskip(NEXT) | instid1(VALU_DEP_3)
	v_cndmask_b32_e64 v53, v52, v50, s5
	v_cndmask_b32_e64 v52, v51, v54, s5
                                        ; implicit-def: $vgpr50
	s_delay_alu instid0(VALU_DEP_2) | instskip(NEXT) | instid1(VALU_DEP_2)
	v_cmp_le_i32_e64 s6, 0x80, v53
	v_cmp_gt_i32_e64 s8, 0x100, v52
	s_or_b32 s6, s6, s7
	s_wait_alu 0xfffe
	s_and_b32 s6, s8, s6
	s_wait_alu 0xfffe
	s_xor_b32 s7, s6, -1
	s_wait_alu 0xfffe
	s_and_saveexec_b32 s8, s7
	s_delay_alu instid0(SALU_CYCLE_1)
	s_xor_b32 s7, exec_lo, s8
; %bb.91:                               ;   in Loop: Header=BB6_2 Depth=1
	v_lshlrev_b32_e32 v50, 2, v53
	ds_load_b32 v50, v50 offset:4
; %bb.92:                               ;   in Loop: Header=BB6_2 Depth=1
	s_wait_alu 0xfffe
	s_or_saveexec_b32 s7, s7
	v_mov_b32_e32 v51, v49
	s_wait_alu 0xfffe
	s_xor_b32 exec_lo, exec_lo, s7
	s_cbranch_execz .LBB6_94
; %bb.93:                               ;   in Loop: Header=BB6_2 Depth=1
	s_wait_dscnt 0x0
	v_lshlrev_b32_e32 v50, 2, v52
	ds_load_b32 v51, v50 offset:4
	v_mov_b32_e32 v50, v48
.LBB6_94:                               ;   in Loop: Header=BB6_2 Depth=1
	s_or_b32 exec_lo, exec_lo, s7
	v_add_nc_u32_e32 v54, 1, v53
	v_add_nc_u32_e32 v55, 1, v52
	s_wait_dscnt 0x0
	v_cmp_lt_i32_e64 s8, v51, v50
	s_delay_alu instid0(VALU_DEP_3) | instskip(NEXT) | instid1(VALU_DEP_3)
	v_cndmask_b32_e64 v54, v54, v53, s6
	v_cndmask_b32_e64 v52, v52, v55, s6
                                        ; implicit-def: $vgpr53
                                        ; implicit-def: $vgpr55
	s_delay_alu instid0(VALU_DEP_2) | instskip(NEXT) | instid1(VALU_DEP_2)
	v_cmp_le_i32_e64 s7, 0x80, v54
	v_cmp_gt_i32_e64 s9, 0x100, v52
	s_or_b32 s7, s7, s8
	s_wait_alu 0xfffe
	s_and_b32 s7, s9, s7
	s_wait_alu 0xfffe
	s_xor_b32 s8, s7, -1
	s_delay_alu instid0(SALU_CYCLE_1) | instskip(NEXT) | instid1(SALU_CYCLE_1)
	s_and_saveexec_b32 s9, s8
	s_xor_b32 s8, exec_lo, s9
; %bb.95:                               ;   in Loop: Header=BB6_2 Depth=1
	v_lshlrev_b32_e32 v53, 2, v54
	v_add_nc_u32_e32 v55, 1, v54
                                        ; implicit-def: $vgpr54
	ds_load_b32 v53, v53 offset:4
; %bb.96:                               ;   in Loop: Header=BB6_2 Depth=1
	s_or_saveexec_b32 s8, s8
	v_mov_b32_e32 v56, v51
	s_xor_b32 exec_lo, exec_lo, s8
	s_cbranch_execz .LBB6_1
; %bb.97:                               ;   in Loop: Header=BB6_2 Depth=1
	s_wait_dscnt 0x0
	v_lshlrev_b32_e32 v53, 2, v52
	v_dual_mov_b32 v55, v54 :: v_dual_add_nc_u32 v52, 1, v52
	ds_load_b32 v56, v53 offset:4
	v_mov_b32_e32 v53, v50
	s_branch .LBB6_1
.LBB6_98:
	v_lshlrev_b32_e32 v0, 2, v0
	s_add_nc_u64 s[0:1], s[14:15], s[16:17]
	s_clause 0x3
	global_store_b32 v0, v46, s[0:1]
	global_store_b32 v0, v47, s[0:1] offset:256
	global_store_b32 v0, v48, s[0:1] offset:512
	;; [unrolled: 1-line block ×3, first 2 shown]
	s_endpgm
	.section	.rodata,"a",@progbits
	.p2align	6, 0x0
	.amdhsa_kernel _Z16sort_keys_kernelIiLj64ELj4EN10test_utils4lessELj10EEvPKT_PS2_T2_
		.amdhsa_group_segment_fixed_size 1028
		.amdhsa_private_segment_fixed_size 0
		.amdhsa_kernarg_size 20
		.amdhsa_user_sgpr_count 2
		.amdhsa_user_sgpr_dispatch_ptr 0
		.amdhsa_user_sgpr_queue_ptr 0
		.amdhsa_user_sgpr_kernarg_segment_ptr 1
		.amdhsa_user_sgpr_dispatch_id 0
		.amdhsa_user_sgpr_private_segment_size 0
		.amdhsa_wavefront_size32 1
		.amdhsa_uses_dynamic_stack 0
		.amdhsa_enable_private_segment 0
		.amdhsa_system_sgpr_workgroup_id_x 1
		.amdhsa_system_sgpr_workgroup_id_y 0
		.amdhsa_system_sgpr_workgroup_id_z 0
		.amdhsa_system_sgpr_workgroup_info 0
		.amdhsa_system_vgpr_workitem_id 0
		.amdhsa_next_free_vgpr 58
		.amdhsa_next_free_sgpr 18
		.amdhsa_reserve_vcc 1
		.amdhsa_float_round_mode_32 0
		.amdhsa_float_round_mode_16_64 0
		.amdhsa_float_denorm_mode_32 3
		.amdhsa_float_denorm_mode_16_64 3
		.amdhsa_fp16_overflow 0
		.amdhsa_workgroup_processor_mode 1
		.amdhsa_memory_ordered 1
		.amdhsa_forward_progress 1
		.amdhsa_inst_pref_size 44
		.amdhsa_round_robin_scheduling 0
		.amdhsa_exception_fp_ieee_invalid_op 0
		.amdhsa_exception_fp_denorm_src 0
		.amdhsa_exception_fp_ieee_div_zero 0
		.amdhsa_exception_fp_ieee_overflow 0
		.amdhsa_exception_fp_ieee_underflow 0
		.amdhsa_exception_fp_ieee_inexact 0
		.amdhsa_exception_int_div_zero 0
	.end_amdhsa_kernel
	.section	.text._Z16sort_keys_kernelIiLj64ELj4EN10test_utils4lessELj10EEvPKT_PS2_T2_,"axG",@progbits,_Z16sort_keys_kernelIiLj64ELj4EN10test_utils4lessELj10EEvPKT_PS2_T2_,comdat
.Lfunc_end6:
	.size	_Z16sort_keys_kernelIiLj64ELj4EN10test_utils4lessELj10EEvPKT_PS2_T2_, .Lfunc_end6-_Z16sort_keys_kernelIiLj64ELj4EN10test_utils4lessELj10EEvPKT_PS2_T2_
                                        ; -- End function
	.set _Z16sort_keys_kernelIiLj64ELj4EN10test_utils4lessELj10EEvPKT_PS2_T2_.num_vgpr, 58
	.set _Z16sort_keys_kernelIiLj64ELj4EN10test_utils4lessELj10EEvPKT_PS2_T2_.num_agpr, 0
	.set _Z16sort_keys_kernelIiLj64ELj4EN10test_utils4lessELj10EEvPKT_PS2_T2_.numbered_sgpr, 18
	.set _Z16sort_keys_kernelIiLj64ELj4EN10test_utils4lessELj10EEvPKT_PS2_T2_.num_named_barrier, 0
	.set _Z16sort_keys_kernelIiLj64ELj4EN10test_utils4lessELj10EEvPKT_PS2_T2_.private_seg_size, 0
	.set _Z16sort_keys_kernelIiLj64ELj4EN10test_utils4lessELj10EEvPKT_PS2_T2_.uses_vcc, 1
	.set _Z16sort_keys_kernelIiLj64ELj4EN10test_utils4lessELj10EEvPKT_PS2_T2_.uses_flat_scratch, 0
	.set _Z16sort_keys_kernelIiLj64ELj4EN10test_utils4lessELj10EEvPKT_PS2_T2_.has_dyn_sized_stack, 0
	.set _Z16sort_keys_kernelIiLj64ELj4EN10test_utils4lessELj10EEvPKT_PS2_T2_.has_recursion, 0
	.set _Z16sort_keys_kernelIiLj64ELj4EN10test_utils4lessELj10EEvPKT_PS2_T2_.has_indirect_call, 0
	.section	.AMDGPU.csdata,"",@progbits
; Kernel info:
; codeLenInByte = 5540
; TotalNumSgprs: 20
; NumVgprs: 58
; ScratchSize: 0
; MemoryBound: 0
; FloatMode: 240
; IeeeMode: 1
; LDSByteSize: 1028 bytes/workgroup (compile time only)
; SGPRBlocks: 0
; VGPRBlocks: 7
; NumSGPRsForWavesPerEU: 20
; NumVGPRsForWavesPerEU: 58
; Occupancy: 16
; WaveLimiterHint : 1
; COMPUTE_PGM_RSRC2:SCRATCH_EN: 0
; COMPUTE_PGM_RSRC2:USER_SGPR: 2
; COMPUTE_PGM_RSRC2:TRAP_HANDLER: 0
; COMPUTE_PGM_RSRC2:TGID_X_EN: 1
; COMPUTE_PGM_RSRC2:TGID_Y_EN: 0
; COMPUTE_PGM_RSRC2:TGID_Z_EN: 0
; COMPUTE_PGM_RSRC2:TIDIG_COMP_CNT: 0
	.section	.text._Z17sort_pairs_kernelIiLj64ELj4EN10test_utils4lessELj10EEvPKT_PS2_T2_,"axG",@progbits,_Z17sort_pairs_kernelIiLj64ELj4EN10test_utils4lessELj10EEvPKT_PS2_T2_,comdat
	.protected	_Z17sort_pairs_kernelIiLj64ELj4EN10test_utils4lessELj10EEvPKT_PS2_T2_ ; -- Begin function _Z17sort_pairs_kernelIiLj64ELj4EN10test_utils4lessELj10EEvPKT_PS2_T2_
	.globl	_Z17sort_pairs_kernelIiLj64ELj4EN10test_utils4lessELj10EEvPKT_PS2_T2_
	.p2align	8
	.type	_Z17sort_pairs_kernelIiLj64ELj4EN10test_utils4lessELj10EEvPKT_PS2_T2_,@function
_Z17sort_pairs_kernelIiLj64ELj4EN10test_utils4lessELj10EEvPKT_PS2_T2_: ; @_Z17sort_pairs_kernelIiLj64ELj4EN10test_utils4lessELj10EEvPKT_PS2_T2_
; %bb.0:
	s_load_b128 s[16:19], s[0:1], 0x0
	s_lshl_b32 s22, ttmp9, 8
	s_mov_b32 s23, 0
	v_lshlrev_b32_e32 v9, 2, v0
	s_lshl_b64 s[20:21], s[22:23], 2
	v_lshlrev_b32_e32 v1, 4, v0
	s_delay_alu instid0(VALU_DEP_2)
	v_and_b32_e32 v2, 0xf8, v9
	v_and_b32_e32 v3, 0xf0, v9
	;; [unrolled: 1-line block ×5, first 2 shown]
	v_or_b32_e32 v10, 4, v2
	v_add_nc_u32_e32 v11, 8, v2
	v_or_b32_e32 v13, 8, v3
	v_add_nc_u32_e32 v14, 16, v3
	v_and_b32_e32 v5, 0xc0, v9
	v_or_b32_e32 v16, 16, v4
	v_sub_nc_u32_e32 v45, v11, v10
	s_wait_kmcnt 0x0
	s_add_nc_u64 s[0:1], s[16:17], s[20:21]
	v_add_nc_u32_e32 v17, 32, v4
	s_clause 0x3
	global_load_b32 v52, v9, s[0:1]
	global_load_b32 v53, v9, s[0:1] offset:256
	global_load_b32 v51, v9, s[0:1] offset:512
	;; [unrolled: 1-line block ×3, first 2 shown]
	v_sub_nc_u32_e32 v35, v10, v2
	v_sub_nc_u32_e32 v46, v14, v13
	v_sub_nc_u32_e32 v54, v40, v45
	v_cmp_ge_i32_e64 s0, v40, v45
	v_and_b32_e32 v42, 28, v9
	v_and_b32_e32 v6, 0x80, v9
	v_or_b32_e32 v19, 32, v5
	v_add_nc_u32_e32 v20, 64, v5
	v_lshlrev_b32_e32 v30, 2, v40
	v_add_nc_u32_e32 v25, v10, v40
	v_sub_nc_u32_e32 v36, v13, v3
	v_sub_nc_u32_e32 v47, v17, v16
	v_min_i32_e32 v35, v40, v35
	v_sub_nc_u32_e32 v55, v41, v46
	v_cndmask_b32_e64 v40, 0, v54, s0
	v_cmp_ge_i32_e64 s0, v41, v46
	v_and_b32_e32 v43, 60, v9
	v_or_b32_e32 v22, 64, v6
	v_add_nc_u32_e32 v23, 0x80, v6
	v_lshlrev_b32_e32 v31, 2, v41
	v_add_nc_u32_e32 v26, v13, v41
	v_sub_nc_u32_e32 v37, v16, v4
	v_sub_nc_u32_e32 v48, v20, v19
	v_min_i32_e32 v36, v41, v36
	v_sub_nc_u32_e32 v56, v42, v47
	s_wait_alu 0xf1ff
	v_cndmask_b32_e64 v41, 0, v55, s0
	v_cmp_ge_i32_e64 s0, v42, v47
	v_and_b32_e32 v44, 0x7c, v9
	v_lshlrev_b32_e32 v32, 2, v42
	v_add_nc_u32_e32 v27, v16, v42
	v_sub_nc_u32_e32 v38, v19, v5
	v_sub_nc_u32_e32 v49, v23, v22
	v_min_i32_e32 v37, v42, v37
	v_sub_nc_u32_e32 v57, v43, v48
	s_wait_alu 0xf1ff
	v_cndmask_b32_e64 v42, 0, v56, s0
	v_cmp_ge_i32_e64 s0, v43, v48
	v_lshlrev_b32_e32 v33, 2, v43
	v_add_nc_u32_e32 v28, v19, v43
	v_sub_nc_u32_e32 v39, v22, v6
	v_min_i32_e32 v38, v43, v38
	v_sub_nc_u32_e32 v58, v44, v49
	s_wait_alu 0xf1ff
	v_cndmask_b32_e64 v43, 0, v57, s0
	v_cmp_ge_i32_e64 s0, v44, v49
	v_lshlrev_b32_e32 v34, 2, v44
	v_add_nc_u32_e32 v29, v22, v44
	v_min_i32_e32 v39, v44, v39
	v_subrev_nc_u32_e64 v7, 0x80, v9 clamp
	s_wait_alu 0xf1ff
	v_cndmask_b32_e64 v44, 0, v58, s0
	v_min_i32_e32 v8, 0x80, v9
	v_add_nc_u32_e32 v9, 0x80, v9
	v_lshlrev_b32_e32 v12, 2, v2
	v_lshlrev_b32_e32 v15, 2, v3
	;; [unrolled: 1-line block ×5, first 2 shown]
	v_lshl_add_u32 v30, v10, 2, v30
	v_lshl_add_u32 v31, v13, 2, v31
	;; [unrolled: 1-line block ×5, first 2 shown]
	v_cmp_lt_i32_e64 s0, v40, v35
	v_cmp_lt_i32_e64 s1, v41, v36
	;; [unrolled: 1-line block ×5, first 2 shown]
	v_add_nc_u32_e32 v45, 0x200, v1
	v_cmp_lt_i32_e32 vcc_lo, v7, v8
	s_wait_loadcnt 0x3
	v_add_nc_u32_e32 v48, 1, v52
	s_wait_loadcnt 0x2
	v_add_nc_u32_e32 v49, 1, v53
	;; [unrolled: 2-line block ×4, first 2 shown]
	s_branch .LBB7_2
.LBB7_1:                                ;   in Loop: Header=BB7_2 Depth=1
	s_or_b32 exec_lo, exec_lo, s8
	v_cmp_le_i32_e64 s8, 0x80, v62
	s_wait_dscnt 0x0
	v_cmp_lt_i32_e64 s9, v65, v63
	v_cmp_gt_i32_e64 s10, 0x100, v60
	v_cndmask_b32_e64 v54, v50, v54, s5
	v_cndmask_b32_e64 v58, v58, v59, s6
	s_wait_loadcnt 0x0
	s_or_b32 s8, s8, s9
	s_barrier_signal -1
	s_wait_alu 0xfffe
	s_and_b32 s8, s10, s8
	s_barrier_wait -1
	s_wait_alu 0xfffe
	v_cndmask_b32_e64 v59, v62, v60, s8
	global_inv scope:SCOPE_SE
	ds_store_2addr_b32 v1, v46, v47 offset1:1
	ds_store_2addr_b32 v1, v48, v49 offset0:2 offset1:3
	v_lshlrev_b32_e32 v46, 2, v54
	v_lshlrev_b32_e32 v47, 2, v58
	;; [unrolled: 1-line block ×4, first 2 shown]
	s_wait_loadcnt_dscnt 0x0
	s_barrier_signal -1
	s_barrier_wait -1
	global_inv scope:SCOPE_SE
	ds_load_b32 v48, v46
	ds_load_b32 v49, v47
	;; [unrolled: 1-line block ×4, first 2 shown]
	v_cndmask_b32_e64 v50, v63, v65, s8
	v_cndmask_b32_e64 v52, v51, v52, s5
	;; [unrolled: 1-line block ×4, first 2 shown]
	s_add_co_i32 s23, s23, 1
	s_delay_alu instid0(SALU_CYCLE_1)
	s_cmp_eq_u32 s23, 10
	s_cbranch_scc1 .LBB7_98
.LBB7_2:                                ; =>This Loop Header: Depth=1
                                        ;     Child Loop BB7_4 Depth 2
                                        ;     Child Loop BB7_20 Depth 2
	;; [unrolled: 1-line block ×6, first 2 shown]
	v_cmp_lt_i32_e64 s6, v53, v52
	v_cmp_lt_i32_e64 s8, v50, v51
	v_min_i32_e32 v55, v50, v51
	s_barrier_signal -1
	s_wait_alu 0xf1ff
	v_cndmask_b32_e64 v54, v52, v53, s6
	v_cndmask_b32_e64 v52, v53, v52, s6
	v_cndmask_b32_e64 v53, v50, v51, s8
	v_cndmask_b32_e64 v50, v51, v50, s8
	s_barrier_wait -1
	global_inv scope:SCOPE_SE
	v_cmp_lt_i32_e64 s10, v55, v52
	v_min_i32_e32 v51, v55, v52
	s_wait_alu 0xf1ff
	s_delay_alu instid0(VALU_DEP_2) | instskip(SKIP_1) | instid1(VALU_DEP_3)
	v_cndmask_b32_e64 v50, v50, v52, s10
	v_cndmask_b32_e64 v52, v52, v55, s10
	v_cmp_lt_i32_e64 s5, v51, v54
	s_delay_alu instid0(VALU_DEP_3) | instskip(SKIP_2) | instid1(VALU_DEP_3)
	v_cmp_lt_i32_e64 s7, v53, v50
	v_min_i32_e32 v55, v53, v50
	s_wait_alu 0xf1ff
	v_cndmask_b32_e64 v52, v52, v54, s5
	v_cndmask_b32_e64 v51, v54, v51, s5
	;; [unrolled: 1-line block ×4, first 2 shown]
	s_delay_alu instid0(VALU_DEP_4) | instskip(SKIP_1) | instid1(VALU_DEP_1)
	v_cmp_lt_i32_e64 s9, v55, v52
	s_wait_alu 0xf1ff
	v_cndmask_b32_e64 v50, v50, v52, s9
	v_cndmask_b32_e64 v53, v52, v55, s9
	v_mov_b32_e32 v52, v40
	ds_store_2addr_b32 v1, v51, v53 offset1:1
	ds_store_2addr_b32 v1, v50, v54 offset0:2 offset1:3
	s_wait_loadcnt_dscnt 0x0
	s_barrier_signal -1
	s_barrier_wait -1
	global_inv scope:SCOPE_SE
	s_and_saveexec_b32 s12, s0
	s_cbranch_execz .LBB7_6
; %bb.3:                                ;   in Loop: Header=BB7_2 Depth=1
	v_mov_b32_e32 v52, v40
	v_mov_b32_e32 v50, v35
	s_mov_b32 s13, 0
.LBB7_4:                                ;   Parent Loop BB7_2 Depth=1
                                        ; =>  This Inner Loop Header: Depth=2
	s_delay_alu instid0(VALU_DEP_1) | instskip(NEXT) | instid1(VALU_DEP_1)
	v_sub_nc_u32_e32 v51, v50, v52
	v_lshrrev_b32_e32 v51, 1, v51
	s_delay_alu instid0(VALU_DEP_1) | instskip(NEXT) | instid1(VALU_DEP_1)
	v_add_nc_u32_e32 v51, v51, v52
	v_not_b32_e32 v53, v51
	v_lshl_add_u32 v54, v51, 2, v12
	v_add_nc_u32_e32 v55, 1, v51
	s_delay_alu instid0(VALU_DEP_3)
	v_lshl_add_u32 v53, v53, 2, v30
	ds_load_b32 v54, v54
	ds_load_b32 v53, v53
	s_wait_dscnt 0x0
	v_cmp_lt_i32_e64 s11, v53, v54
	s_wait_alu 0xf1ff
	s_delay_alu instid0(VALU_DEP_1) | instskip(SKIP_1) | instid1(VALU_DEP_1)
	v_cndmask_b32_e64 v50, v50, v51, s11
	v_cndmask_b32_e64 v52, v55, v52, s11
	v_cmp_ge_i32_e64 s11, v52, v50
	s_wait_alu 0xfffe
	s_or_b32 s13, s11, s13
	s_wait_alu 0xfffe
	s_and_not1_b32 exec_lo, exec_lo, s13
	s_cbranch_execnz .LBB7_4
; %bb.5:                                ;   in Loop: Header=BB7_2 Depth=1
	s_or_b32 exec_lo, exec_lo, s13
.LBB7_6:                                ;   in Loop: Header=BB7_2 Depth=1
	s_wait_alu 0xfffe
	s_or_b32 exec_lo, exec_lo, s12
	v_sub_nc_u32_e32 v54, v25, v52
	v_lshl_add_u32 v53, v52, 2, v12
	v_add_nc_u32_e32 v55, v52, v2
                                        ; implicit-def: $vgpr52
	s_delay_alu instid0(VALU_DEP_3) | instskip(SKIP_1) | instid1(VALU_DEP_3)
	v_lshlrev_b32_e32 v56, 2, v54
	v_cmp_gt_i32_e64 s13, v11, v54
	v_cmp_le_i32_e64 s11, v10, v55
	ds_load_b32 v50, v53
	ds_load_b32 v51, v56
	s_wait_dscnt 0x0
	v_cmp_lt_i32_e64 s12, v51, v50
	s_or_b32 s11, s11, s12
	s_wait_alu 0xfffe
	s_and_b32 s11, s13, s11
	s_wait_alu 0xfffe
	s_xor_b32 s12, s11, -1
	s_wait_alu 0xfffe
	s_and_saveexec_b32 s13, s12
	s_wait_alu 0xfffe
	s_xor_b32 s12, exec_lo, s13
; %bb.7:                                ;   in Loop: Header=BB7_2 Depth=1
	ds_load_b32 v52, v53 offset:4
                                        ; implicit-def: $vgpr56
; %bb.8:                                ;   in Loop: Header=BB7_2 Depth=1
	s_wait_alu 0xfffe
	s_or_saveexec_b32 s12, s12
	v_mov_b32_e32 v53, v51
	s_wait_alu 0xfffe
	s_xor_b32 exec_lo, exec_lo, s12
	s_cbranch_execz .LBB7_10
; %bb.9:                                ;   in Loop: Header=BB7_2 Depth=1
	ds_load_b32 v53, v56 offset:4
	s_wait_dscnt 0x1
	v_mov_b32_e32 v52, v50
.LBB7_10:                               ;   in Loop: Header=BB7_2 Depth=1
	s_or_b32 exec_lo, exec_lo, s12
	v_add_nc_u32_e32 v56, 1, v55
	v_add_nc_u32_e32 v57, 1, v54
	s_wait_dscnt 0x0
	v_cmp_lt_i32_e64 s13, v53, v52
	s_delay_alu instid0(VALU_DEP_3) | instskip(NEXT) | instid1(VALU_DEP_3)
	v_cndmask_b32_e64 v58, v56, v55, s11
	v_cndmask_b32_e64 v59, v54, v57, s11
                                        ; implicit-def: $vgpr56
	s_delay_alu instid0(VALU_DEP_2) | instskip(NEXT) | instid1(VALU_DEP_2)
	v_cmp_ge_i32_e64 s12, v58, v10
	v_cmp_lt_i32_e64 s14, v59, v11
	s_or_b32 s12, s12, s13
	s_wait_alu 0xfffe
	s_and_b32 s12, s14, s12
	s_wait_alu 0xfffe
	s_xor_b32 s13, s12, -1
	s_wait_alu 0xfffe
	s_and_saveexec_b32 s14, s13
	s_delay_alu instid0(SALU_CYCLE_1)
	s_xor_b32 s13, exec_lo, s14
; %bb.11:                               ;   in Loop: Header=BB7_2 Depth=1
	v_lshlrev_b32_e32 v56, 2, v58
	ds_load_b32 v56, v56 offset:4
; %bb.12:                               ;   in Loop: Header=BB7_2 Depth=1
	s_wait_alu 0xfffe
	s_or_saveexec_b32 s13, s13
	v_mov_b32_e32 v57, v53
	s_wait_alu 0xfffe
	s_xor_b32 exec_lo, exec_lo, s13
	s_cbranch_execz .LBB7_14
; %bb.13:                               ;   in Loop: Header=BB7_2 Depth=1
	s_wait_dscnt 0x0
	v_lshlrev_b32_e32 v56, 2, v59
	ds_load_b32 v57, v56 offset:4
	v_mov_b32_e32 v56, v52
.LBB7_14:                               ;   in Loop: Header=BB7_2 Depth=1
	s_or_b32 exec_lo, exec_lo, s13
	v_add_nc_u32_e32 v60, 1, v58
	v_add_nc_u32_e32 v62, 1, v59
	s_wait_dscnt 0x0
	v_cmp_lt_i32_e64 s14, v57, v56
	s_delay_alu instid0(VALU_DEP_3) | instskip(NEXT) | instid1(VALU_DEP_3)
	v_cndmask_b32_e64 v61, v60, v58, s12
	v_cndmask_b32_e64 v62, v59, v62, s12
                                        ; implicit-def: $vgpr60
	s_delay_alu instid0(VALU_DEP_2) | instskip(NEXT) | instid1(VALU_DEP_2)
	v_cmp_ge_i32_e64 s13, v61, v10
	v_cmp_lt_i32_e64 s15, v62, v11
	s_or_b32 s13, s13, s14
	s_wait_alu 0xfffe
	s_and_b32 s13, s15, s13
	s_wait_alu 0xfffe
	s_xor_b32 s14, s13, -1
	s_delay_alu instid0(SALU_CYCLE_1) | instskip(NEXT) | instid1(SALU_CYCLE_1)
	s_and_saveexec_b32 s15, s14
	s_xor_b32 s14, exec_lo, s15
; %bb.15:                               ;   in Loop: Header=BB7_2 Depth=1
	v_lshlrev_b32_e32 v60, 2, v61
	ds_load_b32 v60, v60 offset:4
; %bb.16:                               ;   in Loop: Header=BB7_2 Depth=1
	s_or_saveexec_b32 s14, s14
	v_mov_b32_e32 v63, v57
	s_xor_b32 exec_lo, exec_lo, s14
	s_cbranch_execz .LBB7_18
; %bb.17:                               ;   in Loop: Header=BB7_2 Depth=1
	s_wait_dscnt 0x0
	v_lshlrev_b32_e32 v60, 2, v62
	ds_load_b32 v63, v60 offset:4
	v_mov_b32_e32 v60, v56
.LBB7_18:                               ;   in Loop: Header=BB7_2 Depth=1
	s_or_b32 exec_lo, exec_lo, s14
	v_add_nc_u32_e32 v65, 1, v61
	v_cndmask_b32_e64 v66, v49, v48, s6
	v_cndmask_b32_e64 v67, v46, v47, s8
	v_add_nc_u32_e32 v64, 1, v62
	v_cndmask_b32_e64 v48, v48, v49, s6
	v_cndmask_b32_e64 v65, v65, v61, s13
	;; [unrolled: 1-line block ×6, first 2 shown]
	v_cmp_ge_i32_e64 s6, v65, v10
	s_wait_dscnt 0x0
	v_cmp_lt_i32_e64 s8, v63, v60
	v_cndmask_b32_e64 v58, v58, v59, s12
	v_cndmask_b32_e64 v54, v55, v54, s11
	;; [unrolled: 1-line block ×5, first 2 shown]
	v_cmp_lt_i32_e64 s5, v64, v11
	s_or_b32 s6, s6, s8
	v_cndmask_b32_e64 v46, v46, v49, s7
	v_cndmask_b32_e64 v49, v55, v59, s9
	;; [unrolled: 1-line block ×3, first 2 shown]
	s_wait_alu 0xfffe
	s_and_b32 s5, s5, s6
	v_cndmask_b32_e64 v61, v61, v62, s13
	s_wait_alu 0xfffe
	v_cndmask_b32_e64 v59, v65, v64, s5
	s_wait_loadcnt 0x0
	s_barrier_signal -1
	s_barrier_wait -1
	global_inv scope:SCOPE_SE
	ds_store_2addr_b32 v1, v47, v49 offset1:1
	ds_store_2addr_b32 v1, v48, v46 offset0:2 offset1:3
	v_lshlrev_b32_e32 v46, 2, v54
	v_lshlrev_b32_e32 v47, 2, v58
	v_lshlrev_b32_e32 v48, 2, v61
	v_lshlrev_b32_e32 v49, 2, v59
	s_wait_loadcnt_dscnt 0x0
	s_barrier_signal -1
	s_barrier_wait -1
	global_inv scope:SCOPE_SE
	ds_load_b32 v46, v46
	ds_load_b32 v47, v47
	;; [unrolled: 1-line block ×4, first 2 shown]
	v_cndmask_b32_e64 v52, v52, v53, s12
	v_cndmask_b32_e64 v50, v50, v51, s11
	;; [unrolled: 1-line block ×4, first 2 shown]
	s_wait_loadcnt_dscnt 0x0
	s_barrier_signal -1
	s_barrier_wait -1
	global_inv scope:SCOPE_SE
	ds_store_2addr_b32 v1, v50, v52 offset1:1
	ds_store_2addr_b32 v1, v54, v55 offset0:2 offset1:3
	v_mov_b32_e32 v52, v41
	s_wait_loadcnt_dscnt 0x0
	s_barrier_signal -1
	s_barrier_wait -1
	global_inv scope:SCOPE_SE
	s_and_saveexec_b32 s6, s1
	s_cbranch_execz .LBB7_22
; %bb.19:                               ;   in Loop: Header=BB7_2 Depth=1
	v_mov_b32_e32 v52, v41
	v_mov_b32_e32 v50, v36
	s_mov_b32 s7, 0
.LBB7_20:                               ;   Parent Loop BB7_2 Depth=1
                                        ; =>  This Inner Loop Header: Depth=2
	s_delay_alu instid0(VALU_DEP_1) | instskip(NEXT) | instid1(VALU_DEP_1)
	v_sub_nc_u32_e32 v51, v50, v52
	v_lshrrev_b32_e32 v51, 1, v51
	s_delay_alu instid0(VALU_DEP_1) | instskip(NEXT) | instid1(VALU_DEP_1)
	v_add_nc_u32_e32 v51, v51, v52
	v_not_b32_e32 v53, v51
	v_lshl_add_u32 v54, v51, 2, v15
	v_add_nc_u32_e32 v55, 1, v51
	s_delay_alu instid0(VALU_DEP_3)
	v_lshl_add_u32 v53, v53, 2, v31
	ds_load_b32 v54, v54
	ds_load_b32 v53, v53
	s_wait_dscnt 0x0
	v_cmp_lt_i32_e64 s5, v53, v54
	s_wait_alu 0xf1ff
	s_delay_alu instid0(VALU_DEP_1) | instskip(SKIP_1) | instid1(VALU_DEP_1)
	v_cndmask_b32_e64 v50, v50, v51, s5
	v_cndmask_b32_e64 v52, v55, v52, s5
	v_cmp_ge_i32_e64 s5, v52, v50
	s_wait_alu 0xfffe
	s_or_b32 s7, s5, s7
	s_wait_alu 0xfffe
	s_and_not1_b32 exec_lo, exec_lo, s7
	s_cbranch_execnz .LBB7_20
; %bb.21:                               ;   in Loop: Header=BB7_2 Depth=1
	s_or_b32 exec_lo, exec_lo, s7
.LBB7_22:                               ;   in Loop: Header=BB7_2 Depth=1
	s_wait_alu 0xfffe
	s_or_b32 exec_lo, exec_lo, s6
	v_sub_nc_u32_e32 v54, v26, v52
	v_lshl_add_u32 v53, v52, 2, v15
	v_add_nc_u32_e32 v55, v52, v3
                                        ; implicit-def: $vgpr52
	s_delay_alu instid0(VALU_DEP_3) | instskip(SKIP_1) | instid1(VALU_DEP_3)
	v_lshlrev_b32_e32 v56, 2, v54
	v_cmp_gt_i32_e64 s7, v14, v54
	v_cmp_le_i32_e64 s5, v13, v55
	ds_load_b32 v50, v53
	ds_load_b32 v51, v56
	s_wait_dscnt 0x0
	v_cmp_lt_i32_e64 s6, v51, v50
	s_or_b32 s5, s5, s6
	s_wait_alu 0xfffe
	s_and_b32 s5, s7, s5
	s_wait_alu 0xfffe
	s_xor_b32 s6, s5, -1
	s_wait_alu 0xfffe
	s_and_saveexec_b32 s7, s6
	s_wait_alu 0xfffe
	s_xor_b32 s6, exec_lo, s7
; %bb.23:                               ;   in Loop: Header=BB7_2 Depth=1
	ds_load_b32 v52, v53 offset:4
                                        ; implicit-def: $vgpr56
; %bb.24:                               ;   in Loop: Header=BB7_2 Depth=1
	s_wait_alu 0xfffe
	s_or_saveexec_b32 s6, s6
	v_mov_b32_e32 v53, v51
	s_wait_alu 0xfffe
	s_xor_b32 exec_lo, exec_lo, s6
	s_cbranch_execz .LBB7_26
; %bb.25:                               ;   in Loop: Header=BB7_2 Depth=1
	ds_load_b32 v53, v56 offset:4
	s_wait_dscnt 0x1
	v_mov_b32_e32 v52, v50
.LBB7_26:                               ;   in Loop: Header=BB7_2 Depth=1
	s_or_b32 exec_lo, exec_lo, s6
	v_add_nc_u32_e32 v56, 1, v55
	v_add_nc_u32_e32 v57, 1, v54
	s_wait_dscnt 0x0
	v_cmp_lt_i32_e64 s7, v53, v52
	s_delay_alu instid0(VALU_DEP_3) | instskip(NEXT) | instid1(VALU_DEP_3)
	v_cndmask_b32_e64 v58, v56, v55, s5
	v_cndmask_b32_e64 v59, v54, v57, s5
                                        ; implicit-def: $vgpr56
	s_delay_alu instid0(VALU_DEP_2) | instskip(NEXT) | instid1(VALU_DEP_2)
	v_cmp_ge_i32_e64 s6, v58, v13
	v_cmp_lt_i32_e64 s8, v59, v14
	s_or_b32 s6, s6, s7
	s_wait_alu 0xfffe
	s_and_b32 s6, s8, s6
	s_wait_alu 0xfffe
	s_xor_b32 s7, s6, -1
	s_wait_alu 0xfffe
	s_and_saveexec_b32 s8, s7
	s_wait_alu 0xfffe
	s_xor_b32 s7, exec_lo, s8
; %bb.27:                               ;   in Loop: Header=BB7_2 Depth=1
	v_lshlrev_b32_e32 v56, 2, v58
	ds_load_b32 v56, v56 offset:4
; %bb.28:                               ;   in Loop: Header=BB7_2 Depth=1
	s_wait_alu 0xfffe
	s_or_saveexec_b32 s7, s7
	v_mov_b32_e32 v57, v53
	s_wait_alu 0xfffe
	s_xor_b32 exec_lo, exec_lo, s7
	s_cbranch_execz .LBB7_30
; %bb.29:                               ;   in Loop: Header=BB7_2 Depth=1
	s_wait_dscnt 0x0
	v_lshlrev_b32_e32 v56, 2, v59
	ds_load_b32 v57, v56 offset:4
	v_mov_b32_e32 v56, v52
.LBB7_30:                               ;   in Loop: Header=BB7_2 Depth=1
	s_or_b32 exec_lo, exec_lo, s7
	v_add_nc_u32_e32 v60, 1, v58
	v_add_nc_u32_e32 v61, 1, v59
	s_wait_dscnt 0x0
	v_cmp_lt_i32_e64 s8, v57, v56
	s_delay_alu instid0(VALU_DEP_3) | instskip(NEXT) | instid1(VALU_DEP_3)
	v_cndmask_b32_e64 v62, v60, v58, s6
	v_cndmask_b32_e64 v61, v59, v61, s6
                                        ; implicit-def: $vgpr60
	s_delay_alu instid0(VALU_DEP_2) | instskip(NEXT) | instid1(VALU_DEP_2)
	v_cmp_ge_i32_e64 s7, v62, v13
	v_cmp_lt_i32_e64 s9, v61, v14
	s_or_b32 s7, s7, s8
	s_wait_alu 0xfffe
	s_and_b32 s7, s9, s7
	s_wait_alu 0xfffe
	s_xor_b32 s8, s7, -1
	s_wait_alu 0xfffe
	s_and_saveexec_b32 s9, s8
	s_wait_alu 0xfffe
	s_xor_b32 s8, exec_lo, s9
; %bb.31:                               ;   in Loop: Header=BB7_2 Depth=1
	v_lshlrev_b32_e32 v60, 2, v62
	ds_load_b32 v60, v60 offset:4
; %bb.32:                               ;   in Loop: Header=BB7_2 Depth=1
	s_wait_alu 0xfffe
	s_or_saveexec_b32 s8, s8
	v_mov_b32_e32 v63, v57
	s_wait_alu 0xfffe
	s_xor_b32 exec_lo, exec_lo, s8
	s_cbranch_execz .LBB7_34
; %bb.33:                               ;   in Loop: Header=BB7_2 Depth=1
	s_wait_dscnt 0x0
	v_lshlrev_b32_e32 v60, 2, v61
	ds_load_b32 v63, v60 offset:4
	v_mov_b32_e32 v60, v56
.LBB7_34:                               ;   in Loop: Header=BB7_2 Depth=1
	s_or_b32 exec_lo, exec_lo, s8
	v_add_nc_u32_e32 v64, 1, v62
	v_add_nc_u32_e32 v65, 1, v61
	v_cndmask_b32_e64 v58, v58, v59, s6
	v_cndmask_b32_e64 v54, v55, v54, s5
	s_wait_dscnt 0x0
	v_cmp_lt_i32_e64 s8, v63, v60
	v_cndmask_b32_e64 v59, v64, v62, s7
	v_cndmask_b32_e64 v55, v61, v65, s7
	;; [unrolled: 1-line block ×3, first 2 shown]
	s_wait_loadcnt 0x0
	s_barrier_signal -1
	v_cmp_ge_i32_e64 s9, v59, v13
	v_cmp_lt_i32_e64 s10, v55, v14
	s_barrier_wait -1
	global_inv scope:SCOPE_SE
	ds_store_2addr_b32 v1, v46, v47 offset1:1
	ds_store_2addr_b32 v1, v48, v49 offset0:2 offset1:3
	s_or_b32 s8, s9, s8
	v_lshlrev_b32_e32 v47, 2, v54
	s_wait_alu 0xfffe
	s_and_b32 s8, s10, s8
	v_lshlrev_b32_e32 v48, 2, v58
	s_wait_alu 0xfffe
	v_cndmask_b32_e64 v46, v59, v55, s8
	v_lshlrev_b32_e32 v49, 2, v66
	s_wait_loadcnt_dscnt 0x0
	s_barrier_signal -1
	s_barrier_wait -1
	v_lshlrev_b32_e32 v54, 2, v46
	global_inv scope:SCOPE_SE
	ds_load_b32 v46, v47
	ds_load_b32 v47, v48
	;; [unrolled: 1-line block ×4, first 2 shown]
	v_cndmask_b32_e64 v52, v52, v53, s6
	v_cndmask_b32_e64 v50, v50, v51, s5
	;; [unrolled: 1-line block ×4, first 2 shown]
	s_wait_loadcnt_dscnt 0x0
	s_barrier_signal -1
	s_barrier_wait -1
	global_inv scope:SCOPE_SE
	ds_store_2addr_b32 v1, v50, v52 offset1:1
	ds_store_2addr_b32 v1, v54, v60 offset0:2 offset1:3
	v_mov_b32_e32 v52, v42
	s_wait_loadcnt_dscnt 0x0
	s_barrier_signal -1
	s_barrier_wait -1
	global_inv scope:SCOPE_SE
	s_and_saveexec_b32 s6, s2
	s_cbranch_execz .LBB7_38
; %bb.35:                               ;   in Loop: Header=BB7_2 Depth=1
	v_mov_b32_e32 v52, v42
	v_mov_b32_e32 v50, v37
	s_mov_b32 s7, 0
.LBB7_36:                               ;   Parent Loop BB7_2 Depth=1
                                        ; =>  This Inner Loop Header: Depth=2
	s_delay_alu instid0(VALU_DEP_1) | instskip(NEXT) | instid1(VALU_DEP_1)
	v_sub_nc_u32_e32 v51, v50, v52
	v_lshrrev_b32_e32 v51, 1, v51
	s_delay_alu instid0(VALU_DEP_1) | instskip(NEXT) | instid1(VALU_DEP_1)
	v_add_nc_u32_e32 v51, v51, v52
	v_not_b32_e32 v53, v51
	v_lshl_add_u32 v54, v51, 2, v18
	v_add_nc_u32_e32 v55, 1, v51
	s_delay_alu instid0(VALU_DEP_3)
	v_lshl_add_u32 v53, v53, 2, v32
	ds_load_b32 v54, v54
	ds_load_b32 v53, v53
	s_wait_dscnt 0x0
	v_cmp_lt_i32_e64 s5, v53, v54
	s_wait_alu 0xf1ff
	s_delay_alu instid0(VALU_DEP_1) | instskip(SKIP_1) | instid1(VALU_DEP_1)
	v_cndmask_b32_e64 v50, v50, v51, s5
	v_cndmask_b32_e64 v52, v55, v52, s5
	v_cmp_ge_i32_e64 s5, v52, v50
	s_wait_alu 0xfffe
	s_or_b32 s7, s5, s7
	s_wait_alu 0xfffe
	s_and_not1_b32 exec_lo, exec_lo, s7
	s_cbranch_execnz .LBB7_36
; %bb.37:                               ;   in Loop: Header=BB7_2 Depth=1
	s_or_b32 exec_lo, exec_lo, s7
.LBB7_38:                               ;   in Loop: Header=BB7_2 Depth=1
	s_wait_alu 0xfffe
	s_or_b32 exec_lo, exec_lo, s6
	v_sub_nc_u32_e32 v54, v27, v52
	v_lshl_add_u32 v53, v52, 2, v18
	v_add_nc_u32_e32 v55, v52, v4
                                        ; implicit-def: $vgpr52
	s_delay_alu instid0(VALU_DEP_3) | instskip(SKIP_1) | instid1(VALU_DEP_3)
	v_lshlrev_b32_e32 v56, 2, v54
	v_cmp_gt_i32_e64 s7, v17, v54
	v_cmp_le_i32_e64 s5, v16, v55
	ds_load_b32 v50, v53
	ds_load_b32 v51, v56
	s_wait_dscnt 0x0
	v_cmp_lt_i32_e64 s6, v51, v50
	s_or_b32 s5, s5, s6
	s_wait_alu 0xfffe
	s_and_b32 s5, s7, s5
	s_wait_alu 0xfffe
	s_xor_b32 s6, s5, -1
	s_wait_alu 0xfffe
	s_and_saveexec_b32 s7, s6
	s_wait_alu 0xfffe
	s_xor_b32 s6, exec_lo, s7
; %bb.39:                               ;   in Loop: Header=BB7_2 Depth=1
	ds_load_b32 v52, v53 offset:4
                                        ; implicit-def: $vgpr56
; %bb.40:                               ;   in Loop: Header=BB7_2 Depth=1
	s_wait_alu 0xfffe
	s_or_saveexec_b32 s6, s6
	v_mov_b32_e32 v53, v51
	s_wait_alu 0xfffe
	s_xor_b32 exec_lo, exec_lo, s6
	s_cbranch_execz .LBB7_42
; %bb.41:                               ;   in Loop: Header=BB7_2 Depth=1
	ds_load_b32 v53, v56 offset:4
	s_wait_dscnt 0x1
	v_mov_b32_e32 v52, v50
.LBB7_42:                               ;   in Loop: Header=BB7_2 Depth=1
	s_or_b32 exec_lo, exec_lo, s6
	v_add_nc_u32_e32 v56, 1, v55
	v_add_nc_u32_e32 v57, 1, v54
	s_wait_dscnt 0x0
	v_cmp_lt_i32_e64 s7, v53, v52
	s_delay_alu instid0(VALU_DEP_3) | instskip(NEXT) | instid1(VALU_DEP_3)
	v_cndmask_b32_e64 v58, v56, v55, s5
	v_cndmask_b32_e64 v59, v54, v57, s5
                                        ; implicit-def: $vgpr56
	s_delay_alu instid0(VALU_DEP_2) | instskip(NEXT) | instid1(VALU_DEP_2)
	v_cmp_ge_i32_e64 s6, v58, v16
	v_cmp_lt_i32_e64 s8, v59, v17
	s_or_b32 s6, s6, s7
	s_wait_alu 0xfffe
	s_and_b32 s6, s8, s6
	s_wait_alu 0xfffe
	s_xor_b32 s7, s6, -1
	s_wait_alu 0xfffe
	s_and_saveexec_b32 s8, s7
	s_wait_alu 0xfffe
	s_xor_b32 s7, exec_lo, s8
; %bb.43:                               ;   in Loop: Header=BB7_2 Depth=1
	v_lshlrev_b32_e32 v56, 2, v58
	ds_load_b32 v56, v56 offset:4
; %bb.44:                               ;   in Loop: Header=BB7_2 Depth=1
	s_wait_alu 0xfffe
	s_or_saveexec_b32 s7, s7
	v_mov_b32_e32 v57, v53
	s_wait_alu 0xfffe
	s_xor_b32 exec_lo, exec_lo, s7
	s_cbranch_execz .LBB7_46
; %bb.45:                               ;   in Loop: Header=BB7_2 Depth=1
	s_wait_dscnt 0x0
	v_lshlrev_b32_e32 v56, 2, v59
	ds_load_b32 v57, v56 offset:4
	v_mov_b32_e32 v56, v52
.LBB7_46:                               ;   in Loop: Header=BB7_2 Depth=1
	s_or_b32 exec_lo, exec_lo, s7
	v_add_nc_u32_e32 v60, 1, v58
	v_add_nc_u32_e32 v61, 1, v59
	s_wait_dscnt 0x0
	v_cmp_lt_i32_e64 s8, v57, v56
	s_delay_alu instid0(VALU_DEP_3) | instskip(NEXT) | instid1(VALU_DEP_3)
	v_cndmask_b32_e64 v62, v60, v58, s6
	v_cndmask_b32_e64 v61, v59, v61, s6
                                        ; implicit-def: $vgpr60
	s_delay_alu instid0(VALU_DEP_2) | instskip(NEXT) | instid1(VALU_DEP_2)
	v_cmp_ge_i32_e64 s7, v62, v16
	v_cmp_lt_i32_e64 s9, v61, v17
	s_or_b32 s7, s7, s8
	s_wait_alu 0xfffe
	s_and_b32 s7, s9, s7
	s_wait_alu 0xfffe
	s_xor_b32 s8, s7, -1
	s_wait_alu 0xfffe
	s_and_saveexec_b32 s9, s8
	s_wait_alu 0xfffe
	s_xor_b32 s8, exec_lo, s9
; %bb.47:                               ;   in Loop: Header=BB7_2 Depth=1
	v_lshlrev_b32_e32 v60, 2, v62
	ds_load_b32 v60, v60 offset:4
; %bb.48:                               ;   in Loop: Header=BB7_2 Depth=1
	s_wait_alu 0xfffe
	s_or_saveexec_b32 s8, s8
	v_mov_b32_e32 v63, v57
	s_wait_alu 0xfffe
	s_xor_b32 exec_lo, exec_lo, s8
	s_cbranch_execz .LBB7_50
; %bb.49:                               ;   in Loop: Header=BB7_2 Depth=1
	s_wait_dscnt 0x0
	v_lshlrev_b32_e32 v60, 2, v61
	ds_load_b32 v63, v60 offset:4
	v_mov_b32_e32 v60, v56
.LBB7_50:                               ;   in Loop: Header=BB7_2 Depth=1
	s_or_b32 exec_lo, exec_lo, s8
	v_add_nc_u32_e32 v64, 1, v62
	v_add_nc_u32_e32 v65, 1, v61
	v_cndmask_b32_e64 v58, v58, v59, s6
	v_cndmask_b32_e64 v54, v55, v54, s5
	s_wait_dscnt 0x0
	v_cmp_lt_i32_e64 s8, v63, v60
	v_cndmask_b32_e64 v59, v64, v62, s7
	v_cndmask_b32_e64 v55, v61, v65, s7
	;; [unrolled: 1-line block ×3, first 2 shown]
	s_wait_loadcnt 0x0
	s_barrier_signal -1
	v_cmp_ge_i32_e64 s9, v59, v16
	v_cmp_lt_i32_e64 s10, v55, v17
	s_barrier_wait -1
	global_inv scope:SCOPE_SE
	ds_store_2addr_b32 v1, v46, v47 offset1:1
	ds_store_2addr_b32 v1, v48, v49 offset0:2 offset1:3
	s_or_b32 s8, s9, s8
	v_lshlrev_b32_e32 v47, 2, v54
	s_wait_alu 0xfffe
	s_and_b32 s8, s10, s8
	v_lshlrev_b32_e32 v48, 2, v58
	s_wait_alu 0xfffe
	v_cndmask_b32_e64 v46, v59, v55, s8
	v_lshlrev_b32_e32 v49, 2, v66
	s_wait_loadcnt_dscnt 0x0
	s_barrier_signal -1
	s_barrier_wait -1
	v_lshlrev_b32_e32 v54, 2, v46
	global_inv scope:SCOPE_SE
	ds_load_b32 v46, v47
	ds_load_b32 v47, v48
	;; [unrolled: 1-line block ×4, first 2 shown]
	v_cndmask_b32_e64 v52, v52, v53, s6
	v_cndmask_b32_e64 v50, v50, v51, s5
	;; [unrolled: 1-line block ×4, first 2 shown]
	s_wait_loadcnt_dscnt 0x0
	s_barrier_signal -1
	s_barrier_wait -1
	global_inv scope:SCOPE_SE
	ds_store_2addr_b32 v1, v50, v52 offset1:1
	ds_store_2addr_b32 v1, v54, v60 offset0:2 offset1:3
	v_mov_b32_e32 v52, v43
	s_wait_loadcnt_dscnt 0x0
	s_barrier_signal -1
	s_barrier_wait -1
	global_inv scope:SCOPE_SE
	s_and_saveexec_b32 s6, s3
	s_cbranch_execz .LBB7_54
; %bb.51:                               ;   in Loop: Header=BB7_2 Depth=1
	v_mov_b32_e32 v52, v43
	v_mov_b32_e32 v50, v38
	s_mov_b32 s7, 0
.LBB7_52:                               ;   Parent Loop BB7_2 Depth=1
                                        ; =>  This Inner Loop Header: Depth=2
	s_delay_alu instid0(VALU_DEP_1) | instskip(NEXT) | instid1(VALU_DEP_1)
	v_sub_nc_u32_e32 v51, v50, v52
	v_lshrrev_b32_e32 v51, 1, v51
	s_delay_alu instid0(VALU_DEP_1) | instskip(NEXT) | instid1(VALU_DEP_1)
	v_add_nc_u32_e32 v51, v51, v52
	v_not_b32_e32 v53, v51
	v_lshl_add_u32 v54, v51, 2, v21
	v_add_nc_u32_e32 v55, 1, v51
	s_delay_alu instid0(VALU_DEP_3)
	v_lshl_add_u32 v53, v53, 2, v33
	ds_load_b32 v54, v54
	ds_load_b32 v53, v53
	s_wait_dscnt 0x0
	v_cmp_lt_i32_e64 s5, v53, v54
	s_wait_alu 0xf1ff
	s_delay_alu instid0(VALU_DEP_1) | instskip(SKIP_1) | instid1(VALU_DEP_1)
	v_cndmask_b32_e64 v50, v50, v51, s5
	v_cndmask_b32_e64 v52, v55, v52, s5
	v_cmp_ge_i32_e64 s5, v52, v50
	s_wait_alu 0xfffe
	s_or_b32 s7, s5, s7
	s_wait_alu 0xfffe
	s_and_not1_b32 exec_lo, exec_lo, s7
	s_cbranch_execnz .LBB7_52
; %bb.53:                               ;   in Loop: Header=BB7_2 Depth=1
	s_or_b32 exec_lo, exec_lo, s7
.LBB7_54:                               ;   in Loop: Header=BB7_2 Depth=1
	s_wait_alu 0xfffe
	s_or_b32 exec_lo, exec_lo, s6
	v_sub_nc_u32_e32 v54, v28, v52
	v_lshl_add_u32 v53, v52, 2, v21
	v_add_nc_u32_e32 v55, v52, v5
                                        ; implicit-def: $vgpr52
	s_delay_alu instid0(VALU_DEP_3) | instskip(SKIP_1) | instid1(VALU_DEP_3)
	v_lshlrev_b32_e32 v56, 2, v54
	v_cmp_gt_i32_e64 s7, v20, v54
	v_cmp_le_i32_e64 s5, v19, v55
	ds_load_b32 v50, v53
	ds_load_b32 v51, v56
	s_wait_dscnt 0x0
	v_cmp_lt_i32_e64 s6, v51, v50
	s_or_b32 s5, s5, s6
	s_wait_alu 0xfffe
	s_and_b32 s5, s7, s5
	s_wait_alu 0xfffe
	s_xor_b32 s6, s5, -1
	s_wait_alu 0xfffe
	s_and_saveexec_b32 s7, s6
	s_wait_alu 0xfffe
	s_xor_b32 s6, exec_lo, s7
; %bb.55:                               ;   in Loop: Header=BB7_2 Depth=1
	ds_load_b32 v52, v53 offset:4
                                        ; implicit-def: $vgpr56
; %bb.56:                               ;   in Loop: Header=BB7_2 Depth=1
	s_wait_alu 0xfffe
	s_or_saveexec_b32 s6, s6
	v_mov_b32_e32 v53, v51
	s_wait_alu 0xfffe
	s_xor_b32 exec_lo, exec_lo, s6
	s_cbranch_execz .LBB7_58
; %bb.57:                               ;   in Loop: Header=BB7_2 Depth=1
	ds_load_b32 v53, v56 offset:4
	s_wait_dscnt 0x1
	v_mov_b32_e32 v52, v50
.LBB7_58:                               ;   in Loop: Header=BB7_2 Depth=1
	s_or_b32 exec_lo, exec_lo, s6
	v_add_nc_u32_e32 v56, 1, v55
	v_add_nc_u32_e32 v57, 1, v54
	s_wait_dscnt 0x0
	v_cmp_lt_i32_e64 s7, v53, v52
	s_delay_alu instid0(VALU_DEP_3) | instskip(NEXT) | instid1(VALU_DEP_3)
	v_cndmask_b32_e64 v58, v56, v55, s5
	v_cndmask_b32_e64 v59, v54, v57, s5
                                        ; implicit-def: $vgpr56
	s_delay_alu instid0(VALU_DEP_2) | instskip(NEXT) | instid1(VALU_DEP_2)
	v_cmp_ge_i32_e64 s6, v58, v19
	v_cmp_lt_i32_e64 s8, v59, v20
	s_or_b32 s6, s6, s7
	s_wait_alu 0xfffe
	s_and_b32 s6, s8, s6
	s_wait_alu 0xfffe
	s_xor_b32 s7, s6, -1
	s_wait_alu 0xfffe
	s_and_saveexec_b32 s8, s7
	s_wait_alu 0xfffe
	s_xor_b32 s7, exec_lo, s8
; %bb.59:                               ;   in Loop: Header=BB7_2 Depth=1
	v_lshlrev_b32_e32 v56, 2, v58
	ds_load_b32 v56, v56 offset:4
; %bb.60:                               ;   in Loop: Header=BB7_2 Depth=1
	s_wait_alu 0xfffe
	s_or_saveexec_b32 s7, s7
	v_mov_b32_e32 v57, v53
	s_wait_alu 0xfffe
	s_xor_b32 exec_lo, exec_lo, s7
	s_cbranch_execz .LBB7_62
; %bb.61:                               ;   in Loop: Header=BB7_2 Depth=1
	s_wait_dscnt 0x0
	v_lshlrev_b32_e32 v56, 2, v59
	ds_load_b32 v57, v56 offset:4
	v_mov_b32_e32 v56, v52
.LBB7_62:                               ;   in Loop: Header=BB7_2 Depth=1
	s_or_b32 exec_lo, exec_lo, s7
	v_add_nc_u32_e32 v60, 1, v58
	v_add_nc_u32_e32 v61, 1, v59
	s_wait_dscnt 0x0
	v_cmp_lt_i32_e64 s8, v57, v56
	s_delay_alu instid0(VALU_DEP_3) | instskip(NEXT) | instid1(VALU_DEP_3)
	v_cndmask_b32_e64 v62, v60, v58, s6
	v_cndmask_b32_e64 v61, v59, v61, s6
                                        ; implicit-def: $vgpr60
	s_delay_alu instid0(VALU_DEP_2) | instskip(NEXT) | instid1(VALU_DEP_2)
	v_cmp_ge_i32_e64 s7, v62, v19
	v_cmp_lt_i32_e64 s9, v61, v20
	s_or_b32 s7, s7, s8
	s_wait_alu 0xfffe
	s_and_b32 s7, s9, s7
	s_wait_alu 0xfffe
	s_xor_b32 s8, s7, -1
	s_wait_alu 0xfffe
	s_and_saveexec_b32 s9, s8
	s_wait_alu 0xfffe
	s_xor_b32 s8, exec_lo, s9
; %bb.63:                               ;   in Loop: Header=BB7_2 Depth=1
	v_lshlrev_b32_e32 v60, 2, v62
	ds_load_b32 v60, v60 offset:4
; %bb.64:                               ;   in Loop: Header=BB7_2 Depth=1
	s_wait_alu 0xfffe
	s_or_saveexec_b32 s8, s8
	v_mov_b32_e32 v63, v57
	s_wait_alu 0xfffe
	s_xor_b32 exec_lo, exec_lo, s8
	s_cbranch_execz .LBB7_66
; %bb.65:                               ;   in Loop: Header=BB7_2 Depth=1
	s_wait_dscnt 0x0
	v_lshlrev_b32_e32 v60, 2, v61
	ds_load_b32 v63, v60 offset:4
	v_mov_b32_e32 v60, v56
.LBB7_66:                               ;   in Loop: Header=BB7_2 Depth=1
	s_or_b32 exec_lo, exec_lo, s8
	v_add_nc_u32_e32 v64, 1, v62
	v_add_nc_u32_e32 v65, 1, v61
	v_cndmask_b32_e64 v58, v58, v59, s6
	v_cndmask_b32_e64 v54, v55, v54, s5
	s_wait_dscnt 0x0
	v_cmp_lt_i32_e64 s8, v63, v60
	v_cndmask_b32_e64 v59, v64, v62, s7
	v_cndmask_b32_e64 v55, v61, v65, s7
	v_cndmask_b32_e64 v66, v62, v61, s7
	s_wait_loadcnt 0x0
	s_barrier_signal -1
	v_cmp_ge_i32_e64 s9, v59, v19
	v_cmp_lt_i32_e64 s10, v55, v20
	s_barrier_wait -1
	global_inv scope:SCOPE_SE
	ds_store_2addr_b32 v1, v46, v47 offset1:1
	ds_store_2addr_b32 v1, v48, v49 offset0:2 offset1:3
	s_or_b32 s8, s9, s8
	v_lshlrev_b32_e32 v47, 2, v54
	s_wait_alu 0xfffe
	s_and_b32 s8, s10, s8
	v_lshlrev_b32_e32 v48, 2, v58
	s_wait_alu 0xfffe
	v_cndmask_b32_e64 v46, v59, v55, s8
	v_lshlrev_b32_e32 v49, 2, v66
	s_wait_loadcnt_dscnt 0x0
	s_barrier_signal -1
	s_barrier_wait -1
	v_lshlrev_b32_e32 v54, 2, v46
	global_inv scope:SCOPE_SE
	ds_load_b32 v46, v47
	ds_load_b32 v47, v48
	;; [unrolled: 1-line block ×4, first 2 shown]
	v_cndmask_b32_e64 v52, v52, v53, s6
	v_cndmask_b32_e64 v50, v50, v51, s5
	;; [unrolled: 1-line block ×4, first 2 shown]
	s_wait_loadcnt_dscnt 0x0
	s_barrier_signal -1
	s_barrier_wait -1
	global_inv scope:SCOPE_SE
	ds_store_2addr_b32 v1, v50, v52 offset1:1
	ds_store_2addr_b32 v1, v54, v60 offset0:2 offset1:3
	v_mov_b32_e32 v52, v44
	s_wait_loadcnt_dscnt 0x0
	s_barrier_signal -1
	s_barrier_wait -1
	global_inv scope:SCOPE_SE
	s_and_saveexec_b32 s6, s4
	s_cbranch_execz .LBB7_70
; %bb.67:                               ;   in Loop: Header=BB7_2 Depth=1
	v_mov_b32_e32 v52, v44
	v_mov_b32_e32 v50, v39
	s_mov_b32 s7, 0
.LBB7_68:                               ;   Parent Loop BB7_2 Depth=1
                                        ; =>  This Inner Loop Header: Depth=2
	s_delay_alu instid0(VALU_DEP_1) | instskip(NEXT) | instid1(VALU_DEP_1)
	v_sub_nc_u32_e32 v51, v50, v52
	v_lshrrev_b32_e32 v51, 1, v51
	s_delay_alu instid0(VALU_DEP_1) | instskip(NEXT) | instid1(VALU_DEP_1)
	v_add_nc_u32_e32 v51, v51, v52
	v_not_b32_e32 v53, v51
	v_lshl_add_u32 v54, v51, 2, v24
	v_add_nc_u32_e32 v55, 1, v51
	s_delay_alu instid0(VALU_DEP_3)
	v_lshl_add_u32 v53, v53, 2, v34
	ds_load_b32 v54, v54
	ds_load_b32 v53, v53
	s_wait_dscnt 0x0
	v_cmp_lt_i32_e64 s5, v53, v54
	s_wait_alu 0xf1ff
	s_delay_alu instid0(VALU_DEP_1) | instskip(SKIP_1) | instid1(VALU_DEP_1)
	v_cndmask_b32_e64 v50, v50, v51, s5
	v_cndmask_b32_e64 v52, v55, v52, s5
	v_cmp_ge_i32_e64 s5, v52, v50
	s_wait_alu 0xfffe
	s_or_b32 s7, s5, s7
	s_wait_alu 0xfffe
	s_and_not1_b32 exec_lo, exec_lo, s7
	s_cbranch_execnz .LBB7_68
; %bb.69:                               ;   in Loop: Header=BB7_2 Depth=1
	s_or_b32 exec_lo, exec_lo, s7
.LBB7_70:                               ;   in Loop: Header=BB7_2 Depth=1
	s_wait_alu 0xfffe
	s_or_b32 exec_lo, exec_lo, s6
	v_sub_nc_u32_e32 v54, v29, v52
	v_lshl_add_u32 v53, v52, 2, v24
	v_add_nc_u32_e32 v55, v52, v6
                                        ; implicit-def: $vgpr52
	s_delay_alu instid0(VALU_DEP_3) | instskip(SKIP_1) | instid1(VALU_DEP_3)
	v_lshlrev_b32_e32 v56, 2, v54
	v_cmp_gt_i32_e64 s7, v23, v54
	v_cmp_le_i32_e64 s5, v22, v55
	ds_load_b32 v50, v53
	ds_load_b32 v51, v56
	s_wait_dscnt 0x0
	v_cmp_lt_i32_e64 s6, v51, v50
	s_or_b32 s5, s5, s6
	s_wait_alu 0xfffe
	s_and_b32 s5, s7, s5
	s_wait_alu 0xfffe
	s_xor_b32 s6, s5, -1
	s_wait_alu 0xfffe
	s_and_saveexec_b32 s7, s6
	s_wait_alu 0xfffe
	s_xor_b32 s6, exec_lo, s7
; %bb.71:                               ;   in Loop: Header=BB7_2 Depth=1
	ds_load_b32 v52, v53 offset:4
                                        ; implicit-def: $vgpr56
; %bb.72:                               ;   in Loop: Header=BB7_2 Depth=1
	s_wait_alu 0xfffe
	s_or_saveexec_b32 s6, s6
	v_mov_b32_e32 v53, v51
	s_wait_alu 0xfffe
	s_xor_b32 exec_lo, exec_lo, s6
	s_cbranch_execz .LBB7_74
; %bb.73:                               ;   in Loop: Header=BB7_2 Depth=1
	ds_load_b32 v53, v56 offset:4
	s_wait_dscnt 0x1
	v_mov_b32_e32 v52, v50
.LBB7_74:                               ;   in Loop: Header=BB7_2 Depth=1
	s_or_b32 exec_lo, exec_lo, s6
	v_add_nc_u32_e32 v56, 1, v55
	v_add_nc_u32_e32 v57, 1, v54
	s_wait_dscnt 0x0
	v_cmp_lt_i32_e64 s7, v53, v52
	s_delay_alu instid0(VALU_DEP_3) | instskip(NEXT) | instid1(VALU_DEP_3)
	v_cndmask_b32_e64 v58, v56, v55, s5
	v_cndmask_b32_e64 v59, v54, v57, s5
                                        ; implicit-def: $vgpr56
	s_delay_alu instid0(VALU_DEP_2) | instskip(NEXT) | instid1(VALU_DEP_2)
	v_cmp_ge_i32_e64 s6, v58, v22
	v_cmp_lt_i32_e64 s8, v59, v23
	s_or_b32 s6, s6, s7
	s_wait_alu 0xfffe
	s_and_b32 s6, s8, s6
	s_wait_alu 0xfffe
	s_xor_b32 s7, s6, -1
	s_wait_alu 0xfffe
	s_and_saveexec_b32 s8, s7
	s_wait_alu 0xfffe
	s_xor_b32 s7, exec_lo, s8
; %bb.75:                               ;   in Loop: Header=BB7_2 Depth=1
	v_lshlrev_b32_e32 v56, 2, v58
	ds_load_b32 v56, v56 offset:4
; %bb.76:                               ;   in Loop: Header=BB7_2 Depth=1
	s_wait_alu 0xfffe
	s_or_saveexec_b32 s7, s7
	v_mov_b32_e32 v57, v53
	s_wait_alu 0xfffe
	s_xor_b32 exec_lo, exec_lo, s7
	s_cbranch_execz .LBB7_78
; %bb.77:                               ;   in Loop: Header=BB7_2 Depth=1
	s_wait_dscnt 0x0
	v_lshlrev_b32_e32 v56, 2, v59
	ds_load_b32 v57, v56 offset:4
	v_mov_b32_e32 v56, v52
.LBB7_78:                               ;   in Loop: Header=BB7_2 Depth=1
	s_or_b32 exec_lo, exec_lo, s7
	v_add_nc_u32_e32 v60, 1, v58
	v_add_nc_u32_e32 v61, 1, v59
	s_wait_dscnt 0x0
	v_cmp_lt_i32_e64 s8, v57, v56
	s_delay_alu instid0(VALU_DEP_3) | instskip(NEXT) | instid1(VALU_DEP_3)
	v_cndmask_b32_e64 v62, v60, v58, s6
	v_cndmask_b32_e64 v61, v59, v61, s6
                                        ; implicit-def: $vgpr60
	s_delay_alu instid0(VALU_DEP_2) | instskip(NEXT) | instid1(VALU_DEP_2)
	v_cmp_ge_i32_e64 s7, v62, v22
	v_cmp_lt_i32_e64 s9, v61, v23
	s_or_b32 s7, s7, s8
	s_wait_alu 0xfffe
	s_and_b32 s7, s9, s7
	s_wait_alu 0xfffe
	s_xor_b32 s8, s7, -1
	s_wait_alu 0xfffe
	s_and_saveexec_b32 s9, s8
	s_wait_alu 0xfffe
	s_xor_b32 s8, exec_lo, s9
; %bb.79:                               ;   in Loop: Header=BB7_2 Depth=1
	v_lshlrev_b32_e32 v60, 2, v62
	ds_load_b32 v60, v60 offset:4
; %bb.80:                               ;   in Loop: Header=BB7_2 Depth=1
	s_wait_alu 0xfffe
	s_or_saveexec_b32 s8, s8
	v_mov_b32_e32 v63, v57
	s_wait_alu 0xfffe
	s_xor_b32 exec_lo, exec_lo, s8
	s_cbranch_execz .LBB7_82
; %bb.81:                               ;   in Loop: Header=BB7_2 Depth=1
	s_wait_dscnt 0x0
	v_lshlrev_b32_e32 v60, 2, v61
	ds_load_b32 v63, v60 offset:4
	v_mov_b32_e32 v60, v56
.LBB7_82:                               ;   in Loop: Header=BB7_2 Depth=1
	s_or_b32 exec_lo, exec_lo, s8
	v_add_nc_u32_e32 v64, 1, v62
	v_add_nc_u32_e32 v65, 1, v61
	v_cndmask_b32_e64 v58, v58, v59, s6
	v_cndmask_b32_e64 v54, v55, v54, s5
	s_wait_dscnt 0x0
	v_cmp_lt_i32_e64 s8, v63, v60
	v_cndmask_b32_e64 v59, v64, v62, s7
	v_cndmask_b32_e64 v55, v61, v65, s7
	;; [unrolled: 1-line block ×3, first 2 shown]
	s_wait_loadcnt 0x0
	s_barrier_signal -1
	v_cmp_ge_i32_e64 s9, v59, v22
	v_cmp_lt_i32_e64 s10, v55, v23
	s_barrier_wait -1
	global_inv scope:SCOPE_SE
	ds_store_2addr_b32 v1, v46, v47 offset1:1
	ds_store_2addr_b32 v1, v48, v49 offset0:2 offset1:3
	s_or_b32 s8, s9, s8
	v_lshlrev_b32_e32 v47, 2, v54
	s_wait_alu 0xfffe
	s_and_b32 s8, s10, s8
	v_lshlrev_b32_e32 v48, 2, v58
	s_wait_alu 0xfffe
	v_cndmask_b32_e64 v46, v59, v55, s8
	v_lshlrev_b32_e32 v49, 2, v66
	s_wait_loadcnt_dscnt 0x0
	s_barrier_signal -1
	s_barrier_wait -1
	v_lshlrev_b32_e32 v54, 2, v46
	global_inv scope:SCOPE_SE
	ds_load_b32 v46, v47
	ds_load_b32 v47, v48
	;; [unrolled: 1-line block ×4, first 2 shown]
	v_cndmask_b32_e64 v52, v52, v53, s6
	v_cndmask_b32_e64 v50, v50, v51, s5
	;; [unrolled: 1-line block ×4, first 2 shown]
	s_wait_loadcnt_dscnt 0x0
	s_barrier_signal -1
	s_barrier_wait -1
	global_inv scope:SCOPE_SE
	ds_store_2addr_b32 v1, v50, v52 offset1:1
	ds_store_2addr_b32 v1, v54, v60 offset0:2 offset1:3
	v_mov_b32_e32 v50, v7
	s_wait_loadcnt_dscnt 0x0
	s_barrier_signal -1
	s_barrier_wait -1
	global_inv scope:SCOPE_SE
	s_and_saveexec_b32 s6, vcc_lo
	s_cbranch_execz .LBB7_86
; %bb.83:                               ;   in Loop: Header=BB7_2 Depth=1
	v_dual_mov_b32 v50, v7 :: v_dual_mov_b32 v51, v8
	s_mov_b32 s7, 0
.LBB7_84:                               ;   Parent Loop BB7_2 Depth=1
                                        ; =>  This Inner Loop Header: Depth=2
	s_delay_alu instid0(VALU_DEP_1) | instskip(NEXT) | instid1(VALU_DEP_1)
	v_sub_nc_u32_e32 v52, v51, v50
	v_lshrrev_b32_e32 v52, 1, v52
	s_delay_alu instid0(VALU_DEP_1) | instskip(NEXT) | instid1(VALU_DEP_1)
	v_add_nc_u32_e32 v52, v52, v50
	v_not_b32_e32 v53, v52
	v_lshlrev_b32_e32 v54, 2, v52
	v_add_nc_u32_e32 v55, 1, v52
	s_delay_alu instid0(VALU_DEP_3)
	v_lshl_add_u32 v53, v53, 2, v45
	ds_load_b32 v54, v54
	ds_load_b32 v53, v53
	s_wait_dscnt 0x0
	v_cmp_lt_i32_e64 s5, v53, v54
	s_wait_alu 0xf1ff
	s_delay_alu instid0(VALU_DEP_1) | instskip(SKIP_1) | instid1(VALU_DEP_1)
	v_cndmask_b32_e64 v51, v51, v52, s5
	v_cndmask_b32_e64 v50, v55, v50, s5
	v_cmp_ge_i32_e64 s5, v50, v51
	s_wait_alu 0xfffe
	s_or_b32 s7, s5, s7
	s_wait_alu 0xfffe
	s_and_not1_b32 exec_lo, exec_lo, s7
	s_cbranch_execnz .LBB7_84
; %bb.85:                               ;   in Loop: Header=BB7_2 Depth=1
	s_or_b32 exec_lo, exec_lo, s7
.LBB7_86:                               ;   in Loop: Header=BB7_2 Depth=1
	s_wait_alu 0xfffe
	s_or_b32 exec_lo, exec_lo, s6
	v_sub_nc_u32_e32 v54, v9, v50
	v_lshlrev_b32_e32 v55, 2, v50
	v_cmp_le_i32_e64 s5, 0x80, v50
                                        ; implicit-def: $vgpr53
	s_delay_alu instid0(VALU_DEP_3)
	v_lshlrev_b32_e32 v56, 2, v54
	v_cmp_gt_i32_e64 s7, 0x100, v54
	ds_load_b32 v51, v55
	ds_load_b32 v52, v56
	s_wait_dscnt 0x0
	v_cmp_lt_i32_e64 s6, v52, v51
	s_or_b32 s5, s5, s6
	s_wait_alu 0xfffe
	s_and_b32 s5, s7, s5
	s_wait_alu 0xfffe
	s_xor_b32 s6, s5, -1
	s_wait_alu 0xfffe
	s_and_saveexec_b32 s7, s6
	s_wait_alu 0xfffe
	s_xor_b32 s6, exec_lo, s7
; %bb.87:                               ;   in Loop: Header=BB7_2 Depth=1
	ds_load_b32 v53, v55 offset:4
                                        ; implicit-def: $vgpr56
; %bb.88:                               ;   in Loop: Header=BB7_2 Depth=1
	s_wait_alu 0xfffe
	s_or_saveexec_b32 s6, s6
	v_mov_b32_e32 v55, v52
	s_wait_alu 0xfffe
	s_xor_b32 exec_lo, exec_lo, s6
	s_cbranch_execz .LBB7_90
; %bb.89:                               ;   in Loop: Header=BB7_2 Depth=1
	ds_load_b32 v55, v56 offset:4
	s_wait_dscnt 0x1
	v_mov_b32_e32 v53, v51
.LBB7_90:                               ;   in Loop: Header=BB7_2 Depth=1
	s_or_b32 exec_lo, exec_lo, s6
	v_add_nc_u32_e32 v56, 1, v50
	v_add_nc_u32_e32 v57, 1, v54
	s_wait_dscnt 0x0
	v_cmp_lt_i32_e64 s7, v55, v53
	s_delay_alu instid0(VALU_DEP_3) | instskip(NEXT) | instid1(VALU_DEP_3)
	v_cndmask_b32_e64 v58, v56, v50, s5
	v_cndmask_b32_e64 v59, v54, v57, s5
                                        ; implicit-def: $vgpr56
	s_delay_alu instid0(VALU_DEP_2) | instskip(NEXT) | instid1(VALU_DEP_2)
	v_cmp_le_i32_e64 s6, 0x80, v58
	v_cmp_gt_i32_e64 s8, 0x100, v59
	s_or_b32 s6, s6, s7
	s_wait_alu 0xfffe
	s_and_b32 s6, s8, s6
	s_wait_alu 0xfffe
	s_xor_b32 s7, s6, -1
	s_wait_alu 0xfffe
	s_and_saveexec_b32 s8, s7
	s_wait_alu 0xfffe
	s_xor_b32 s7, exec_lo, s8
; %bb.91:                               ;   in Loop: Header=BB7_2 Depth=1
	v_lshlrev_b32_e32 v56, 2, v58
	ds_load_b32 v56, v56 offset:4
; %bb.92:                               ;   in Loop: Header=BB7_2 Depth=1
	s_wait_alu 0xfffe
	s_or_saveexec_b32 s7, s7
	v_mov_b32_e32 v57, v55
	s_wait_alu 0xfffe
	s_xor_b32 exec_lo, exec_lo, s7
	s_cbranch_execz .LBB7_94
; %bb.93:                               ;   in Loop: Header=BB7_2 Depth=1
	s_wait_dscnt 0x0
	v_lshlrev_b32_e32 v56, 2, v59
	ds_load_b32 v57, v56 offset:4
	v_mov_b32_e32 v56, v53
.LBB7_94:                               ;   in Loop: Header=BB7_2 Depth=1
	s_or_b32 exec_lo, exec_lo, s7
	v_add_nc_u32_e32 v60, 1, v58
	v_add_nc_u32_e32 v61, 1, v59
	s_wait_dscnt 0x0
	v_cmp_lt_i32_e64 s8, v57, v56
                                        ; implicit-def: $vgpr63
                                        ; implicit-def: $vgpr62
	s_delay_alu instid0(VALU_DEP_3) | instskip(NEXT) | instid1(VALU_DEP_3)
	v_cndmask_b32_e64 v64, v60, v58, s6
	v_cndmask_b32_e64 v60, v59, v61, s6
	s_delay_alu instid0(VALU_DEP_2) | instskip(NEXT) | instid1(VALU_DEP_2)
	v_cmp_le_i32_e64 s7, 0x80, v64
	v_cmp_gt_i32_e64 s9, 0x100, v60
	s_or_b32 s7, s7, s8
	s_wait_alu 0xfffe
	s_and_b32 s7, s9, s7
	s_wait_alu 0xfffe
	s_xor_b32 s8, s7, -1
	s_wait_alu 0xfffe
	s_and_saveexec_b32 s9, s8
	s_wait_alu 0xfffe
	s_xor_b32 s8, exec_lo, s9
; %bb.95:                               ;   in Loop: Header=BB7_2 Depth=1
	v_lshlrev_b32_e32 v61, 2, v64
	v_add_nc_u32_e32 v62, 1, v64
	ds_load_b32 v63, v61 offset:4
; %bb.96:                               ;   in Loop: Header=BB7_2 Depth=1
	s_wait_alu 0xfffe
	s_or_saveexec_b32 s8, s8
	v_mov_b32_e32 v61, v64
	v_mov_b32_e32 v65, v57
	s_wait_alu 0xfffe
	s_xor_b32 exec_lo, exec_lo, s8
	s_cbranch_execz .LBB7_1
; %bb.97:                               ;   in Loop: Header=BB7_2 Depth=1
	v_dual_mov_b32 v62, v64 :: v_dual_lshlrev_b32 v61, 2, v60
	s_wait_dscnt 0x0
	v_add_nc_u32_e32 v63, 1, v60
	ds_load_b32 v65, v61 offset:4
	v_dual_mov_b32 v61, v60 :: v_dual_mov_b32 v60, v63
	v_mov_b32_e32 v63, v56
	s_branch .LBB7_1
.LBB7_98:
	s_wait_dscnt 0x3
	v_add_nc_u32_e32 v1, v52, v48
	v_lshlrev_b32_e32 v0, 2, v0
	s_wait_dscnt 0x2
	v_add_nc_u32_e32 v2, v53, v49
	s_wait_dscnt 0x1
	v_add_nc_u32_e32 v3, v51, v46
	;; [unrolled: 2-line block ×3, first 2 shown]
	s_add_nc_u64 s[0:1], s[18:19], s[20:21]
	s_clause 0x3
	global_store_b32 v0, v1, s[0:1]
	global_store_b32 v0, v2, s[0:1] offset:256
	global_store_b32 v0, v3, s[0:1] offset:512
	;; [unrolled: 1-line block ×3, first 2 shown]
	s_endpgm
	.section	.rodata,"a",@progbits
	.p2align	6, 0x0
	.amdhsa_kernel _Z17sort_pairs_kernelIiLj64ELj4EN10test_utils4lessELj10EEvPKT_PS2_T2_
		.amdhsa_group_segment_fixed_size 1028
		.amdhsa_private_segment_fixed_size 0
		.amdhsa_kernarg_size 20
		.amdhsa_user_sgpr_count 2
		.amdhsa_user_sgpr_dispatch_ptr 0
		.amdhsa_user_sgpr_queue_ptr 0
		.amdhsa_user_sgpr_kernarg_segment_ptr 1
		.amdhsa_user_sgpr_dispatch_id 0
		.amdhsa_user_sgpr_private_segment_size 0
		.amdhsa_wavefront_size32 1
		.amdhsa_uses_dynamic_stack 0
		.amdhsa_enable_private_segment 0
		.amdhsa_system_sgpr_workgroup_id_x 1
		.amdhsa_system_sgpr_workgroup_id_y 0
		.amdhsa_system_sgpr_workgroup_id_z 0
		.amdhsa_system_sgpr_workgroup_info 0
		.amdhsa_system_vgpr_workitem_id 0
		.amdhsa_next_free_vgpr 68
		.amdhsa_next_free_sgpr 24
		.amdhsa_reserve_vcc 1
		.amdhsa_float_round_mode_32 0
		.amdhsa_float_round_mode_16_64 0
		.amdhsa_float_denorm_mode_32 3
		.amdhsa_float_denorm_mode_16_64 3
		.amdhsa_fp16_overflow 0
		.amdhsa_workgroup_processor_mode 1
		.amdhsa_memory_ordered 1
		.amdhsa_forward_progress 1
		.amdhsa_inst_pref_size 52
		.amdhsa_round_robin_scheduling 0
		.amdhsa_exception_fp_ieee_invalid_op 0
		.amdhsa_exception_fp_denorm_src 0
		.amdhsa_exception_fp_ieee_div_zero 0
		.amdhsa_exception_fp_ieee_overflow 0
		.amdhsa_exception_fp_ieee_underflow 0
		.amdhsa_exception_fp_ieee_inexact 0
		.amdhsa_exception_int_div_zero 0
	.end_amdhsa_kernel
	.section	.text._Z17sort_pairs_kernelIiLj64ELj4EN10test_utils4lessELj10EEvPKT_PS2_T2_,"axG",@progbits,_Z17sort_pairs_kernelIiLj64ELj4EN10test_utils4lessELj10EEvPKT_PS2_T2_,comdat
.Lfunc_end7:
	.size	_Z17sort_pairs_kernelIiLj64ELj4EN10test_utils4lessELj10EEvPKT_PS2_T2_, .Lfunc_end7-_Z17sort_pairs_kernelIiLj64ELj4EN10test_utils4lessELj10EEvPKT_PS2_T2_
                                        ; -- End function
	.set _Z17sort_pairs_kernelIiLj64ELj4EN10test_utils4lessELj10EEvPKT_PS2_T2_.num_vgpr, 68
	.set _Z17sort_pairs_kernelIiLj64ELj4EN10test_utils4lessELj10EEvPKT_PS2_T2_.num_agpr, 0
	.set _Z17sort_pairs_kernelIiLj64ELj4EN10test_utils4lessELj10EEvPKT_PS2_T2_.numbered_sgpr, 24
	.set _Z17sort_pairs_kernelIiLj64ELj4EN10test_utils4lessELj10EEvPKT_PS2_T2_.num_named_barrier, 0
	.set _Z17sort_pairs_kernelIiLj64ELj4EN10test_utils4lessELj10EEvPKT_PS2_T2_.private_seg_size, 0
	.set _Z17sort_pairs_kernelIiLj64ELj4EN10test_utils4lessELj10EEvPKT_PS2_T2_.uses_vcc, 1
	.set _Z17sort_pairs_kernelIiLj64ELj4EN10test_utils4lessELj10EEvPKT_PS2_T2_.uses_flat_scratch, 0
	.set _Z17sort_pairs_kernelIiLj64ELj4EN10test_utils4lessELj10EEvPKT_PS2_T2_.has_dyn_sized_stack, 0
	.set _Z17sort_pairs_kernelIiLj64ELj4EN10test_utils4lessELj10EEvPKT_PS2_T2_.has_recursion, 0
	.set _Z17sort_pairs_kernelIiLj64ELj4EN10test_utils4lessELj10EEvPKT_PS2_T2_.has_indirect_call, 0
	.section	.AMDGPU.csdata,"",@progbits
; Kernel info:
; codeLenInByte = 6624
; TotalNumSgprs: 26
; NumVgprs: 68
; ScratchSize: 0
; MemoryBound: 0
; FloatMode: 240
; IeeeMode: 1
; LDSByteSize: 1028 bytes/workgroup (compile time only)
; SGPRBlocks: 0
; VGPRBlocks: 8
; NumSGPRsForWavesPerEU: 26
; NumVGPRsForWavesPerEU: 68
; Occupancy: 16
; WaveLimiterHint : 1
; COMPUTE_PGM_RSRC2:SCRATCH_EN: 0
; COMPUTE_PGM_RSRC2:USER_SGPR: 2
; COMPUTE_PGM_RSRC2:TRAP_HANDLER: 0
; COMPUTE_PGM_RSRC2:TGID_X_EN: 1
; COMPUTE_PGM_RSRC2:TGID_Y_EN: 0
; COMPUTE_PGM_RSRC2:TGID_Z_EN: 0
; COMPUTE_PGM_RSRC2:TIDIG_COMP_CNT: 0
	.section	.text._Z16sort_keys_kernelIiLj64ELj8EN10test_utils4lessELj10EEvPKT_PS2_T2_,"axG",@progbits,_Z16sort_keys_kernelIiLj64ELj8EN10test_utils4lessELj10EEvPKT_PS2_T2_,comdat
	.protected	_Z16sort_keys_kernelIiLj64ELj8EN10test_utils4lessELj10EEvPKT_PS2_T2_ ; -- Begin function _Z16sort_keys_kernelIiLj64ELj8EN10test_utils4lessELj10EEvPKT_PS2_T2_
	.globl	_Z16sort_keys_kernelIiLj64ELj8EN10test_utils4lessELj10EEvPKT_PS2_T2_
	.p2align	8
	.type	_Z16sort_keys_kernelIiLj64ELj8EN10test_utils4lessELj10EEvPKT_PS2_T2_,@function
_Z16sort_keys_kernelIiLj64ELj8EN10test_utils4lessELj10EEvPKT_PS2_T2_: ; @_Z16sort_keys_kernelIiLj64ELj8EN10test_utils4lessELj10EEvPKT_PS2_T2_
; %bb.0:
	s_load_b128 s[12:15], s[0:1], 0x0
	s_lshl_b32 s16, ttmp9, 9
	s_mov_b32 s17, 0
	v_lshlrev_b32_e32 v1, 2, v0
	s_lshl_b64 s[18:19], s[16:17], 2
	v_lshlrev_b32_e32 v39, 3, v0
	v_lshlrev_b32_e32 v5, 5, v0
	s_delay_alu instid0(VALU_DEP_2)
	v_and_b32_e32 v11, 0x1c0, v39
	v_and_b32_e32 v42, 56, v39
	v_and_b32_e32 v4, 0x1e0, v39
	v_and_b32_e32 v18, 0x180, v39
	v_and_b32_e32 v40, 8, v39
	v_or_b32_e32 v13, 32, v11
	v_add_nc_u32_e32 v14, 64, v11
	v_or_b32_e32 v6, 16, v4
	v_add_nc_u32_e32 v7, 32, v4
	v_or_b32_e32 v20, 64, v18
	s_wait_kmcnt 0x0
	s_add_nc_u64 s[0:1], s[12:13], s[18:19]
	v_sub_nc_u32_e32 v22, v14, v13
	s_clause 0x7
	global_load_b32 v54, v1, s[0:1]
	global_load_b32 v55, v1, s[0:1] offset:256
	global_load_b32 v48, v1, s[0:1] offset:512
	;; [unrolled: 1-line block ×7, first 2 shown]
	v_and_b32_e32 v1, 0x1f0, v39
	v_add_nc_u32_e32 v21, 0x80, v18
	v_and_b32_e32 v41, 24, v39
	v_sub_nc_u32_e32 v23, v42, v22
	v_cmp_ge_i32_e64 s1, v42, v22
	v_or_b32_e32 v2, 8, v1
	v_add_nc_u32_e32 v3, 16, v1
	v_sub_nc_u32_e32 v15, v7, v6
	v_and_b32_e32 v43, 0x78, v39
	v_cndmask_b32_e64 v22, 0, v23, s1
	v_and_b32_e32 v23, 0x100, v39
	v_sub_nc_u32_e32 v8, v3, v2
	v_sub_nc_u32_e32 v28, v21, v20
	v_and_b32_e32 v44, 0xf8, v39
	v_sub_nc_u32_e32 v10, v2, v1
	v_or_b32_e32 v26, 0x80, v23
	v_add_nc_u32_e32 v27, 0x100, v23
	v_sub_nc_u32_e32 v9, v40, v8
	v_cmp_ge_i32_e32 vcc_lo, v40, v8
	v_sub_nc_u32_e32 v16, v41, v15
	v_sub_nc_u32_e32 v17, v6, v4
	;; [unrolled: 1-line block ×3, first 2 shown]
	v_cmp_ge_i32_e64 s0, v41, v15
	v_sub_nc_u32_e32 v24, v13, v11
	v_sub_nc_u32_e32 v29, v43, v28
	;; [unrolled: 1-line block ×3, first 2 shown]
	v_cmp_ge_i32_e64 s2, v43, v28
	v_sub_nc_u32_e32 v33, v44, v32
	v_sub_nc_u32_e32 v34, v26, v23
	v_cmp_ge_i32_e64 s3, v44, v32
	v_cndmask_b32_e32 v8, 0, v9, vcc_lo
	v_min_i32_e32 v9, v40, v10
	v_add_nc_u32_e32 v12, v2, v40
	s_wait_alu 0xf1ff
	v_cndmask_b32_e64 v15, 0, v16, s0
	v_min_i32_e32 v16, v41, v17
	v_add_nc_u32_e32 v19, v6, v41
	v_min_i32_e32 v24, v42, v24
	v_cndmask_b32_e64 v28, 0, v29, s2
	v_min_i32_e32 v29, v43, v30
	v_add_nc_u32_e32 v30, v13, v42
	v_cndmask_b32_e64 v32, 0, v33, s3
	v_min_i32_e32 v33, v44, v34
	v_subrev_nc_u32_e64 v34, 0x100, v39 clamp
	v_min_i32_e32 v35, 0x100, v39
	v_add_nc_u32_e32 v36, v20, v43
	v_add_nc_u32_e32 v38, v26, v44
	v_lshlrev_b32_e32 v40, 2, v40
	v_lshlrev_b32_e32 v41, 2, v41
	;; [unrolled: 1-line block ×7, first 2 shown]
	v_cmp_lt_i32_e64 s0, v15, v16
	v_lshlrev_b32_e32 v25, 2, v11
	v_cmp_lt_i32_e64 s1, v22, v24
	v_lshlrev_b32_e32 v31, 2, v18
	;; [unrolled: 2-line block ×3, first 2 shown]
	v_cmp_lt_i32_e64 s3, v32, v33
	v_cmp_lt_i32_e64 s4, v34, v35
	v_add_nc_u32_e32 v39, 0x100, v39
	v_lshl_add_u32 v40, v2, 2, v40
	v_lshl_add_u32 v41, v6, 2, v41
	;; [unrolled: 1-line block ×5, first 2 shown]
	v_add_nc_u32_e32 v45, 0x400, v5
	v_cmp_lt_i32_e32 vcc_lo, v8, v9
	s_branch .LBB8_2
.LBB8_1:                                ;   in Loop: Header=BB8_2 Depth=1
	s_or_b32 exec_lo, exec_lo, s12
	v_cndmask_b32_e64 v54, v46, v47, s5
	v_cndmask_b32_e64 v55, v48, v49, s6
	v_cmp_le_i32_e64 s5, 0x100, v64
	s_wait_dscnt 0x0
	v_cmp_lt_i32_e64 s6, v65, v63
	v_cndmask_b32_e64 v48, v50, v51, s7
	v_cmp_gt_i32_e64 s7, 0x200, v62
	v_cndmask_b32_e64 v51, v52, v53, s8
	v_cndmask_b32_e64 v49, v56, v57, s9
	s_or_b32 s5, s5, s6
	v_cndmask_b32_e64 v50, v58, v59, s10
	s_wait_alu 0xfffe
	s_and_b32 s5, s7, s5
	v_cndmask_b32_e64 v46, v60, v61, s11
	s_wait_alu 0xfffe
	v_cndmask_b32_e64 v47, v63, v65, s5
	s_add_co_i32 s17, s17, 1
	s_delay_alu instid0(SALU_CYCLE_1)
	s_cmp_eq_u32 s17, 10
	s_cbranch_scc1 .LBB8_194
.LBB8_2:                                ; =>This Loop Header: Depth=1
                                        ;     Child Loop BB8_4 Depth 2
                                        ;     Child Loop BB8_36 Depth 2
	;; [unrolled: 1-line block ×6, first 2 shown]
	s_wait_loadcnt 0x6
	v_cmp_lt_i32_e64 s5, v55, v54
	v_min_i32_e32 v53, v55, v54
	s_wait_loadcnt 0x4
	v_cmp_lt_i32_e64 s6, v51, v48
	v_max_i32_e32 v56, v55, v54
	v_max_i32_e32 v58, v51, v48
	s_wait_alu 0xf1ff
	v_cndmask_b32_e64 v52, v54, v55, s5
	v_cndmask_b32_e64 v54, v55, v54, s5
	s_wait_loadcnt 0x2
	v_cmp_lt_i32_e64 s5, v50, v49
	v_cndmask_b32_e64 v55, v51, v48, s6
	v_cndmask_b32_e64 v57, v48, v51, s6
	v_min_i32_e32 v48, v51, v48
	v_max_i32_e32 v60, v50, v49
	s_wait_alu 0xf1ff
	v_cndmask_b32_e64 v51, v50, v49, s5
	v_cndmask_b32_e64 v59, v49, v50, s5
	s_wait_loadcnt 0x0
	v_cmp_lt_i32_e64 s5, v47, v46
	v_min_i32_e32 v49, v50, v49
	v_cmp_lt_i32_e64 s6, v48, v56
	v_max_i32_e32 v62, v47, v46
	s_wait_alu 0xf1ff
	v_cndmask_b32_e64 v50, v47, v46, s5
	v_cndmask_b32_e64 v61, v46, v47, s5
	v_min_i32_e32 v46, v47, v46
	v_cmp_lt_i32_e64 s5, v49, v58
	v_cndmask_b32_e64 v47, v57, v56, s6
	v_cndmask_b32_e64 v54, v54, v48, s6
	v_max_i32_e32 v57, v48, v56
	v_cmp_lt_i32_e64 s6, v46, v60
	s_wait_alu 0xf1ff
	v_cndmask_b32_e64 v55, v55, v49, s5
	v_max_i32_e32 v63, v49, v58
	v_min_i32_e32 v49, v49, v58
	v_min_i32_e32 v56, v48, v56
	v_cndmask_b32_e64 v59, v59, v58, s5
	v_cndmask_b32_e64 v51, v51, v46, s6
	v_cmp_lt_i32_e64 s5, v48, v53
	v_max_i32_e32 v48, v46, v60
	v_min_i32_e32 v46, v46, v60
	v_cndmask_b32_e64 v58, v61, v60, s6
	v_cmp_lt_i32_e64 s6, v49, v57
	s_wait_alu 0xf1ff
	v_cndmask_b32_e64 v52, v52, v56, s5
	v_cndmask_b32_e64 v54, v54, v53, s5
	;; [unrolled: 1-line block ×4, first 2 shown]
	v_cmp_lt_i32_e64 s5, v46, v63
	v_cndmask_b32_e64 v55, v55, v57, s6
	v_cndmask_b32_e64 v47, v47, v49, s6
	v_max_i32_e32 v56, v49, v57
	v_min_i32_e32 v49, v49, v57
	v_cmp_gt_i32_e64 s6, v60, v62
	s_wait_alu 0xf1ff
	v_cndmask_b32_e64 v57, v59, v46, s5
	v_max_i32_e32 v59, v46, v63
	v_min_i32_e32 v46, v46, v63
	v_cndmask_b32_e64 v51, v51, v63, s5
	v_cndmask_b32_e64 v50, v50, v48, s6
	v_cmp_lt_i32_e64 s5, v49, v53
	v_cndmask_b32_e64 v60, v62, v48, s6
	v_cndmask_b32_e64 v48, v48, v62, s6
	v_cndmask_b32_e64 v58, v58, v62, s6
	v_cmp_lt_i32_e64 s6, v46, v56
	s_wait_alu 0xf1ff
	v_cndmask_b32_e64 v47, v47, v53, s5
	v_cndmask_b32_e64 v54, v54, v49, s5
	v_max_i32_e32 v62, v49, v53
	v_min_i32_e32 v49, v49, v53
	v_cmp_lt_i32_e64 s5, v48, v59
	v_cndmask_b32_e64 v53, v57, v56, s6
	v_cndmask_b32_e64 v55, v55, v46, s6
	v_max_i32_e32 v57, v46, v56
	v_min_i32_e32 v46, v46, v56
	s_wait_alu 0xf1ff
	v_cndmask_b32_e64 v56, v58, v59, s5
	v_cmp_lt_i32_e64 s6, v49, v61
	v_cndmask_b32_e64 v51, v51, v48, s5
	v_max_i32_e32 v58, v48, v59
	v_min_i32_e32 v48, v48, v59
	v_cmp_lt_i32_e64 s5, v46, v62
	s_wait_alu 0xf1ff
	v_cndmask_b32_e64 v52, v52, v49, s6
	v_cndmask_b32_e64 v54, v54, v61, s6
	v_min_i32_e32 v59, v49, v61
	v_cmp_lt_i32_e64 s6, v48, v57
	v_max_i32_e32 v49, v49, v61
	v_cndmask_b32_e64 v55, v55, v62, s5
	v_cndmask_b32_e64 v47, v47, v46, s5
	v_max_i32_e32 v61, v46, v62
	v_min_i32_e32 v46, v46, v62
	v_cmp_lt_i32_e64 s5, v60, v58
	s_wait_alu 0xf1ff
	v_cndmask_b32_e64 v53, v53, v48, s6
	v_max_i32_e32 v62, v48, v57
	v_min_i32_e32 v48, v48, v57
	v_cndmask_b32_e64 v51, v51, v57, s6
	v_cndmask_b32_e64 v50, v50, v58, s5
	v_cmp_lt_i32_e64 s6, v46, v49
	v_max_i32_e32 v57, v60, v58
	v_min_i32_e32 v58, v60, v58
	v_cndmask_b32_e64 v56, v56, v60, s5
	v_cmp_lt_i32_e64 s5, v48, v61
	s_wait_alu 0xf1ff
	v_cndmask_b32_e64 v54, v54, v46, s6
	v_cndmask_b32_e64 v47, v47, v49, s6
	v_cmp_lt_i32_e64 s6, v58, v62
	v_max_i32_e32 v60, v46, v49
	v_cndmask_b32_e64 v55, v55, v48, s5
	v_max_i32_e32 v63, v48, v61
	v_min_i32_e32 v48, v48, v61
	v_min_i32_e32 v49, v46, v49
	v_cndmask_b32_e64 v53, v53, v61, s5
	s_wait_alu 0xf1ff
	v_cndmask_b32_e64 v51, v51, v58, s6
	v_cmp_lt_i32_e64 s5, v46, v59
	v_max_i32_e32 v46, v58, v62
	v_min_i32_e32 v58, v58, v62
	v_cndmask_b32_e64 v56, v56, v62, s6
	v_cmp_lt_i32_e64 s6, v48, v60
	s_wait_alu 0xf1ff
	v_cndmask_b32_e64 v52, v52, v49, s5
	v_cndmask_b32_e64 v54, v54, v59, s5
	;; [unrolled: 1-line block ×3, first 2 shown]
	v_cmp_lt_i32_e64 s5, v58, v63
	v_cndmask_b32_e64 v47, v47, v48, s6
	v_cndmask_b32_e64 v55, v55, v60, s6
	v_cmp_gt_i32_e64 s6, v62, v57
	v_max_i32_e32 v59, v48, v60
	v_min_i32_e32 v48, v48, v60
	s_wait_alu 0xf1ff
	v_cndmask_b32_e64 v53, v53, v58, s5
	v_max_i32_e32 v60, v58, v63
	v_min_i32_e32 v58, v58, v63
	v_cndmask_b32_e64 v50, v50, v46, s6
	v_cndmask_b32_e64 v46, v46, v57, s6
	;; [unrolled: 1-line block ×3, first 2 shown]
	v_cmp_lt_i32_e64 s5, v48, v49
	v_cndmask_b32_e64 v56, v56, v57, s6
	v_cmp_lt_i32_e64 s6, v58, v59
	v_cmp_lt_i32_e64 s7, v46, v60
	s_barrier_signal -1
	s_wait_alu 0xf1ff
	v_cndmask_b32_e64 v48, v54, v48, s5
	v_cndmask_b32_e64 v47, v47, v49, s5
	;; [unrolled: 1-line block ×6, first 2 shown]
	s_barrier_wait -1
	global_inv scope:SCOPE_SE
	ds_store_2addr_b32 v5, v52, v48 offset1:1
	ds_store_2addr_b32 v5, v47, v53 offset0:2 offset1:3
	ds_store_2addr_b32 v5, v49, v46 offset0:4 offset1:5
	;; [unrolled: 1-line block ×3, first 2 shown]
	v_mov_b32_e32 v48, v8
	s_wait_loadcnt_dscnt 0x0
	s_barrier_signal -1
	s_barrier_wait -1
	global_inv scope:SCOPE_SE
	s_and_saveexec_b32 s6, vcc_lo
	s_cbranch_execz .LBB8_6
; %bb.3:                                ;   in Loop: Header=BB8_2 Depth=1
	v_mov_b32_e32 v48, v8
	v_mov_b32_e32 v46, v9
	s_mov_b32 s7, 0
.LBB8_4:                                ;   Parent Loop BB8_2 Depth=1
                                        ; =>  This Inner Loop Header: Depth=2
	s_delay_alu instid0(VALU_DEP_1) | instskip(NEXT) | instid1(VALU_DEP_1)
	v_sub_nc_u32_e32 v47, v46, v48
	v_lshrrev_b32_e32 v47, 1, v47
	s_delay_alu instid0(VALU_DEP_1) | instskip(NEXT) | instid1(VALU_DEP_1)
	v_add_nc_u32_e32 v47, v47, v48
	v_not_b32_e32 v49, v47
	v_lshl_add_u32 v50, v47, 2, v10
	v_add_nc_u32_e32 v51, 1, v47
	s_delay_alu instid0(VALU_DEP_3)
	v_lshl_add_u32 v49, v49, 2, v40
	ds_load_b32 v50, v50
	ds_load_b32 v49, v49
	s_wait_dscnt 0x0
	v_cmp_lt_i32_e64 s5, v49, v50
	s_wait_alu 0xf1ff
	s_delay_alu instid0(VALU_DEP_1) | instskip(SKIP_1) | instid1(VALU_DEP_1)
	v_cndmask_b32_e64 v46, v46, v47, s5
	v_cndmask_b32_e64 v48, v51, v48, s5
	v_cmp_ge_i32_e64 s5, v48, v46
	s_wait_alu 0xfffe
	s_or_b32 s7, s5, s7
	s_wait_alu 0xfffe
	s_and_not1_b32 exec_lo, exec_lo, s7
	s_cbranch_execnz .LBB8_4
; %bb.5:                                ;   in Loop: Header=BB8_2 Depth=1
	s_or_b32 exec_lo, exec_lo, s7
.LBB8_6:                                ;   in Loop: Header=BB8_2 Depth=1
	s_wait_alu 0xfffe
	s_or_b32 exec_lo, exec_lo, s6
	v_sub_nc_u32_e32 v50, v12, v48
	v_lshl_add_u32 v49, v48, 2, v10
	v_add_nc_u32_e32 v51, v48, v1
                                        ; implicit-def: $vgpr48
	s_delay_alu instid0(VALU_DEP_3) | instskip(SKIP_1) | instid1(VALU_DEP_3)
	v_lshlrev_b32_e32 v52, 2, v50
	v_cmp_gt_i32_e64 s7, v3, v50
	v_cmp_le_i32_e64 s5, v2, v51
	ds_load_b32 v46, v49
	ds_load_b32 v47, v52
	s_wait_dscnt 0x0
	v_cmp_lt_i32_e64 s6, v47, v46
	s_or_b32 s5, s5, s6
	s_wait_alu 0xfffe
	s_and_b32 s5, s7, s5
	s_wait_alu 0xfffe
	s_xor_b32 s6, s5, -1
	s_wait_alu 0xfffe
	s_and_saveexec_b32 s7, s6
	s_wait_alu 0xfffe
	s_xor_b32 s6, exec_lo, s7
; %bb.7:                                ;   in Loop: Header=BB8_2 Depth=1
	ds_load_b32 v48, v49 offset:4
                                        ; implicit-def: $vgpr52
; %bb.8:                                ;   in Loop: Header=BB8_2 Depth=1
	s_wait_alu 0xfffe
	s_or_saveexec_b32 s6, s6
	v_mov_b32_e32 v49, v47
	s_wait_alu 0xfffe
	s_xor_b32 exec_lo, exec_lo, s6
	s_cbranch_execz .LBB8_10
; %bb.9:                                ;   in Loop: Header=BB8_2 Depth=1
	ds_load_b32 v49, v52 offset:4
	s_wait_dscnt 0x1
	v_mov_b32_e32 v48, v46
.LBB8_10:                               ;   in Loop: Header=BB8_2 Depth=1
	s_or_b32 exec_lo, exec_lo, s6
	v_add_nc_u32_e32 v52, 1, v51
	v_add_nc_u32_e32 v54, 1, v50
	s_wait_dscnt 0x0
	v_cmp_lt_i32_e64 s7, v49, v48
	s_delay_alu instid0(VALU_DEP_3) | instskip(NEXT) | instid1(VALU_DEP_3)
	v_cndmask_b32_e64 v53, v52, v51, s5
	v_cndmask_b32_e64 v52, v50, v54, s5
                                        ; implicit-def: $vgpr50
	s_delay_alu instid0(VALU_DEP_2) | instskip(NEXT) | instid1(VALU_DEP_2)
	v_cmp_ge_i32_e64 s6, v53, v2
	v_cmp_lt_i32_e64 s8, v52, v3
	s_or_b32 s6, s6, s7
	s_wait_alu 0xfffe
	s_and_b32 s6, s8, s6
	s_wait_alu 0xfffe
	s_xor_b32 s7, s6, -1
	s_wait_alu 0xfffe
	s_and_saveexec_b32 s8, s7
	s_wait_alu 0xfffe
	s_xor_b32 s7, exec_lo, s8
; %bb.11:                               ;   in Loop: Header=BB8_2 Depth=1
	v_lshlrev_b32_e32 v50, 2, v53
	ds_load_b32 v50, v50 offset:4
; %bb.12:                               ;   in Loop: Header=BB8_2 Depth=1
	s_wait_alu 0xfffe
	s_or_saveexec_b32 s7, s7
	v_mov_b32_e32 v51, v49
	s_wait_alu 0xfffe
	s_xor_b32 exec_lo, exec_lo, s7
	s_cbranch_execz .LBB8_14
; %bb.13:                               ;   in Loop: Header=BB8_2 Depth=1
	s_wait_dscnt 0x0
	v_lshlrev_b32_e32 v50, 2, v52
	ds_load_b32 v51, v50 offset:4
	v_mov_b32_e32 v50, v48
.LBB8_14:                               ;   in Loop: Header=BB8_2 Depth=1
	s_or_b32 exec_lo, exec_lo, s7
	v_add_nc_u32_e32 v54, 1, v53
	v_add_nc_u32_e32 v56, 1, v52
	s_wait_dscnt 0x0
	v_cmp_lt_i32_e64 s8, v51, v50
	s_delay_alu instid0(VALU_DEP_3) | instskip(NEXT) | instid1(VALU_DEP_3)
	v_cndmask_b32_e64 v55, v54, v53, s6
	v_cndmask_b32_e64 v54, v52, v56, s6
                                        ; implicit-def: $vgpr52
	s_delay_alu instid0(VALU_DEP_2) | instskip(NEXT) | instid1(VALU_DEP_2)
	v_cmp_ge_i32_e64 s7, v55, v2
	v_cmp_lt_i32_e64 s9, v54, v3
	s_or_b32 s7, s7, s8
	s_wait_alu 0xfffe
	s_and_b32 s7, s9, s7
	s_wait_alu 0xfffe
	s_xor_b32 s8, s7, -1
	s_wait_alu 0xfffe
	s_and_saveexec_b32 s9, s8
	s_wait_alu 0xfffe
	s_xor_b32 s8, exec_lo, s9
; %bb.15:                               ;   in Loop: Header=BB8_2 Depth=1
	v_lshlrev_b32_e32 v52, 2, v55
	ds_load_b32 v52, v52 offset:4
; %bb.16:                               ;   in Loop: Header=BB8_2 Depth=1
	s_wait_alu 0xfffe
	s_or_saveexec_b32 s8, s8
	v_mov_b32_e32 v53, v51
	s_wait_alu 0xfffe
	s_xor_b32 exec_lo, exec_lo, s8
	s_cbranch_execz .LBB8_18
; %bb.17:                               ;   in Loop: Header=BB8_2 Depth=1
	s_wait_dscnt 0x0
	v_lshlrev_b32_e32 v52, 2, v54
	ds_load_b32 v53, v52 offset:4
	v_mov_b32_e32 v52, v50
.LBB8_18:                               ;   in Loop: Header=BB8_2 Depth=1
	s_or_b32 exec_lo, exec_lo, s8
	v_add_nc_u32_e32 v56, 1, v55
	v_add_nc_u32_e32 v58, 1, v54
	s_wait_dscnt 0x0
	v_cmp_lt_i32_e64 s9, v53, v52
	s_delay_alu instid0(VALU_DEP_3) | instskip(NEXT) | instid1(VALU_DEP_3)
	v_cndmask_b32_e64 v57, v56, v55, s7
	v_cndmask_b32_e64 v56, v54, v58, s7
                                        ; implicit-def: $vgpr54
	s_delay_alu instid0(VALU_DEP_2) | instskip(NEXT) | instid1(VALU_DEP_2)
	v_cmp_ge_i32_e64 s8, v57, v2
	v_cmp_lt_i32_e64 s10, v56, v3
	s_or_b32 s8, s8, s9
	s_wait_alu 0xfffe
	s_and_b32 s8, s10, s8
	s_wait_alu 0xfffe
	s_xor_b32 s9, s8, -1
	s_wait_alu 0xfffe
	s_and_saveexec_b32 s10, s9
	s_wait_alu 0xfffe
	s_xor_b32 s9, exec_lo, s10
; %bb.19:                               ;   in Loop: Header=BB8_2 Depth=1
	v_lshlrev_b32_e32 v54, 2, v57
	ds_load_b32 v54, v54 offset:4
; %bb.20:                               ;   in Loop: Header=BB8_2 Depth=1
	s_wait_alu 0xfffe
	s_or_saveexec_b32 s9, s9
	v_mov_b32_e32 v55, v53
	s_wait_alu 0xfffe
	s_xor_b32 exec_lo, exec_lo, s9
	s_cbranch_execz .LBB8_22
; %bb.21:                               ;   in Loop: Header=BB8_2 Depth=1
	s_wait_dscnt 0x0
	v_lshlrev_b32_e32 v54, 2, v56
	ds_load_b32 v55, v54 offset:4
	v_mov_b32_e32 v54, v52
.LBB8_22:                               ;   in Loop: Header=BB8_2 Depth=1
	s_or_b32 exec_lo, exec_lo, s9
	v_add_nc_u32_e32 v58, 1, v57
	v_add_nc_u32_e32 v60, 1, v56
	s_wait_dscnt 0x0
	v_cmp_lt_i32_e64 s10, v55, v54
	s_delay_alu instid0(VALU_DEP_3) | instskip(NEXT) | instid1(VALU_DEP_3)
	v_cndmask_b32_e64 v59, v58, v57, s8
	v_cndmask_b32_e64 v58, v56, v60, s8
                                        ; implicit-def: $vgpr56
	s_delay_alu instid0(VALU_DEP_2) | instskip(NEXT) | instid1(VALU_DEP_2)
	v_cmp_ge_i32_e64 s9, v59, v2
	v_cmp_lt_i32_e64 s11, v58, v3
	s_or_b32 s9, s9, s10
	s_wait_alu 0xfffe
	s_and_b32 s9, s11, s9
	s_wait_alu 0xfffe
	s_xor_b32 s10, s9, -1
	s_wait_alu 0xfffe
	s_and_saveexec_b32 s11, s10
	s_wait_alu 0xfffe
	s_xor_b32 s10, exec_lo, s11
; %bb.23:                               ;   in Loop: Header=BB8_2 Depth=1
	v_lshlrev_b32_e32 v56, 2, v59
	ds_load_b32 v56, v56 offset:4
; %bb.24:                               ;   in Loop: Header=BB8_2 Depth=1
	s_wait_alu 0xfffe
	s_or_saveexec_b32 s10, s10
	v_mov_b32_e32 v57, v55
	s_wait_alu 0xfffe
	s_xor_b32 exec_lo, exec_lo, s10
	s_cbranch_execz .LBB8_26
; %bb.25:                               ;   in Loop: Header=BB8_2 Depth=1
	s_wait_dscnt 0x0
	v_lshlrev_b32_e32 v56, 2, v58
	ds_load_b32 v57, v56 offset:4
	v_mov_b32_e32 v56, v54
.LBB8_26:                               ;   in Loop: Header=BB8_2 Depth=1
	s_or_b32 exec_lo, exec_lo, s10
	v_add_nc_u32_e32 v60, 1, v59
	v_add_nc_u32_e32 v62, 1, v58
	s_wait_dscnt 0x0
	v_cmp_lt_i32_e64 s11, v57, v56
	s_delay_alu instid0(VALU_DEP_3) | instskip(NEXT) | instid1(VALU_DEP_3)
	v_cndmask_b32_e64 v61, v60, v59, s9
	v_cndmask_b32_e64 v60, v58, v62, s9
                                        ; implicit-def: $vgpr58
	s_delay_alu instid0(VALU_DEP_2) | instskip(NEXT) | instid1(VALU_DEP_2)
	v_cmp_ge_i32_e64 s10, v61, v2
	v_cmp_lt_i32_e64 s12, v60, v3
	s_or_b32 s10, s10, s11
	s_wait_alu 0xfffe
	s_and_b32 s10, s12, s10
	s_wait_alu 0xfffe
	s_xor_b32 s11, s10, -1
	s_wait_alu 0xfffe
	s_and_saveexec_b32 s12, s11
	s_delay_alu instid0(SALU_CYCLE_1)
	s_xor_b32 s11, exec_lo, s12
; %bb.27:                               ;   in Loop: Header=BB8_2 Depth=1
	v_lshlrev_b32_e32 v58, 2, v61
	ds_load_b32 v58, v58 offset:4
; %bb.28:                               ;   in Loop: Header=BB8_2 Depth=1
	s_wait_alu 0xfffe
	s_or_saveexec_b32 s11, s11
	v_mov_b32_e32 v59, v57
	s_wait_alu 0xfffe
	s_xor_b32 exec_lo, exec_lo, s11
	s_cbranch_execz .LBB8_30
; %bb.29:                               ;   in Loop: Header=BB8_2 Depth=1
	s_wait_dscnt 0x0
	v_lshlrev_b32_e32 v58, 2, v60
	ds_load_b32 v59, v58 offset:4
	v_mov_b32_e32 v58, v56
.LBB8_30:                               ;   in Loop: Header=BB8_2 Depth=1
	s_or_b32 exec_lo, exec_lo, s11
	v_add_nc_u32_e32 v62, 1, v61
	v_add_nc_u32_e32 v63, 1, v60
	s_wait_dscnt 0x0
	v_cmp_lt_i32_e64 s12, v59, v58
	s_delay_alu instid0(VALU_DEP_3) | instskip(NEXT) | instid1(VALU_DEP_3)
	v_cndmask_b32_e64 v62, v62, v61, s10
	v_cndmask_b32_e64 v61, v60, v63, s10
                                        ; implicit-def: $vgpr60
	s_delay_alu instid0(VALU_DEP_2) | instskip(NEXT) | instid1(VALU_DEP_2)
	v_cmp_ge_i32_e64 s11, v62, v2
	v_cmp_lt_i32_e64 s13, v61, v3
	s_or_b32 s11, s11, s12
	s_wait_alu 0xfffe
	s_and_b32 s11, s13, s11
	s_wait_alu 0xfffe
	s_xor_b32 s12, s11, -1
	s_delay_alu instid0(SALU_CYCLE_1) | instskip(NEXT) | instid1(SALU_CYCLE_1)
	s_and_saveexec_b32 s13, s12
	s_xor_b32 s12, exec_lo, s13
; %bb.31:                               ;   in Loop: Header=BB8_2 Depth=1
	v_lshlrev_b32_e32 v60, 2, v62
	ds_load_b32 v60, v60 offset:4
; %bb.32:                               ;   in Loop: Header=BB8_2 Depth=1
	s_or_saveexec_b32 s12, s12
	v_mov_b32_e32 v63, v59
	s_xor_b32 exec_lo, exec_lo, s12
	s_cbranch_execz .LBB8_34
; %bb.33:                               ;   in Loop: Header=BB8_2 Depth=1
	s_wait_dscnt 0x0
	v_lshlrev_b32_e32 v60, 2, v61
	ds_load_b32 v63, v60 offset:4
	v_mov_b32_e32 v60, v58
.LBB8_34:                               ;   in Loop: Header=BB8_2 Depth=1
	s_or_b32 exec_lo, exec_lo, s12
	v_add_nc_u32_e32 v64, 1, v62
	v_add_nc_u32_e32 v65, 1, v61
	v_cndmask_b32_e64 v56, v56, v57, s10
	v_cndmask_b32_e64 v54, v54, v55, s9
	;; [unrolled: 1-line block ×5, first 2 shown]
	s_wait_dscnt 0x0
	v_cmp_lt_i32_e64 s8, v63, v60
	v_cndmask_b32_e64 v50, v50, v51, s7
	v_cndmask_b32_e64 v46, v46, v47, s5
	v_cmp_ge_i32_e64 s9, v57, v2
	v_cmp_lt_i32_e64 s7, v55, v3
	v_cndmask_b32_e64 v48, v48, v49, s6
	v_cndmask_b32_e64 v58, v58, v59, s11
	s_wait_loadcnt 0x0
	s_or_b32 s5, s9, s8
	s_barrier_signal -1
	s_wait_alu 0xfffe
	s_and_b32 s5, s7, s5
	s_barrier_wait -1
	s_wait_alu 0xfffe
	v_cndmask_b32_e64 v47, v60, v63, s5
	global_inv scope:SCOPE_SE
	ds_store_2addr_b32 v5, v46, v48 offset1:1
	ds_store_2addr_b32 v5, v50, v52 offset0:2 offset1:3
	ds_store_2addr_b32 v5, v54, v56 offset0:4 offset1:5
	;; [unrolled: 1-line block ×3, first 2 shown]
	v_mov_b32_e32 v48, v15
	s_wait_loadcnt_dscnt 0x0
	s_barrier_signal -1
	s_barrier_wait -1
	global_inv scope:SCOPE_SE
	s_and_saveexec_b32 s6, s0
	s_cbranch_execz .LBB8_38
; %bb.35:                               ;   in Loop: Header=BB8_2 Depth=1
	v_mov_b32_e32 v48, v15
	v_mov_b32_e32 v46, v16
	s_mov_b32 s7, 0
.LBB8_36:                               ;   Parent Loop BB8_2 Depth=1
                                        ; =>  This Inner Loop Header: Depth=2
	s_delay_alu instid0(VALU_DEP_1) | instskip(NEXT) | instid1(VALU_DEP_1)
	v_sub_nc_u32_e32 v47, v46, v48
	v_lshrrev_b32_e32 v47, 1, v47
	s_delay_alu instid0(VALU_DEP_1) | instskip(NEXT) | instid1(VALU_DEP_1)
	v_add_nc_u32_e32 v47, v47, v48
	v_not_b32_e32 v49, v47
	v_lshl_add_u32 v50, v47, 2, v17
	v_add_nc_u32_e32 v51, 1, v47
	s_delay_alu instid0(VALU_DEP_3)
	v_lshl_add_u32 v49, v49, 2, v41
	ds_load_b32 v50, v50
	ds_load_b32 v49, v49
	s_wait_dscnt 0x0
	v_cmp_lt_i32_e64 s5, v49, v50
	s_wait_alu 0xf1ff
	s_delay_alu instid0(VALU_DEP_1) | instskip(SKIP_1) | instid1(VALU_DEP_1)
	v_cndmask_b32_e64 v46, v46, v47, s5
	v_cndmask_b32_e64 v48, v51, v48, s5
	v_cmp_ge_i32_e64 s5, v48, v46
	s_wait_alu 0xfffe
	s_or_b32 s7, s5, s7
	s_wait_alu 0xfffe
	s_and_not1_b32 exec_lo, exec_lo, s7
	s_cbranch_execnz .LBB8_36
; %bb.37:                               ;   in Loop: Header=BB8_2 Depth=1
	s_or_b32 exec_lo, exec_lo, s7
.LBB8_38:                               ;   in Loop: Header=BB8_2 Depth=1
	s_wait_alu 0xfffe
	s_or_b32 exec_lo, exec_lo, s6
	v_sub_nc_u32_e32 v50, v19, v48
	v_lshl_add_u32 v49, v48, 2, v17
	v_add_nc_u32_e32 v51, v48, v4
                                        ; implicit-def: $vgpr48
	s_delay_alu instid0(VALU_DEP_3) | instskip(SKIP_1) | instid1(VALU_DEP_3)
	v_lshlrev_b32_e32 v52, 2, v50
	v_cmp_gt_i32_e64 s7, v7, v50
	v_cmp_le_i32_e64 s5, v6, v51
	ds_load_b32 v46, v49
	ds_load_b32 v47, v52
	s_wait_dscnt 0x0
	v_cmp_lt_i32_e64 s6, v47, v46
	s_or_b32 s5, s5, s6
	s_wait_alu 0xfffe
	s_and_b32 s5, s7, s5
	s_wait_alu 0xfffe
	s_xor_b32 s6, s5, -1
	s_wait_alu 0xfffe
	s_and_saveexec_b32 s7, s6
	s_wait_alu 0xfffe
	s_xor_b32 s6, exec_lo, s7
; %bb.39:                               ;   in Loop: Header=BB8_2 Depth=1
	ds_load_b32 v48, v49 offset:4
                                        ; implicit-def: $vgpr52
; %bb.40:                               ;   in Loop: Header=BB8_2 Depth=1
	s_wait_alu 0xfffe
	s_or_saveexec_b32 s6, s6
	v_mov_b32_e32 v49, v47
	s_wait_alu 0xfffe
	s_xor_b32 exec_lo, exec_lo, s6
	s_cbranch_execz .LBB8_42
; %bb.41:                               ;   in Loop: Header=BB8_2 Depth=1
	ds_load_b32 v49, v52 offset:4
	s_wait_dscnt 0x1
	v_mov_b32_e32 v48, v46
.LBB8_42:                               ;   in Loop: Header=BB8_2 Depth=1
	s_or_b32 exec_lo, exec_lo, s6
	v_add_nc_u32_e32 v52, 1, v51
	v_add_nc_u32_e32 v54, 1, v50
	s_wait_dscnt 0x0
	v_cmp_lt_i32_e64 s7, v49, v48
	s_delay_alu instid0(VALU_DEP_3) | instskip(NEXT) | instid1(VALU_DEP_3)
	v_cndmask_b32_e64 v53, v52, v51, s5
	v_cndmask_b32_e64 v52, v50, v54, s5
                                        ; implicit-def: $vgpr50
	s_delay_alu instid0(VALU_DEP_2) | instskip(NEXT) | instid1(VALU_DEP_2)
	v_cmp_ge_i32_e64 s6, v53, v6
	v_cmp_lt_i32_e64 s8, v52, v7
	s_or_b32 s6, s6, s7
	s_wait_alu 0xfffe
	s_and_b32 s6, s8, s6
	s_wait_alu 0xfffe
	s_xor_b32 s7, s6, -1
	s_wait_alu 0xfffe
	s_and_saveexec_b32 s8, s7
	s_wait_alu 0xfffe
	s_xor_b32 s7, exec_lo, s8
; %bb.43:                               ;   in Loop: Header=BB8_2 Depth=1
	v_lshlrev_b32_e32 v50, 2, v53
	ds_load_b32 v50, v50 offset:4
; %bb.44:                               ;   in Loop: Header=BB8_2 Depth=1
	s_wait_alu 0xfffe
	s_or_saveexec_b32 s7, s7
	v_mov_b32_e32 v51, v49
	s_wait_alu 0xfffe
	s_xor_b32 exec_lo, exec_lo, s7
	s_cbranch_execz .LBB8_46
; %bb.45:                               ;   in Loop: Header=BB8_2 Depth=1
	s_wait_dscnt 0x0
	v_lshlrev_b32_e32 v50, 2, v52
	ds_load_b32 v51, v50 offset:4
	v_mov_b32_e32 v50, v48
.LBB8_46:                               ;   in Loop: Header=BB8_2 Depth=1
	s_or_b32 exec_lo, exec_lo, s7
	v_add_nc_u32_e32 v54, 1, v53
	v_add_nc_u32_e32 v56, 1, v52
	s_wait_dscnt 0x0
	v_cmp_lt_i32_e64 s8, v51, v50
	s_delay_alu instid0(VALU_DEP_3) | instskip(NEXT) | instid1(VALU_DEP_3)
	v_cndmask_b32_e64 v55, v54, v53, s6
	v_cndmask_b32_e64 v54, v52, v56, s6
                                        ; implicit-def: $vgpr52
	s_delay_alu instid0(VALU_DEP_2) | instskip(NEXT) | instid1(VALU_DEP_2)
	v_cmp_ge_i32_e64 s7, v55, v6
	v_cmp_lt_i32_e64 s9, v54, v7
	s_or_b32 s7, s7, s8
	s_wait_alu 0xfffe
	s_and_b32 s7, s9, s7
	s_wait_alu 0xfffe
	s_xor_b32 s8, s7, -1
	s_wait_alu 0xfffe
	s_and_saveexec_b32 s9, s8
	s_wait_alu 0xfffe
	s_xor_b32 s8, exec_lo, s9
; %bb.47:                               ;   in Loop: Header=BB8_2 Depth=1
	v_lshlrev_b32_e32 v52, 2, v55
	ds_load_b32 v52, v52 offset:4
; %bb.48:                               ;   in Loop: Header=BB8_2 Depth=1
	s_wait_alu 0xfffe
	s_or_saveexec_b32 s8, s8
	v_mov_b32_e32 v53, v51
	s_wait_alu 0xfffe
	s_xor_b32 exec_lo, exec_lo, s8
	s_cbranch_execz .LBB8_50
; %bb.49:                               ;   in Loop: Header=BB8_2 Depth=1
	s_wait_dscnt 0x0
	v_lshlrev_b32_e32 v52, 2, v54
	ds_load_b32 v53, v52 offset:4
	v_mov_b32_e32 v52, v50
.LBB8_50:                               ;   in Loop: Header=BB8_2 Depth=1
	s_or_b32 exec_lo, exec_lo, s8
	v_add_nc_u32_e32 v56, 1, v55
	v_add_nc_u32_e32 v58, 1, v54
	s_wait_dscnt 0x0
	v_cmp_lt_i32_e64 s9, v53, v52
	s_delay_alu instid0(VALU_DEP_3) | instskip(NEXT) | instid1(VALU_DEP_3)
	v_cndmask_b32_e64 v57, v56, v55, s7
	v_cndmask_b32_e64 v56, v54, v58, s7
                                        ; implicit-def: $vgpr54
	s_delay_alu instid0(VALU_DEP_2) | instskip(NEXT) | instid1(VALU_DEP_2)
	v_cmp_ge_i32_e64 s8, v57, v6
	v_cmp_lt_i32_e64 s10, v56, v7
	s_or_b32 s8, s8, s9
	s_wait_alu 0xfffe
	s_and_b32 s8, s10, s8
	s_wait_alu 0xfffe
	s_xor_b32 s9, s8, -1
	s_wait_alu 0xfffe
	s_and_saveexec_b32 s10, s9
	s_wait_alu 0xfffe
	s_xor_b32 s9, exec_lo, s10
; %bb.51:                               ;   in Loop: Header=BB8_2 Depth=1
	v_lshlrev_b32_e32 v54, 2, v57
	ds_load_b32 v54, v54 offset:4
; %bb.52:                               ;   in Loop: Header=BB8_2 Depth=1
	s_wait_alu 0xfffe
	s_or_saveexec_b32 s9, s9
	v_mov_b32_e32 v55, v53
	s_wait_alu 0xfffe
	s_xor_b32 exec_lo, exec_lo, s9
	s_cbranch_execz .LBB8_54
; %bb.53:                               ;   in Loop: Header=BB8_2 Depth=1
	s_wait_dscnt 0x0
	v_lshlrev_b32_e32 v54, 2, v56
	ds_load_b32 v55, v54 offset:4
	v_mov_b32_e32 v54, v52
.LBB8_54:                               ;   in Loop: Header=BB8_2 Depth=1
	s_or_b32 exec_lo, exec_lo, s9
	v_add_nc_u32_e32 v58, 1, v57
	v_add_nc_u32_e32 v60, 1, v56
	s_wait_dscnt 0x0
	v_cmp_lt_i32_e64 s10, v55, v54
	s_delay_alu instid0(VALU_DEP_3) | instskip(NEXT) | instid1(VALU_DEP_3)
	v_cndmask_b32_e64 v59, v58, v57, s8
	v_cndmask_b32_e64 v58, v56, v60, s8
                                        ; implicit-def: $vgpr56
	s_delay_alu instid0(VALU_DEP_2) | instskip(NEXT) | instid1(VALU_DEP_2)
	v_cmp_ge_i32_e64 s9, v59, v6
	v_cmp_lt_i32_e64 s11, v58, v7
	s_or_b32 s9, s9, s10
	s_wait_alu 0xfffe
	s_and_b32 s9, s11, s9
	s_wait_alu 0xfffe
	s_xor_b32 s10, s9, -1
	s_wait_alu 0xfffe
	s_and_saveexec_b32 s11, s10
	s_wait_alu 0xfffe
	s_xor_b32 s10, exec_lo, s11
; %bb.55:                               ;   in Loop: Header=BB8_2 Depth=1
	v_lshlrev_b32_e32 v56, 2, v59
	ds_load_b32 v56, v56 offset:4
; %bb.56:                               ;   in Loop: Header=BB8_2 Depth=1
	s_wait_alu 0xfffe
	s_or_saveexec_b32 s10, s10
	v_mov_b32_e32 v57, v55
	s_wait_alu 0xfffe
	s_xor_b32 exec_lo, exec_lo, s10
	s_cbranch_execz .LBB8_58
; %bb.57:                               ;   in Loop: Header=BB8_2 Depth=1
	s_wait_dscnt 0x0
	v_lshlrev_b32_e32 v56, 2, v58
	ds_load_b32 v57, v56 offset:4
	v_mov_b32_e32 v56, v54
.LBB8_58:                               ;   in Loop: Header=BB8_2 Depth=1
	s_or_b32 exec_lo, exec_lo, s10
	v_add_nc_u32_e32 v60, 1, v59
	v_add_nc_u32_e32 v62, 1, v58
	s_wait_dscnt 0x0
	v_cmp_lt_i32_e64 s11, v57, v56
	s_delay_alu instid0(VALU_DEP_3) | instskip(NEXT) | instid1(VALU_DEP_3)
	v_cndmask_b32_e64 v61, v60, v59, s9
	v_cndmask_b32_e64 v60, v58, v62, s9
                                        ; implicit-def: $vgpr58
	s_delay_alu instid0(VALU_DEP_2) | instskip(NEXT) | instid1(VALU_DEP_2)
	v_cmp_ge_i32_e64 s10, v61, v6
	v_cmp_lt_i32_e64 s12, v60, v7
	s_or_b32 s10, s10, s11
	s_wait_alu 0xfffe
	s_and_b32 s10, s12, s10
	s_wait_alu 0xfffe
	s_xor_b32 s11, s10, -1
	s_wait_alu 0xfffe
	s_and_saveexec_b32 s12, s11
	s_delay_alu instid0(SALU_CYCLE_1)
	s_xor_b32 s11, exec_lo, s12
; %bb.59:                               ;   in Loop: Header=BB8_2 Depth=1
	v_lshlrev_b32_e32 v58, 2, v61
	ds_load_b32 v58, v58 offset:4
; %bb.60:                               ;   in Loop: Header=BB8_2 Depth=1
	s_wait_alu 0xfffe
	s_or_saveexec_b32 s11, s11
	v_mov_b32_e32 v59, v57
	s_wait_alu 0xfffe
	s_xor_b32 exec_lo, exec_lo, s11
	s_cbranch_execz .LBB8_62
; %bb.61:                               ;   in Loop: Header=BB8_2 Depth=1
	s_wait_dscnt 0x0
	v_lshlrev_b32_e32 v58, 2, v60
	ds_load_b32 v59, v58 offset:4
	v_mov_b32_e32 v58, v56
.LBB8_62:                               ;   in Loop: Header=BB8_2 Depth=1
	s_or_b32 exec_lo, exec_lo, s11
	v_add_nc_u32_e32 v62, 1, v61
	v_add_nc_u32_e32 v63, 1, v60
	s_wait_dscnt 0x0
	v_cmp_lt_i32_e64 s12, v59, v58
	s_delay_alu instid0(VALU_DEP_3) | instskip(NEXT) | instid1(VALU_DEP_3)
	v_cndmask_b32_e64 v62, v62, v61, s10
	v_cndmask_b32_e64 v61, v60, v63, s10
                                        ; implicit-def: $vgpr60
	s_delay_alu instid0(VALU_DEP_2) | instskip(NEXT) | instid1(VALU_DEP_2)
	v_cmp_ge_i32_e64 s11, v62, v6
	v_cmp_lt_i32_e64 s13, v61, v7
	s_or_b32 s11, s11, s12
	s_wait_alu 0xfffe
	s_and_b32 s11, s13, s11
	s_wait_alu 0xfffe
	s_xor_b32 s12, s11, -1
	s_delay_alu instid0(SALU_CYCLE_1) | instskip(NEXT) | instid1(SALU_CYCLE_1)
	s_and_saveexec_b32 s13, s12
	s_xor_b32 s12, exec_lo, s13
; %bb.63:                               ;   in Loop: Header=BB8_2 Depth=1
	v_lshlrev_b32_e32 v60, 2, v62
	ds_load_b32 v60, v60 offset:4
; %bb.64:                               ;   in Loop: Header=BB8_2 Depth=1
	s_or_saveexec_b32 s12, s12
	v_mov_b32_e32 v63, v59
	s_xor_b32 exec_lo, exec_lo, s12
	s_cbranch_execz .LBB8_66
; %bb.65:                               ;   in Loop: Header=BB8_2 Depth=1
	s_wait_dscnt 0x0
	v_lshlrev_b32_e32 v60, 2, v61
	ds_load_b32 v63, v60 offset:4
	v_mov_b32_e32 v60, v58
.LBB8_66:                               ;   in Loop: Header=BB8_2 Depth=1
	s_or_b32 exec_lo, exec_lo, s12
	v_add_nc_u32_e32 v64, 1, v62
	v_add_nc_u32_e32 v65, 1, v61
	v_cndmask_b32_e64 v56, v56, v57, s10
	v_cndmask_b32_e64 v54, v54, v55, s9
	;; [unrolled: 1-line block ×5, first 2 shown]
	s_wait_dscnt 0x0
	v_cmp_lt_i32_e64 s8, v63, v60
	v_cndmask_b32_e64 v50, v50, v51, s7
	v_cndmask_b32_e64 v46, v46, v47, s5
	v_cmp_ge_i32_e64 s9, v57, v6
	v_cmp_lt_i32_e64 s7, v55, v7
	v_cndmask_b32_e64 v48, v48, v49, s6
	v_cndmask_b32_e64 v58, v58, v59, s11
	s_wait_loadcnt 0x0
	s_or_b32 s5, s9, s8
	s_barrier_signal -1
	s_wait_alu 0xfffe
	s_and_b32 s5, s7, s5
	s_barrier_wait -1
	s_wait_alu 0xfffe
	v_cndmask_b32_e64 v47, v60, v63, s5
	global_inv scope:SCOPE_SE
	ds_store_2addr_b32 v5, v46, v48 offset1:1
	ds_store_2addr_b32 v5, v50, v52 offset0:2 offset1:3
	ds_store_2addr_b32 v5, v54, v56 offset0:4 offset1:5
	;; [unrolled: 1-line block ×3, first 2 shown]
	v_mov_b32_e32 v48, v22
	s_wait_loadcnt_dscnt 0x0
	s_barrier_signal -1
	s_barrier_wait -1
	global_inv scope:SCOPE_SE
	s_and_saveexec_b32 s6, s1
	s_cbranch_execz .LBB8_70
; %bb.67:                               ;   in Loop: Header=BB8_2 Depth=1
	v_mov_b32_e32 v48, v22
	v_mov_b32_e32 v46, v24
	s_mov_b32 s7, 0
.LBB8_68:                               ;   Parent Loop BB8_2 Depth=1
                                        ; =>  This Inner Loop Header: Depth=2
	s_delay_alu instid0(VALU_DEP_1) | instskip(NEXT) | instid1(VALU_DEP_1)
	v_sub_nc_u32_e32 v47, v46, v48
	v_lshrrev_b32_e32 v47, 1, v47
	s_delay_alu instid0(VALU_DEP_1) | instskip(NEXT) | instid1(VALU_DEP_1)
	v_add_nc_u32_e32 v47, v47, v48
	v_not_b32_e32 v49, v47
	v_lshl_add_u32 v50, v47, 2, v25
	v_add_nc_u32_e32 v51, 1, v47
	s_delay_alu instid0(VALU_DEP_3)
	v_lshl_add_u32 v49, v49, 2, v42
	ds_load_b32 v50, v50
	ds_load_b32 v49, v49
	s_wait_dscnt 0x0
	v_cmp_lt_i32_e64 s5, v49, v50
	s_wait_alu 0xf1ff
	s_delay_alu instid0(VALU_DEP_1) | instskip(SKIP_1) | instid1(VALU_DEP_1)
	v_cndmask_b32_e64 v46, v46, v47, s5
	v_cndmask_b32_e64 v48, v51, v48, s5
	v_cmp_ge_i32_e64 s5, v48, v46
	s_wait_alu 0xfffe
	s_or_b32 s7, s5, s7
	s_wait_alu 0xfffe
	s_and_not1_b32 exec_lo, exec_lo, s7
	s_cbranch_execnz .LBB8_68
; %bb.69:                               ;   in Loop: Header=BB8_2 Depth=1
	s_or_b32 exec_lo, exec_lo, s7
.LBB8_70:                               ;   in Loop: Header=BB8_2 Depth=1
	s_wait_alu 0xfffe
	s_or_b32 exec_lo, exec_lo, s6
	v_sub_nc_u32_e32 v50, v30, v48
	v_lshl_add_u32 v49, v48, 2, v25
	v_add_nc_u32_e32 v51, v48, v11
                                        ; implicit-def: $vgpr48
	s_delay_alu instid0(VALU_DEP_3) | instskip(SKIP_1) | instid1(VALU_DEP_3)
	v_lshlrev_b32_e32 v52, 2, v50
	v_cmp_gt_i32_e64 s7, v14, v50
	v_cmp_le_i32_e64 s5, v13, v51
	ds_load_b32 v46, v49
	ds_load_b32 v47, v52
	s_wait_dscnt 0x0
	v_cmp_lt_i32_e64 s6, v47, v46
	s_or_b32 s5, s5, s6
	s_wait_alu 0xfffe
	s_and_b32 s5, s7, s5
	s_wait_alu 0xfffe
	s_xor_b32 s6, s5, -1
	s_wait_alu 0xfffe
	s_and_saveexec_b32 s7, s6
	s_wait_alu 0xfffe
	s_xor_b32 s6, exec_lo, s7
; %bb.71:                               ;   in Loop: Header=BB8_2 Depth=1
	ds_load_b32 v48, v49 offset:4
                                        ; implicit-def: $vgpr52
; %bb.72:                               ;   in Loop: Header=BB8_2 Depth=1
	s_wait_alu 0xfffe
	s_or_saveexec_b32 s6, s6
	v_mov_b32_e32 v49, v47
	s_wait_alu 0xfffe
	s_xor_b32 exec_lo, exec_lo, s6
	s_cbranch_execz .LBB8_74
; %bb.73:                               ;   in Loop: Header=BB8_2 Depth=1
	ds_load_b32 v49, v52 offset:4
	s_wait_dscnt 0x1
	v_mov_b32_e32 v48, v46
.LBB8_74:                               ;   in Loop: Header=BB8_2 Depth=1
	s_or_b32 exec_lo, exec_lo, s6
	v_add_nc_u32_e32 v52, 1, v51
	v_add_nc_u32_e32 v54, 1, v50
	s_wait_dscnt 0x0
	v_cmp_lt_i32_e64 s7, v49, v48
	s_delay_alu instid0(VALU_DEP_3) | instskip(NEXT) | instid1(VALU_DEP_3)
	v_cndmask_b32_e64 v53, v52, v51, s5
	v_cndmask_b32_e64 v52, v50, v54, s5
                                        ; implicit-def: $vgpr50
	s_delay_alu instid0(VALU_DEP_2) | instskip(NEXT) | instid1(VALU_DEP_2)
	v_cmp_ge_i32_e64 s6, v53, v13
	v_cmp_lt_i32_e64 s8, v52, v14
	s_or_b32 s6, s6, s7
	s_wait_alu 0xfffe
	s_and_b32 s6, s8, s6
	s_wait_alu 0xfffe
	s_xor_b32 s7, s6, -1
	s_wait_alu 0xfffe
	s_and_saveexec_b32 s8, s7
	s_wait_alu 0xfffe
	s_xor_b32 s7, exec_lo, s8
; %bb.75:                               ;   in Loop: Header=BB8_2 Depth=1
	v_lshlrev_b32_e32 v50, 2, v53
	ds_load_b32 v50, v50 offset:4
; %bb.76:                               ;   in Loop: Header=BB8_2 Depth=1
	s_wait_alu 0xfffe
	s_or_saveexec_b32 s7, s7
	v_mov_b32_e32 v51, v49
	s_wait_alu 0xfffe
	s_xor_b32 exec_lo, exec_lo, s7
	s_cbranch_execz .LBB8_78
; %bb.77:                               ;   in Loop: Header=BB8_2 Depth=1
	s_wait_dscnt 0x0
	v_lshlrev_b32_e32 v50, 2, v52
	ds_load_b32 v51, v50 offset:4
	v_mov_b32_e32 v50, v48
.LBB8_78:                               ;   in Loop: Header=BB8_2 Depth=1
	s_or_b32 exec_lo, exec_lo, s7
	v_add_nc_u32_e32 v54, 1, v53
	v_add_nc_u32_e32 v56, 1, v52
	s_wait_dscnt 0x0
	v_cmp_lt_i32_e64 s8, v51, v50
	s_delay_alu instid0(VALU_DEP_3) | instskip(NEXT) | instid1(VALU_DEP_3)
	v_cndmask_b32_e64 v55, v54, v53, s6
	v_cndmask_b32_e64 v54, v52, v56, s6
                                        ; implicit-def: $vgpr52
	s_delay_alu instid0(VALU_DEP_2) | instskip(NEXT) | instid1(VALU_DEP_2)
	v_cmp_ge_i32_e64 s7, v55, v13
	v_cmp_lt_i32_e64 s9, v54, v14
	s_or_b32 s7, s7, s8
	s_wait_alu 0xfffe
	s_and_b32 s7, s9, s7
	s_wait_alu 0xfffe
	s_xor_b32 s8, s7, -1
	s_wait_alu 0xfffe
	s_and_saveexec_b32 s9, s8
	s_wait_alu 0xfffe
	s_xor_b32 s8, exec_lo, s9
; %bb.79:                               ;   in Loop: Header=BB8_2 Depth=1
	v_lshlrev_b32_e32 v52, 2, v55
	ds_load_b32 v52, v52 offset:4
; %bb.80:                               ;   in Loop: Header=BB8_2 Depth=1
	s_wait_alu 0xfffe
	s_or_saveexec_b32 s8, s8
	v_mov_b32_e32 v53, v51
	s_wait_alu 0xfffe
	s_xor_b32 exec_lo, exec_lo, s8
	s_cbranch_execz .LBB8_82
; %bb.81:                               ;   in Loop: Header=BB8_2 Depth=1
	s_wait_dscnt 0x0
	v_lshlrev_b32_e32 v52, 2, v54
	ds_load_b32 v53, v52 offset:4
	v_mov_b32_e32 v52, v50
.LBB8_82:                               ;   in Loop: Header=BB8_2 Depth=1
	s_or_b32 exec_lo, exec_lo, s8
	v_add_nc_u32_e32 v56, 1, v55
	v_add_nc_u32_e32 v58, 1, v54
	s_wait_dscnt 0x0
	v_cmp_lt_i32_e64 s9, v53, v52
	s_delay_alu instid0(VALU_DEP_3) | instskip(NEXT) | instid1(VALU_DEP_3)
	v_cndmask_b32_e64 v57, v56, v55, s7
	v_cndmask_b32_e64 v56, v54, v58, s7
                                        ; implicit-def: $vgpr54
	s_delay_alu instid0(VALU_DEP_2) | instskip(NEXT) | instid1(VALU_DEP_2)
	v_cmp_ge_i32_e64 s8, v57, v13
	v_cmp_lt_i32_e64 s10, v56, v14
	s_or_b32 s8, s8, s9
	s_wait_alu 0xfffe
	s_and_b32 s8, s10, s8
	s_wait_alu 0xfffe
	s_xor_b32 s9, s8, -1
	s_wait_alu 0xfffe
	s_and_saveexec_b32 s10, s9
	s_wait_alu 0xfffe
	s_xor_b32 s9, exec_lo, s10
; %bb.83:                               ;   in Loop: Header=BB8_2 Depth=1
	v_lshlrev_b32_e32 v54, 2, v57
	ds_load_b32 v54, v54 offset:4
; %bb.84:                               ;   in Loop: Header=BB8_2 Depth=1
	s_wait_alu 0xfffe
	s_or_saveexec_b32 s9, s9
	v_mov_b32_e32 v55, v53
	s_wait_alu 0xfffe
	s_xor_b32 exec_lo, exec_lo, s9
	s_cbranch_execz .LBB8_86
; %bb.85:                               ;   in Loop: Header=BB8_2 Depth=1
	s_wait_dscnt 0x0
	v_lshlrev_b32_e32 v54, 2, v56
	ds_load_b32 v55, v54 offset:4
	v_mov_b32_e32 v54, v52
.LBB8_86:                               ;   in Loop: Header=BB8_2 Depth=1
	s_or_b32 exec_lo, exec_lo, s9
	v_add_nc_u32_e32 v58, 1, v57
	v_add_nc_u32_e32 v60, 1, v56
	s_wait_dscnt 0x0
	v_cmp_lt_i32_e64 s10, v55, v54
	s_delay_alu instid0(VALU_DEP_3) | instskip(NEXT) | instid1(VALU_DEP_3)
	v_cndmask_b32_e64 v59, v58, v57, s8
	v_cndmask_b32_e64 v58, v56, v60, s8
                                        ; implicit-def: $vgpr56
	s_delay_alu instid0(VALU_DEP_2) | instskip(NEXT) | instid1(VALU_DEP_2)
	v_cmp_ge_i32_e64 s9, v59, v13
	v_cmp_lt_i32_e64 s11, v58, v14
	s_or_b32 s9, s9, s10
	s_wait_alu 0xfffe
	s_and_b32 s9, s11, s9
	s_wait_alu 0xfffe
	s_xor_b32 s10, s9, -1
	s_wait_alu 0xfffe
	s_and_saveexec_b32 s11, s10
	s_wait_alu 0xfffe
	s_xor_b32 s10, exec_lo, s11
; %bb.87:                               ;   in Loop: Header=BB8_2 Depth=1
	v_lshlrev_b32_e32 v56, 2, v59
	ds_load_b32 v56, v56 offset:4
; %bb.88:                               ;   in Loop: Header=BB8_2 Depth=1
	s_wait_alu 0xfffe
	s_or_saveexec_b32 s10, s10
	v_mov_b32_e32 v57, v55
	s_wait_alu 0xfffe
	s_xor_b32 exec_lo, exec_lo, s10
	s_cbranch_execz .LBB8_90
; %bb.89:                               ;   in Loop: Header=BB8_2 Depth=1
	s_wait_dscnt 0x0
	v_lshlrev_b32_e32 v56, 2, v58
	ds_load_b32 v57, v56 offset:4
	v_mov_b32_e32 v56, v54
.LBB8_90:                               ;   in Loop: Header=BB8_2 Depth=1
	s_or_b32 exec_lo, exec_lo, s10
	v_add_nc_u32_e32 v60, 1, v59
	v_add_nc_u32_e32 v62, 1, v58
	s_wait_dscnt 0x0
	v_cmp_lt_i32_e64 s11, v57, v56
	s_delay_alu instid0(VALU_DEP_3) | instskip(NEXT) | instid1(VALU_DEP_3)
	v_cndmask_b32_e64 v61, v60, v59, s9
	v_cndmask_b32_e64 v60, v58, v62, s9
                                        ; implicit-def: $vgpr58
	s_delay_alu instid0(VALU_DEP_2) | instskip(NEXT) | instid1(VALU_DEP_2)
	v_cmp_ge_i32_e64 s10, v61, v13
	v_cmp_lt_i32_e64 s12, v60, v14
	s_or_b32 s10, s10, s11
	s_wait_alu 0xfffe
	s_and_b32 s10, s12, s10
	s_wait_alu 0xfffe
	s_xor_b32 s11, s10, -1
	s_wait_alu 0xfffe
	s_and_saveexec_b32 s12, s11
	s_delay_alu instid0(SALU_CYCLE_1)
	s_xor_b32 s11, exec_lo, s12
; %bb.91:                               ;   in Loop: Header=BB8_2 Depth=1
	v_lshlrev_b32_e32 v58, 2, v61
	ds_load_b32 v58, v58 offset:4
; %bb.92:                               ;   in Loop: Header=BB8_2 Depth=1
	s_wait_alu 0xfffe
	s_or_saveexec_b32 s11, s11
	v_mov_b32_e32 v59, v57
	s_wait_alu 0xfffe
	s_xor_b32 exec_lo, exec_lo, s11
	s_cbranch_execz .LBB8_94
; %bb.93:                               ;   in Loop: Header=BB8_2 Depth=1
	s_wait_dscnt 0x0
	v_lshlrev_b32_e32 v58, 2, v60
	ds_load_b32 v59, v58 offset:4
	v_mov_b32_e32 v58, v56
.LBB8_94:                               ;   in Loop: Header=BB8_2 Depth=1
	s_or_b32 exec_lo, exec_lo, s11
	v_add_nc_u32_e32 v62, 1, v61
	v_add_nc_u32_e32 v63, 1, v60
	s_wait_dscnt 0x0
	v_cmp_lt_i32_e64 s12, v59, v58
	s_delay_alu instid0(VALU_DEP_3) | instskip(NEXT) | instid1(VALU_DEP_3)
	v_cndmask_b32_e64 v62, v62, v61, s10
	v_cndmask_b32_e64 v61, v60, v63, s10
                                        ; implicit-def: $vgpr60
	s_delay_alu instid0(VALU_DEP_2) | instskip(NEXT) | instid1(VALU_DEP_2)
	v_cmp_ge_i32_e64 s11, v62, v13
	v_cmp_lt_i32_e64 s13, v61, v14
	s_or_b32 s11, s11, s12
	s_wait_alu 0xfffe
	s_and_b32 s11, s13, s11
	s_wait_alu 0xfffe
	s_xor_b32 s12, s11, -1
	s_delay_alu instid0(SALU_CYCLE_1) | instskip(NEXT) | instid1(SALU_CYCLE_1)
	s_and_saveexec_b32 s13, s12
	s_xor_b32 s12, exec_lo, s13
; %bb.95:                               ;   in Loop: Header=BB8_2 Depth=1
	v_lshlrev_b32_e32 v60, 2, v62
	ds_load_b32 v60, v60 offset:4
; %bb.96:                               ;   in Loop: Header=BB8_2 Depth=1
	s_or_saveexec_b32 s12, s12
	v_mov_b32_e32 v63, v59
	s_xor_b32 exec_lo, exec_lo, s12
	s_cbranch_execz .LBB8_98
; %bb.97:                               ;   in Loop: Header=BB8_2 Depth=1
	s_wait_dscnt 0x0
	v_lshlrev_b32_e32 v60, 2, v61
	ds_load_b32 v63, v60 offset:4
	v_mov_b32_e32 v60, v58
.LBB8_98:                               ;   in Loop: Header=BB8_2 Depth=1
	s_or_b32 exec_lo, exec_lo, s12
	v_add_nc_u32_e32 v64, 1, v62
	v_add_nc_u32_e32 v65, 1, v61
	v_cndmask_b32_e64 v56, v56, v57, s10
	v_cndmask_b32_e64 v54, v54, v55, s9
	;; [unrolled: 1-line block ×5, first 2 shown]
	s_wait_dscnt 0x0
	v_cmp_lt_i32_e64 s8, v63, v60
	v_cndmask_b32_e64 v50, v50, v51, s7
	v_cndmask_b32_e64 v46, v46, v47, s5
	v_cmp_ge_i32_e64 s9, v57, v13
	v_cmp_lt_i32_e64 s7, v55, v14
	v_cndmask_b32_e64 v48, v48, v49, s6
	v_cndmask_b32_e64 v58, v58, v59, s11
	s_wait_loadcnt 0x0
	s_or_b32 s5, s9, s8
	s_barrier_signal -1
	s_wait_alu 0xfffe
	s_and_b32 s5, s7, s5
	s_barrier_wait -1
	s_wait_alu 0xfffe
	v_cndmask_b32_e64 v47, v60, v63, s5
	global_inv scope:SCOPE_SE
	ds_store_2addr_b32 v5, v46, v48 offset1:1
	ds_store_2addr_b32 v5, v50, v52 offset0:2 offset1:3
	ds_store_2addr_b32 v5, v54, v56 offset0:4 offset1:5
	;; [unrolled: 1-line block ×3, first 2 shown]
	v_mov_b32_e32 v48, v28
	s_wait_loadcnt_dscnt 0x0
	s_barrier_signal -1
	s_barrier_wait -1
	global_inv scope:SCOPE_SE
	s_and_saveexec_b32 s6, s2
	s_cbranch_execz .LBB8_102
; %bb.99:                               ;   in Loop: Header=BB8_2 Depth=1
	v_mov_b32_e32 v48, v28
	v_mov_b32_e32 v46, v29
	s_mov_b32 s7, 0
.LBB8_100:                              ;   Parent Loop BB8_2 Depth=1
                                        ; =>  This Inner Loop Header: Depth=2
	s_delay_alu instid0(VALU_DEP_1) | instskip(NEXT) | instid1(VALU_DEP_1)
	v_sub_nc_u32_e32 v47, v46, v48
	v_lshrrev_b32_e32 v47, 1, v47
	s_delay_alu instid0(VALU_DEP_1) | instskip(NEXT) | instid1(VALU_DEP_1)
	v_add_nc_u32_e32 v47, v47, v48
	v_not_b32_e32 v49, v47
	v_lshl_add_u32 v50, v47, 2, v31
	v_add_nc_u32_e32 v51, 1, v47
	s_delay_alu instid0(VALU_DEP_3)
	v_lshl_add_u32 v49, v49, 2, v43
	ds_load_b32 v50, v50
	ds_load_b32 v49, v49
	s_wait_dscnt 0x0
	v_cmp_lt_i32_e64 s5, v49, v50
	s_wait_alu 0xf1ff
	s_delay_alu instid0(VALU_DEP_1) | instskip(SKIP_1) | instid1(VALU_DEP_1)
	v_cndmask_b32_e64 v46, v46, v47, s5
	v_cndmask_b32_e64 v48, v51, v48, s5
	v_cmp_ge_i32_e64 s5, v48, v46
	s_wait_alu 0xfffe
	s_or_b32 s7, s5, s7
	s_wait_alu 0xfffe
	s_and_not1_b32 exec_lo, exec_lo, s7
	s_cbranch_execnz .LBB8_100
; %bb.101:                              ;   in Loop: Header=BB8_2 Depth=1
	s_or_b32 exec_lo, exec_lo, s7
.LBB8_102:                              ;   in Loop: Header=BB8_2 Depth=1
	s_wait_alu 0xfffe
	s_or_b32 exec_lo, exec_lo, s6
	v_sub_nc_u32_e32 v50, v36, v48
	v_lshl_add_u32 v49, v48, 2, v31
	v_add_nc_u32_e32 v51, v48, v18
                                        ; implicit-def: $vgpr48
	s_delay_alu instid0(VALU_DEP_3) | instskip(SKIP_1) | instid1(VALU_DEP_3)
	v_lshlrev_b32_e32 v52, 2, v50
	v_cmp_gt_i32_e64 s7, v21, v50
	v_cmp_le_i32_e64 s5, v20, v51
	ds_load_b32 v46, v49
	ds_load_b32 v47, v52
	s_wait_dscnt 0x0
	v_cmp_lt_i32_e64 s6, v47, v46
	s_or_b32 s5, s5, s6
	s_wait_alu 0xfffe
	s_and_b32 s5, s7, s5
	s_wait_alu 0xfffe
	s_xor_b32 s6, s5, -1
	s_wait_alu 0xfffe
	s_and_saveexec_b32 s7, s6
	s_wait_alu 0xfffe
	s_xor_b32 s6, exec_lo, s7
; %bb.103:                              ;   in Loop: Header=BB8_2 Depth=1
	ds_load_b32 v48, v49 offset:4
                                        ; implicit-def: $vgpr52
; %bb.104:                              ;   in Loop: Header=BB8_2 Depth=1
	s_wait_alu 0xfffe
	s_or_saveexec_b32 s6, s6
	v_mov_b32_e32 v49, v47
	s_wait_alu 0xfffe
	s_xor_b32 exec_lo, exec_lo, s6
	s_cbranch_execz .LBB8_106
; %bb.105:                              ;   in Loop: Header=BB8_2 Depth=1
	ds_load_b32 v49, v52 offset:4
	s_wait_dscnt 0x1
	v_mov_b32_e32 v48, v46
.LBB8_106:                              ;   in Loop: Header=BB8_2 Depth=1
	s_or_b32 exec_lo, exec_lo, s6
	v_add_nc_u32_e32 v52, 1, v51
	v_add_nc_u32_e32 v54, 1, v50
	s_wait_dscnt 0x0
	v_cmp_lt_i32_e64 s7, v49, v48
	s_delay_alu instid0(VALU_DEP_3) | instskip(NEXT) | instid1(VALU_DEP_3)
	v_cndmask_b32_e64 v53, v52, v51, s5
	v_cndmask_b32_e64 v52, v50, v54, s5
                                        ; implicit-def: $vgpr50
	s_delay_alu instid0(VALU_DEP_2) | instskip(NEXT) | instid1(VALU_DEP_2)
	v_cmp_ge_i32_e64 s6, v53, v20
	v_cmp_lt_i32_e64 s8, v52, v21
	s_or_b32 s6, s6, s7
	s_wait_alu 0xfffe
	s_and_b32 s6, s8, s6
	s_wait_alu 0xfffe
	s_xor_b32 s7, s6, -1
	s_wait_alu 0xfffe
	s_and_saveexec_b32 s8, s7
	s_wait_alu 0xfffe
	s_xor_b32 s7, exec_lo, s8
; %bb.107:                              ;   in Loop: Header=BB8_2 Depth=1
	v_lshlrev_b32_e32 v50, 2, v53
	ds_load_b32 v50, v50 offset:4
; %bb.108:                              ;   in Loop: Header=BB8_2 Depth=1
	s_wait_alu 0xfffe
	s_or_saveexec_b32 s7, s7
	v_mov_b32_e32 v51, v49
	s_wait_alu 0xfffe
	s_xor_b32 exec_lo, exec_lo, s7
	s_cbranch_execz .LBB8_110
; %bb.109:                              ;   in Loop: Header=BB8_2 Depth=1
	s_wait_dscnt 0x0
	v_lshlrev_b32_e32 v50, 2, v52
	ds_load_b32 v51, v50 offset:4
	v_mov_b32_e32 v50, v48
.LBB8_110:                              ;   in Loop: Header=BB8_2 Depth=1
	s_or_b32 exec_lo, exec_lo, s7
	v_add_nc_u32_e32 v54, 1, v53
	v_add_nc_u32_e32 v56, 1, v52
	s_wait_dscnt 0x0
	v_cmp_lt_i32_e64 s8, v51, v50
	s_delay_alu instid0(VALU_DEP_3) | instskip(NEXT) | instid1(VALU_DEP_3)
	v_cndmask_b32_e64 v55, v54, v53, s6
	v_cndmask_b32_e64 v54, v52, v56, s6
                                        ; implicit-def: $vgpr52
	s_delay_alu instid0(VALU_DEP_2) | instskip(NEXT) | instid1(VALU_DEP_2)
	v_cmp_ge_i32_e64 s7, v55, v20
	v_cmp_lt_i32_e64 s9, v54, v21
	s_or_b32 s7, s7, s8
	s_wait_alu 0xfffe
	s_and_b32 s7, s9, s7
	s_wait_alu 0xfffe
	s_xor_b32 s8, s7, -1
	s_wait_alu 0xfffe
	s_and_saveexec_b32 s9, s8
	s_wait_alu 0xfffe
	s_xor_b32 s8, exec_lo, s9
; %bb.111:                              ;   in Loop: Header=BB8_2 Depth=1
	v_lshlrev_b32_e32 v52, 2, v55
	ds_load_b32 v52, v52 offset:4
; %bb.112:                              ;   in Loop: Header=BB8_2 Depth=1
	s_wait_alu 0xfffe
	s_or_saveexec_b32 s8, s8
	v_mov_b32_e32 v53, v51
	s_wait_alu 0xfffe
	s_xor_b32 exec_lo, exec_lo, s8
	s_cbranch_execz .LBB8_114
; %bb.113:                              ;   in Loop: Header=BB8_2 Depth=1
	s_wait_dscnt 0x0
	v_lshlrev_b32_e32 v52, 2, v54
	ds_load_b32 v53, v52 offset:4
	v_mov_b32_e32 v52, v50
.LBB8_114:                              ;   in Loop: Header=BB8_2 Depth=1
	s_or_b32 exec_lo, exec_lo, s8
	v_add_nc_u32_e32 v56, 1, v55
	v_add_nc_u32_e32 v58, 1, v54
	s_wait_dscnt 0x0
	v_cmp_lt_i32_e64 s9, v53, v52
	s_delay_alu instid0(VALU_DEP_3) | instskip(NEXT) | instid1(VALU_DEP_3)
	v_cndmask_b32_e64 v57, v56, v55, s7
	v_cndmask_b32_e64 v56, v54, v58, s7
                                        ; implicit-def: $vgpr54
	s_delay_alu instid0(VALU_DEP_2) | instskip(NEXT) | instid1(VALU_DEP_2)
	v_cmp_ge_i32_e64 s8, v57, v20
	v_cmp_lt_i32_e64 s10, v56, v21
	s_or_b32 s8, s8, s9
	s_wait_alu 0xfffe
	s_and_b32 s8, s10, s8
	s_wait_alu 0xfffe
	s_xor_b32 s9, s8, -1
	s_wait_alu 0xfffe
	s_and_saveexec_b32 s10, s9
	s_wait_alu 0xfffe
	s_xor_b32 s9, exec_lo, s10
; %bb.115:                              ;   in Loop: Header=BB8_2 Depth=1
	v_lshlrev_b32_e32 v54, 2, v57
	ds_load_b32 v54, v54 offset:4
; %bb.116:                              ;   in Loop: Header=BB8_2 Depth=1
	s_wait_alu 0xfffe
	s_or_saveexec_b32 s9, s9
	v_mov_b32_e32 v55, v53
	s_wait_alu 0xfffe
	s_xor_b32 exec_lo, exec_lo, s9
	s_cbranch_execz .LBB8_118
; %bb.117:                              ;   in Loop: Header=BB8_2 Depth=1
	s_wait_dscnt 0x0
	v_lshlrev_b32_e32 v54, 2, v56
	ds_load_b32 v55, v54 offset:4
	v_mov_b32_e32 v54, v52
.LBB8_118:                              ;   in Loop: Header=BB8_2 Depth=1
	s_or_b32 exec_lo, exec_lo, s9
	v_add_nc_u32_e32 v58, 1, v57
	v_add_nc_u32_e32 v60, 1, v56
	s_wait_dscnt 0x0
	v_cmp_lt_i32_e64 s10, v55, v54
	s_delay_alu instid0(VALU_DEP_3) | instskip(NEXT) | instid1(VALU_DEP_3)
	v_cndmask_b32_e64 v59, v58, v57, s8
	v_cndmask_b32_e64 v58, v56, v60, s8
                                        ; implicit-def: $vgpr56
	s_delay_alu instid0(VALU_DEP_2) | instskip(NEXT) | instid1(VALU_DEP_2)
	v_cmp_ge_i32_e64 s9, v59, v20
	v_cmp_lt_i32_e64 s11, v58, v21
	s_or_b32 s9, s9, s10
	s_wait_alu 0xfffe
	s_and_b32 s9, s11, s9
	s_wait_alu 0xfffe
	s_xor_b32 s10, s9, -1
	s_wait_alu 0xfffe
	s_and_saveexec_b32 s11, s10
	s_wait_alu 0xfffe
	s_xor_b32 s10, exec_lo, s11
; %bb.119:                              ;   in Loop: Header=BB8_2 Depth=1
	v_lshlrev_b32_e32 v56, 2, v59
	ds_load_b32 v56, v56 offset:4
; %bb.120:                              ;   in Loop: Header=BB8_2 Depth=1
	s_wait_alu 0xfffe
	s_or_saveexec_b32 s10, s10
	v_mov_b32_e32 v57, v55
	s_wait_alu 0xfffe
	s_xor_b32 exec_lo, exec_lo, s10
	s_cbranch_execz .LBB8_122
; %bb.121:                              ;   in Loop: Header=BB8_2 Depth=1
	s_wait_dscnt 0x0
	v_lshlrev_b32_e32 v56, 2, v58
	ds_load_b32 v57, v56 offset:4
	v_mov_b32_e32 v56, v54
.LBB8_122:                              ;   in Loop: Header=BB8_2 Depth=1
	s_or_b32 exec_lo, exec_lo, s10
	v_add_nc_u32_e32 v60, 1, v59
	v_add_nc_u32_e32 v62, 1, v58
	s_wait_dscnt 0x0
	v_cmp_lt_i32_e64 s11, v57, v56
	s_delay_alu instid0(VALU_DEP_3) | instskip(NEXT) | instid1(VALU_DEP_3)
	v_cndmask_b32_e64 v61, v60, v59, s9
	v_cndmask_b32_e64 v60, v58, v62, s9
                                        ; implicit-def: $vgpr58
	s_delay_alu instid0(VALU_DEP_2) | instskip(NEXT) | instid1(VALU_DEP_2)
	v_cmp_ge_i32_e64 s10, v61, v20
	v_cmp_lt_i32_e64 s12, v60, v21
	s_or_b32 s10, s10, s11
	s_wait_alu 0xfffe
	s_and_b32 s10, s12, s10
	s_wait_alu 0xfffe
	s_xor_b32 s11, s10, -1
	s_wait_alu 0xfffe
	s_and_saveexec_b32 s12, s11
	s_delay_alu instid0(SALU_CYCLE_1)
	s_xor_b32 s11, exec_lo, s12
; %bb.123:                              ;   in Loop: Header=BB8_2 Depth=1
	v_lshlrev_b32_e32 v58, 2, v61
	ds_load_b32 v58, v58 offset:4
; %bb.124:                              ;   in Loop: Header=BB8_2 Depth=1
	s_wait_alu 0xfffe
	s_or_saveexec_b32 s11, s11
	v_mov_b32_e32 v59, v57
	s_wait_alu 0xfffe
	s_xor_b32 exec_lo, exec_lo, s11
	s_cbranch_execz .LBB8_126
; %bb.125:                              ;   in Loop: Header=BB8_2 Depth=1
	s_wait_dscnt 0x0
	v_lshlrev_b32_e32 v58, 2, v60
	ds_load_b32 v59, v58 offset:4
	v_mov_b32_e32 v58, v56
.LBB8_126:                              ;   in Loop: Header=BB8_2 Depth=1
	s_or_b32 exec_lo, exec_lo, s11
	v_add_nc_u32_e32 v62, 1, v61
	v_add_nc_u32_e32 v63, 1, v60
	s_wait_dscnt 0x0
	v_cmp_lt_i32_e64 s12, v59, v58
	s_delay_alu instid0(VALU_DEP_3) | instskip(NEXT) | instid1(VALU_DEP_3)
	v_cndmask_b32_e64 v62, v62, v61, s10
	v_cndmask_b32_e64 v61, v60, v63, s10
                                        ; implicit-def: $vgpr60
	s_delay_alu instid0(VALU_DEP_2) | instskip(NEXT) | instid1(VALU_DEP_2)
	v_cmp_ge_i32_e64 s11, v62, v20
	v_cmp_lt_i32_e64 s13, v61, v21
	s_or_b32 s11, s11, s12
	s_wait_alu 0xfffe
	s_and_b32 s11, s13, s11
	s_wait_alu 0xfffe
	s_xor_b32 s12, s11, -1
	s_delay_alu instid0(SALU_CYCLE_1) | instskip(NEXT) | instid1(SALU_CYCLE_1)
	s_and_saveexec_b32 s13, s12
	s_xor_b32 s12, exec_lo, s13
; %bb.127:                              ;   in Loop: Header=BB8_2 Depth=1
	v_lshlrev_b32_e32 v60, 2, v62
	ds_load_b32 v60, v60 offset:4
; %bb.128:                              ;   in Loop: Header=BB8_2 Depth=1
	s_or_saveexec_b32 s12, s12
	v_mov_b32_e32 v63, v59
	s_xor_b32 exec_lo, exec_lo, s12
	s_cbranch_execz .LBB8_130
; %bb.129:                              ;   in Loop: Header=BB8_2 Depth=1
	s_wait_dscnt 0x0
	v_lshlrev_b32_e32 v60, 2, v61
	ds_load_b32 v63, v60 offset:4
	v_mov_b32_e32 v60, v58
.LBB8_130:                              ;   in Loop: Header=BB8_2 Depth=1
	s_or_b32 exec_lo, exec_lo, s12
	v_add_nc_u32_e32 v64, 1, v62
	v_add_nc_u32_e32 v65, 1, v61
	v_cndmask_b32_e64 v56, v56, v57, s10
	v_cndmask_b32_e64 v54, v54, v55, s9
	;; [unrolled: 1-line block ×5, first 2 shown]
	s_wait_dscnt 0x0
	v_cmp_lt_i32_e64 s8, v63, v60
	v_cndmask_b32_e64 v50, v50, v51, s7
	v_cndmask_b32_e64 v46, v46, v47, s5
	v_cmp_ge_i32_e64 s9, v57, v20
	v_cmp_lt_i32_e64 s7, v55, v21
	v_cndmask_b32_e64 v48, v48, v49, s6
	v_cndmask_b32_e64 v58, v58, v59, s11
	s_wait_loadcnt 0x0
	s_or_b32 s5, s9, s8
	s_barrier_signal -1
	s_wait_alu 0xfffe
	s_and_b32 s5, s7, s5
	s_barrier_wait -1
	s_wait_alu 0xfffe
	v_cndmask_b32_e64 v47, v60, v63, s5
	global_inv scope:SCOPE_SE
	ds_store_2addr_b32 v5, v46, v48 offset1:1
	ds_store_2addr_b32 v5, v50, v52 offset0:2 offset1:3
	ds_store_2addr_b32 v5, v54, v56 offset0:4 offset1:5
	;; [unrolled: 1-line block ×3, first 2 shown]
	v_mov_b32_e32 v48, v32
	s_wait_loadcnt_dscnt 0x0
	s_barrier_signal -1
	s_barrier_wait -1
	global_inv scope:SCOPE_SE
	s_and_saveexec_b32 s6, s3
	s_cbranch_execz .LBB8_134
; %bb.131:                              ;   in Loop: Header=BB8_2 Depth=1
	v_mov_b32_e32 v48, v32
	v_mov_b32_e32 v46, v33
	s_mov_b32 s7, 0
.LBB8_132:                              ;   Parent Loop BB8_2 Depth=1
                                        ; =>  This Inner Loop Header: Depth=2
	s_delay_alu instid0(VALU_DEP_1) | instskip(NEXT) | instid1(VALU_DEP_1)
	v_sub_nc_u32_e32 v47, v46, v48
	v_lshrrev_b32_e32 v47, 1, v47
	s_delay_alu instid0(VALU_DEP_1) | instskip(NEXT) | instid1(VALU_DEP_1)
	v_add_nc_u32_e32 v47, v47, v48
	v_not_b32_e32 v49, v47
	v_lshl_add_u32 v50, v47, 2, v37
	v_add_nc_u32_e32 v51, 1, v47
	s_delay_alu instid0(VALU_DEP_3)
	v_lshl_add_u32 v49, v49, 2, v44
	ds_load_b32 v50, v50
	ds_load_b32 v49, v49
	s_wait_dscnt 0x0
	v_cmp_lt_i32_e64 s5, v49, v50
	s_wait_alu 0xf1ff
	s_delay_alu instid0(VALU_DEP_1) | instskip(SKIP_1) | instid1(VALU_DEP_1)
	v_cndmask_b32_e64 v46, v46, v47, s5
	v_cndmask_b32_e64 v48, v51, v48, s5
	v_cmp_ge_i32_e64 s5, v48, v46
	s_wait_alu 0xfffe
	s_or_b32 s7, s5, s7
	s_wait_alu 0xfffe
	s_and_not1_b32 exec_lo, exec_lo, s7
	s_cbranch_execnz .LBB8_132
; %bb.133:                              ;   in Loop: Header=BB8_2 Depth=1
	s_or_b32 exec_lo, exec_lo, s7
.LBB8_134:                              ;   in Loop: Header=BB8_2 Depth=1
	s_wait_alu 0xfffe
	s_or_b32 exec_lo, exec_lo, s6
	v_sub_nc_u32_e32 v50, v38, v48
	v_lshl_add_u32 v49, v48, 2, v37
	v_add_nc_u32_e32 v51, v48, v23
                                        ; implicit-def: $vgpr48
	s_delay_alu instid0(VALU_DEP_3) | instskip(SKIP_1) | instid1(VALU_DEP_3)
	v_lshlrev_b32_e32 v52, 2, v50
	v_cmp_gt_i32_e64 s7, v27, v50
	v_cmp_le_i32_e64 s5, v26, v51
	ds_load_b32 v46, v49
	ds_load_b32 v47, v52
	s_wait_dscnt 0x0
	v_cmp_lt_i32_e64 s6, v47, v46
	s_or_b32 s5, s5, s6
	s_wait_alu 0xfffe
	s_and_b32 s5, s7, s5
	s_wait_alu 0xfffe
	s_xor_b32 s6, s5, -1
	s_wait_alu 0xfffe
	s_and_saveexec_b32 s7, s6
	s_wait_alu 0xfffe
	s_xor_b32 s6, exec_lo, s7
; %bb.135:                              ;   in Loop: Header=BB8_2 Depth=1
	ds_load_b32 v48, v49 offset:4
                                        ; implicit-def: $vgpr52
; %bb.136:                              ;   in Loop: Header=BB8_2 Depth=1
	s_wait_alu 0xfffe
	s_or_saveexec_b32 s6, s6
	v_mov_b32_e32 v49, v47
	s_wait_alu 0xfffe
	s_xor_b32 exec_lo, exec_lo, s6
	s_cbranch_execz .LBB8_138
; %bb.137:                              ;   in Loop: Header=BB8_2 Depth=1
	ds_load_b32 v49, v52 offset:4
	s_wait_dscnt 0x1
	v_mov_b32_e32 v48, v46
.LBB8_138:                              ;   in Loop: Header=BB8_2 Depth=1
	s_or_b32 exec_lo, exec_lo, s6
	v_add_nc_u32_e32 v52, 1, v51
	v_add_nc_u32_e32 v54, 1, v50
	s_wait_dscnt 0x0
	v_cmp_lt_i32_e64 s7, v49, v48
	s_delay_alu instid0(VALU_DEP_3) | instskip(NEXT) | instid1(VALU_DEP_3)
	v_cndmask_b32_e64 v53, v52, v51, s5
	v_cndmask_b32_e64 v52, v50, v54, s5
                                        ; implicit-def: $vgpr50
	s_delay_alu instid0(VALU_DEP_2) | instskip(NEXT) | instid1(VALU_DEP_2)
	v_cmp_ge_i32_e64 s6, v53, v26
	v_cmp_lt_i32_e64 s8, v52, v27
	s_or_b32 s6, s6, s7
	s_wait_alu 0xfffe
	s_and_b32 s6, s8, s6
	s_wait_alu 0xfffe
	s_xor_b32 s7, s6, -1
	s_wait_alu 0xfffe
	s_and_saveexec_b32 s8, s7
	s_wait_alu 0xfffe
	s_xor_b32 s7, exec_lo, s8
; %bb.139:                              ;   in Loop: Header=BB8_2 Depth=1
	v_lshlrev_b32_e32 v50, 2, v53
	ds_load_b32 v50, v50 offset:4
; %bb.140:                              ;   in Loop: Header=BB8_2 Depth=1
	s_wait_alu 0xfffe
	s_or_saveexec_b32 s7, s7
	v_mov_b32_e32 v51, v49
	s_wait_alu 0xfffe
	s_xor_b32 exec_lo, exec_lo, s7
	s_cbranch_execz .LBB8_142
; %bb.141:                              ;   in Loop: Header=BB8_2 Depth=1
	s_wait_dscnt 0x0
	v_lshlrev_b32_e32 v50, 2, v52
	ds_load_b32 v51, v50 offset:4
	v_mov_b32_e32 v50, v48
.LBB8_142:                              ;   in Loop: Header=BB8_2 Depth=1
	s_or_b32 exec_lo, exec_lo, s7
	v_add_nc_u32_e32 v54, 1, v53
	v_add_nc_u32_e32 v56, 1, v52
	s_wait_dscnt 0x0
	v_cmp_lt_i32_e64 s8, v51, v50
	s_delay_alu instid0(VALU_DEP_3) | instskip(NEXT) | instid1(VALU_DEP_3)
	v_cndmask_b32_e64 v55, v54, v53, s6
	v_cndmask_b32_e64 v54, v52, v56, s6
                                        ; implicit-def: $vgpr52
	s_delay_alu instid0(VALU_DEP_2) | instskip(NEXT) | instid1(VALU_DEP_2)
	v_cmp_ge_i32_e64 s7, v55, v26
	v_cmp_lt_i32_e64 s9, v54, v27
	s_or_b32 s7, s7, s8
	s_wait_alu 0xfffe
	s_and_b32 s7, s9, s7
	s_wait_alu 0xfffe
	s_xor_b32 s8, s7, -1
	s_wait_alu 0xfffe
	s_and_saveexec_b32 s9, s8
	s_wait_alu 0xfffe
	s_xor_b32 s8, exec_lo, s9
; %bb.143:                              ;   in Loop: Header=BB8_2 Depth=1
	v_lshlrev_b32_e32 v52, 2, v55
	ds_load_b32 v52, v52 offset:4
; %bb.144:                              ;   in Loop: Header=BB8_2 Depth=1
	s_wait_alu 0xfffe
	s_or_saveexec_b32 s8, s8
	v_mov_b32_e32 v53, v51
	s_wait_alu 0xfffe
	s_xor_b32 exec_lo, exec_lo, s8
	s_cbranch_execz .LBB8_146
; %bb.145:                              ;   in Loop: Header=BB8_2 Depth=1
	s_wait_dscnt 0x0
	v_lshlrev_b32_e32 v52, 2, v54
	ds_load_b32 v53, v52 offset:4
	v_mov_b32_e32 v52, v50
.LBB8_146:                              ;   in Loop: Header=BB8_2 Depth=1
	s_or_b32 exec_lo, exec_lo, s8
	v_add_nc_u32_e32 v56, 1, v55
	v_add_nc_u32_e32 v58, 1, v54
	s_wait_dscnt 0x0
	v_cmp_lt_i32_e64 s9, v53, v52
	s_delay_alu instid0(VALU_DEP_3) | instskip(NEXT) | instid1(VALU_DEP_3)
	v_cndmask_b32_e64 v57, v56, v55, s7
	v_cndmask_b32_e64 v56, v54, v58, s7
                                        ; implicit-def: $vgpr54
	s_delay_alu instid0(VALU_DEP_2) | instskip(NEXT) | instid1(VALU_DEP_2)
	v_cmp_ge_i32_e64 s8, v57, v26
	v_cmp_lt_i32_e64 s10, v56, v27
	s_or_b32 s8, s8, s9
	s_wait_alu 0xfffe
	s_and_b32 s8, s10, s8
	s_wait_alu 0xfffe
	s_xor_b32 s9, s8, -1
	s_wait_alu 0xfffe
	s_and_saveexec_b32 s10, s9
	s_wait_alu 0xfffe
	s_xor_b32 s9, exec_lo, s10
; %bb.147:                              ;   in Loop: Header=BB8_2 Depth=1
	v_lshlrev_b32_e32 v54, 2, v57
	ds_load_b32 v54, v54 offset:4
; %bb.148:                              ;   in Loop: Header=BB8_2 Depth=1
	s_wait_alu 0xfffe
	s_or_saveexec_b32 s9, s9
	v_mov_b32_e32 v55, v53
	s_wait_alu 0xfffe
	s_xor_b32 exec_lo, exec_lo, s9
	s_cbranch_execz .LBB8_150
; %bb.149:                              ;   in Loop: Header=BB8_2 Depth=1
	s_wait_dscnt 0x0
	v_lshlrev_b32_e32 v54, 2, v56
	ds_load_b32 v55, v54 offset:4
	v_mov_b32_e32 v54, v52
.LBB8_150:                              ;   in Loop: Header=BB8_2 Depth=1
	s_or_b32 exec_lo, exec_lo, s9
	v_add_nc_u32_e32 v58, 1, v57
	v_add_nc_u32_e32 v60, 1, v56
	s_wait_dscnt 0x0
	v_cmp_lt_i32_e64 s10, v55, v54
	s_delay_alu instid0(VALU_DEP_3) | instskip(NEXT) | instid1(VALU_DEP_3)
	v_cndmask_b32_e64 v59, v58, v57, s8
	v_cndmask_b32_e64 v58, v56, v60, s8
                                        ; implicit-def: $vgpr56
	s_delay_alu instid0(VALU_DEP_2) | instskip(NEXT) | instid1(VALU_DEP_2)
	v_cmp_ge_i32_e64 s9, v59, v26
	v_cmp_lt_i32_e64 s11, v58, v27
	s_or_b32 s9, s9, s10
	s_wait_alu 0xfffe
	s_and_b32 s9, s11, s9
	s_wait_alu 0xfffe
	s_xor_b32 s10, s9, -1
	s_wait_alu 0xfffe
	s_and_saveexec_b32 s11, s10
	s_wait_alu 0xfffe
	s_xor_b32 s10, exec_lo, s11
; %bb.151:                              ;   in Loop: Header=BB8_2 Depth=1
	v_lshlrev_b32_e32 v56, 2, v59
	ds_load_b32 v56, v56 offset:4
; %bb.152:                              ;   in Loop: Header=BB8_2 Depth=1
	s_wait_alu 0xfffe
	s_or_saveexec_b32 s10, s10
	v_mov_b32_e32 v57, v55
	s_wait_alu 0xfffe
	s_xor_b32 exec_lo, exec_lo, s10
	s_cbranch_execz .LBB8_154
; %bb.153:                              ;   in Loop: Header=BB8_2 Depth=1
	s_wait_dscnt 0x0
	v_lshlrev_b32_e32 v56, 2, v58
	ds_load_b32 v57, v56 offset:4
	v_mov_b32_e32 v56, v54
.LBB8_154:                              ;   in Loop: Header=BB8_2 Depth=1
	s_or_b32 exec_lo, exec_lo, s10
	v_add_nc_u32_e32 v60, 1, v59
	v_add_nc_u32_e32 v62, 1, v58
	s_wait_dscnt 0x0
	v_cmp_lt_i32_e64 s11, v57, v56
	s_delay_alu instid0(VALU_DEP_3) | instskip(NEXT) | instid1(VALU_DEP_3)
	v_cndmask_b32_e64 v61, v60, v59, s9
	v_cndmask_b32_e64 v60, v58, v62, s9
                                        ; implicit-def: $vgpr58
	s_delay_alu instid0(VALU_DEP_2) | instskip(NEXT) | instid1(VALU_DEP_2)
	v_cmp_ge_i32_e64 s10, v61, v26
	v_cmp_lt_i32_e64 s12, v60, v27
	s_or_b32 s10, s10, s11
	s_wait_alu 0xfffe
	s_and_b32 s10, s12, s10
	s_wait_alu 0xfffe
	s_xor_b32 s11, s10, -1
	s_wait_alu 0xfffe
	s_and_saveexec_b32 s12, s11
	s_delay_alu instid0(SALU_CYCLE_1)
	s_xor_b32 s11, exec_lo, s12
; %bb.155:                              ;   in Loop: Header=BB8_2 Depth=1
	v_lshlrev_b32_e32 v58, 2, v61
	ds_load_b32 v58, v58 offset:4
; %bb.156:                              ;   in Loop: Header=BB8_2 Depth=1
	s_wait_alu 0xfffe
	s_or_saveexec_b32 s11, s11
	v_mov_b32_e32 v59, v57
	s_wait_alu 0xfffe
	s_xor_b32 exec_lo, exec_lo, s11
	s_cbranch_execz .LBB8_158
; %bb.157:                              ;   in Loop: Header=BB8_2 Depth=1
	s_wait_dscnt 0x0
	v_lshlrev_b32_e32 v58, 2, v60
	ds_load_b32 v59, v58 offset:4
	v_mov_b32_e32 v58, v56
.LBB8_158:                              ;   in Loop: Header=BB8_2 Depth=1
	s_or_b32 exec_lo, exec_lo, s11
	v_add_nc_u32_e32 v62, 1, v61
	v_add_nc_u32_e32 v63, 1, v60
	s_wait_dscnt 0x0
	v_cmp_lt_i32_e64 s12, v59, v58
	s_delay_alu instid0(VALU_DEP_3) | instskip(NEXT) | instid1(VALU_DEP_3)
	v_cndmask_b32_e64 v62, v62, v61, s10
	v_cndmask_b32_e64 v61, v60, v63, s10
                                        ; implicit-def: $vgpr60
	s_delay_alu instid0(VALU_DEP_2) | instskip(NEXT) | instid1(VALU_DEP_2)
	v_cmp_ge_i32_e64 s11, v62, v26
	v_cmp_lt_i32_e64 s13, v61, v27
	s_or_b32 s11, s11, s12
	s_wait_alu 0xfffe
	s_and_b32 s11, s13, s11
	s_wait_alu 0xfffe
	s_xor_b32 s12, s11, -1
	s_delay_alu instid0(SALU_CYCLE_1) | instskip(NEXT) | instid1(SALU_CYCLE_1)
	s_and_saveexec_b32 s13, s12
	s_xor_b32 s12, exec_lo, s13
; %bb.159:                              ;   in Loop: Header=BB8_2 Depth=1
	v_lshlrev_b32_e32 v60, 2, v62
	ds_load_b32 v60, v60 offset:4
; %bb.160:                              ;   in Loop: Header=BB8_2 Depth=1
	s_or_saveexec_b32 s12, s12
	v_mov_b32_e32 v63, v59
	s_xor_b32 exec_lo, exec_lo, s12
	s_cbranch_execz .LBB8_162
; %bb.161:                              ;   in Loop: Header=BB8_2 Depth=1
	s_wait_dscnt 0x0
	v_lshlrev_b32_e32 v60, 2, v61
	ds_load_b32 v63, v60 offset:4
	v_mov_b32_e32 v60, v58
.LBB8_162:                              ;   in Loop: Header=BB8_2 Depth=1
	s_or_b32 exec_lo, exec_lo, s12
	v_add_nc_u32_e32 v64, 1, v62
	v_add_nc_u32_e32 v65, 1, v61
	v_cndmask_b32_e64 v56, v56, v57, s10
	v_cndmask_b32_e64 v54, v54, v55, s9
	v_cndmask_b32_e64 v52, v52, v53, s8
	v_cndmask_b32_e64 v57, v64, v62, s11
	v_cndmask_b32_e64 v55, v61, v65, s11
	s_wait_dscnt 0x0
	v_cmp_lt_i32_e64 s8, v63, v60
	v_cndmask_b32_e64 v50, v50, v51, s7
	v_cndmask_b32_e64 v46, v46, v47, s5
	v_cmp_ge_i32_e64 s9, v57, v26
	v_cmp_lt_i32_e64 s7, v55, v27
	v_cndmask_b32_e64 v48, v48, v49, s6
	v_cndmask_b32_e64 v58, v58, v59, s11
	s_wait_loadcnt 0x0
	s_or_b32 s5, s9, s8
	s_barrier_signal -1
	s_wait_alu 0xfffe
	s_and_b32 s5, s7, s5
	s_barrier_wait -1
	s_wait_alu 0xfffe
	v_cndmask_b32_e64 v47, v60, v63, s5
	global_inv scope:SCOPE_SE
	ds_store_2addr_b32 v5, v46, v48 offset1:1
	ds_store_2addr_b32 v5, v50, v52 offset0:2 offset1:3
	ds_store_2addr_b32 v5, v54, v56 offset0:4 offset1:5
	;; [unrolled: 1-line block ×3, first 2 shown]
	v_mov_b32_e32 v50, v34
	s_wait_loadcnt_dscnt 0x0
	s_barrier_signal -1
	s_barrier_wait -1
	global_inv scope:SCOPE_SE
	s_and_saveexec_b32 s6, s4
	s_cbranch_execz .LBB8_166
; %bb.163:                              ;   in Loop: Header=BB8_2 Depth=1
	v_mov_b32_e32 v50, v34
	v_mov_b32_e32 v46, v35
	s_mov_b32 s7, 0
.LBB8_164:                              ;   Parent Loop BB8_2 Depth=1
                                        ; =>  This Inner Loop Header: Depth=2
	s_delay_alu instid0(VALU_DEP_1) | instskip(NEXT) | instid1(VALU_DEP_1)
	v_sub_nc_u32_e32 v47, v46, v50
	v_lshrrev_b32_e32 v47, 1, v47
	s_delay_alu instid0(VALU_DEP_1) | instskip(NEXT) | instid1(VALU_DEP_1)
	v_add_nc_u32_e32 v47, v47, v50
	v_not_b32_e32 v48, v47
	v_lshlrev_b32_e32 v49, 2, v47
	v_add_nc_u32_e32 v51, 1, v47
	s_delay_alu instid0(VALU_DEP_3)
	v_lshl_add_u32 v48, v48, 2, v45
	ds_load_b32 v49, v49
	ds_load_b32 v48, v48
	s_wait_dscnt 0x0
	v_cmp_lt_i32_e64 s5, v48, v49
	s_wait_alu 0xf1ff
	s_delay_alu instid0(VALU_DEP_1) | instskip(SKIP_1) | instid1(VALU_DEP_1)
	v_cndmask_b32_e64 v46, v46, v47, s5
	v_cndmask_b32_e64 v50, v51, v50, s5
	v_cmp_ge_i32_e64 s5, v50, v46
	s_wait_alu 0xfffe
	s_or_b32 s7, s5, s7
	s_wait_alu 0xfffe
	s_and_not1_b32 exec_lo, exec_lo, s7
	s_cbranch_execnz .LBB8_164
; %bb.165:                              ;   in Loop: Header=BB8_2 Depth=1
	s_or_b32 exec_lo, exec_lo, s7
.LBB8_166:                              ;   in Loop: Header=BB8_2 Depth=1
	s_wait_alu 0xfffe
	s_or_b32 exec_lo, exec_lo, s6
	v_sub_nc_u32_e32 v51, v39, v50
	v_lshlrev_b32_e32 v49, 2, v50
	v_cmp_le_i32_e64 s5, 0x100, v50
                                        ; implicit-def: $vgpr48
	s_delay_alu instid0(VALU_DEP_3)
	v_lshlrev_b32_e32 v52, 2, v51
	v_cmp_gt_i32_e64 s7, 0x200, v51
	ds_load_b32 v46, v49
	ds_load_b32 v47, v52
	s_wait_dscnt 0x0
	v_cmp_lt_i32_e64 s6, v47, v46
	s_or_b32 s5, s5, s6
	s_wait_alu 0xfffe
	s_and_b32 s5, s7, s5
	s_wait_alu 0xfffe
	s_xor_b32 s6, s5, -1
	s_wait_alu 0xfffe
	s_and_saveexec_b32 s7, s6
	s_wait_alu 0xfffe
	s_xor_b32 s6, exec_lo, s7
; %bb.167:                              ;   in Loop: Header=BB8_2 Depth=1
	ds_load_b32 v48, v49 offset:4
                                        ; implicit-def: $vgpr52
; %bb.168:                              ;   in Loop: Header=BB8_2 Depth=1
	s_wait_alu 0xfffe
	s_or_saveexec_b32 s6, s6
	v_mov_b32_e32 v49, v47
	s_wait_alu 0xfffe
	s_xor_b32 exec_lo, exec_lo, s6
	s_cbranch_execz .LBB8_170
; %bb.169:                              ;   in Loop: Header=BB8_2 Depth=1
	ds_load_b32 v49, v52 offset:4
	s_wait_dscnt 0x1
	v_mov_b32_e32 v48, v46
.LBB8_170:                              ;   in Loop: Header=BB8_2 Depth=1
	s_or_b32 exec_lo, exec_lo, s6
	v_add_nc_u32_e32 v52, 1, v50
	v_add_nc_u32_e32 v54, 1, v51
	s_wait_dscnt 0x0
	v_cmp_lt_i32_e64 s7, v49, v48
	s_delay_alu instid0(VALU_DEP_3) | instskip(NEXT) | instid1(VALU_DEP_3)
	v_cndmask_b32_e64 v53, v52, v50, s5
	v_cndmask_b32_e64 v52, v51, v54, s5
                                        ; implicit-def: $vgpr50
	s_delay_alu instid0(VALU_DEP_2) | instskip(NEXT) | instid1(VALU_DEP_2)
	v_cmp_le_i32_e64 s6, 0x100, v53
	v_cmp_gt_i32_e64 s8, 0x200, v52
	s_or_b32 s6, s6, s7
	s_wait_alu 0xfffe
	s_and_b32 s6, s8, s6
	s_wait_alu 0xfffe
	s_xor_b32 s7, s6, -1
	s_wait_alu 0xfffe
	s_and_saveexec_b32 s8, s7
	s_wait_alu 0xfffe
	s_xor_b32 s7, exec_lo, s8
; %bb.171:                              ;   in Loop: Header=BB8_2 Depth=1
	v_lshlrev_b32_e32 v50, 2, v53
	ds_load_b32 v50, v50 offset:4
; %bb.172:                              ;   in Loop: Header=BB8_2 Depth=1
	s_wait_alu 0xfffe
	s_or_saveexec_b32 s7, s7
	v_mov_b32_e32 v51, v49
	s_wait_alu 0xfffe
	s_xor_b32 exec_lo, exec_lo, s7
	s_cbranch_execz .LBB8_174
; %bb.173:                              ;   in Loop: Header=BB8_2 Depth=1
	s_wait_dscnt 0x0
	v_lshlrev_b32_e32 v50, 2, v52
	ds_load_b32 v51, v50 offset:4
	v_mov_b32_e32 v50, v48
.LBB8_174:                              ;   in Loop: Header=BB8_2 Depth=1
	s_or_b32 exec_lo, exec_lo, s7
	v_add_nc_u32_e32 v54, 1, v53
	v_add_nc_u32_e32 v56, 1, v52
	s_wait_dscnt 0x0
	v_cmp_lt_i32_e64 s8, v51, v50
	s_delay_alu instid0(VALU_DEP_3) | instskip(NEXT) | instid1(VALU_DEP_3)
	v_cndmask_b32_e64 v55, v54, v53, s6
	v_cndmask_b32_e64 v54, v52, v56, s6
                                        ; implicit-def: $vgpr52
	s_delay_alu instid0(VALU_DEP_2) | instskip(NEXT) | instid1(VALU_DEP_2)
	v_cmp_le_i32_e64 s7, 0x100, v55
	v_cmp_gt_i32_e64 s9, 0x200, v54
	s_or_b32 s7, s7, s8
	s_wait_alu 0xfffe
	s_and_b32 s7, s9, s7
	s_wait_alu 0xfffe
	s_xor_b32 s8, s7, -1
	s_wait_alu 0xfffe
	s_and_saveexec_b32 s9, s8
	s_wait_alu 0xfffe
	s_xor_b32 s8, exec_lo, s9
; %bb.175:                              ;   in Loop: Header=BB8_2 Depth=1
	v_lshlrev_b32_e32 v52, 2, v55
	ds_load_b32 v52, v52 offset:4
; %bb.176:                              ;   in Loop: Header=BB8_2 Depth=1
	s_wait_alu 0xfffe
	s_or_saveexec_b32 s8, s8
	v_mov_b32_e32 v53, v51
	s_wait_alu 0xfffe
	s_xor_b32 exec_lo, exec_lo, s8
	s_cbranch_execz .LBB8_178
; %bb.177:                              ;   in Loop: Header=BB8_2 Depth=1
	s_wait_dscnt 0x0
	v_lshlrev_b32_e32 v52, 2, v54
	ds_load_b32 v53, v52 offset:4
	v_mov_b32_e32 v52, v50
.LBB8_178:                              ;   in Loop: Header=BB8_2 Depth=1
	s_or_b32 exec_lo, exec_lo, s8
	v_add_nc_u32_e32 v56, 1, v55
	v_add_nc_u32_e32 v57, 1, v54
	s_wait_dscnt 0x0
	v_cmp_lt_i32_e64 s9, v53, v52
	s_delay_alu instid0(VALU_DEP_3) | instskip(NEXT) | instid1(VALU_DEP_3)
	v_cndmask_b32_e64 v55, v56, v55, s7
	v_cndmask_b32_e64 v54, v54, v57, s7
                                        ; implicit-def: $vgpr56
	s_delay_alu instid0(VALU_DEP_2) | instskip(NEXT) | instid1(VALU_DEP_2)
	v_cmp_le_i32_e64 s8, 0x100, v55
	v_cmp_gt_i32_e64 s10, 0x200, v54
	s_or_b32 s8, s8, s9
	s_wait_alu 0xfffe
	s_and_b32 s8, s10, s8
	s_wait_alu 0xfffe
	s_xor_b32 s9, s8, -1
	s_wait_alu 0xfffe
	s_and_saveexec_b32 s10, s9
	s_wait_alu 0xfffe
	s_xor_b32 s9, exec_lo, s10
; %bb.179:                              ;   in Loop: Header=BB8_2 Depth=1
	v_lshlrev_b32_e32 v56, 2, v55
	ds_load_b32 v56, v56 offset:4
; %bb.180:                              ;   in Loop: Header=BB8_2 Depth=1
	s_wait_alu 0xfffe
	s_or_saveexec_b32 s9, s9
	v_mov_b32_e32 v57, v53
	s_wait_alu 0xfffe
	s_xor_b32 exec_lo, exec_lo, s9
	s_cbranch_execz .LBB8_182
; %bb.181:                              ;   in Loop: Header=BB8_2 Depth=1
	s_wait_dscnt 0x0
	v_lshlrev_b32_e32 v56, 2, v54
	ds_load_b32 v57, v56 offset:4
	v_mov_b32_e32 v56, v52
.LBB8_182:                              ;   in Loop: Header=BB8_2 Depth=1
	s_or_b32 exec_lo, exec_lo, s9
	v_add_nc_u32_e32 v58, 1, v55
	v_add_nc_u32_e32 v59, 1, v54
	s_wait_dscnt 0x0
	v_cmp_lt_i32_e64 s10, v57, v56
	s_delay_alu instid0(VALU_DEP_3) | instskip(NEXT) | instid1(VALU_DEP_3)
	v_cndmask_b32_e64 v55, v58, v55, s8
	v_cndmask_b32_e64 v54, v54, v59, s8
                                        ; implicit-def: $vgpr58
	s_delay_alu instid0(VALU_DEP_2) | instskip(NEXT) | instid1(VALU_DEP_2)
	v_cmp_le_i32_e64 s9, 0x100, v55
	v_cmp_gt_i32_e64 s11, 0x200, v54
	s_or_b32 s9, s9, s10
	s_wait_alu 0xfffe
	s_and_b32 s9, s11, s9
	s_wait_alu 0xfffe
	s_xor_b32 s10, s9, -1
	s_wait_alu 0xfffe
	s_and_saveexec_b32 s11, s10
	s_wait_alu 0xfffe
	s_xor_b32 s10, exec_lo, s11
; %bb.183:                              ;   in Loop: Header=BB8_2 Depth=1
	v_lshlrev_b32_e32 v58, 2, v55
	ds_load_b32 v58, v58 offset:4
; %bb.184:                              ;   in Loop: Header=BB8_2 Depth=1
	s_wait_alu 0xfffe
	s_or_saveexec_b32 s10, s10
	v_mov_b32_e32 v59, v57
	s_wait_alu 0xfffe
	s_xor_b32 exec_lo, exec_lo, s10
	s_cbranch_execz .LBB8_186
; %bb.185:                              ;   in Loop: Header=BB8_2 Depth=1
	s_wait_dscnt 0x0
	v_lshlrev_b32_e32 v58, 2, v54
	ds_load_b32 v59, v58 offset:4
	v_mov_b32_e32 v58, v56
.LBB8_186:                              ;   in Loop: Header=BB8_2 Depth=1
	s_or_b32 exec_lo, exec_lo, s10
	v_add_nc_u32_e32 v60, 1, v55
	v_add_nc_u32_e32 v61, 1, v54
	s_wait_dscnt 0x0
	v_cmp_lt_i32_e64 s11, v59, v58
	s_delay_alu instid0(VALU_DEP_3) | instskip(NEXT) | instid1(VALU_DEP_3)
	v_cndmask_b32_e64 v55, v60, v55, s9
	v_cndmask_b32_e64 v54, v54, v61, s9
                                        ; implicit-def: $vgpr60
	s_delay_alu instid0(VALU_DEP_2) | instskip(NEXT) | instid1(VALU_DEP_2)
	v_cmp_le_i32_e64 s10, 0x100, v55
	v_cmp_gt_i32_e64 s12, 0x200, v54
	s_or_b32 s10, s10, s11
	s_wait_alu 0xfffe
	s_and_b32 s10, s12, s10
	s_wait_alu 0xfffe
	s_xor_b32 s11, s10, -1
	s_wait_alu 0xfffe
	s_and_saveexec_b32 s12, s11
	s_delay_alu instid0(SALU_CYCLE_1)
	s_xor_b32 s11, exec_lo, s12
; %bb.187:                              ;   in Loop: Header=BB8_2 Depth=1
	v_lshlrev_b32_e32 v60, 2, v55
	ds_load_b32 v60, v60 offset:4
; %bb.188:                              ;   in Loop: Header=BB8_2 Depth=1
	s_wait_alu 0xfffe
	s_or_saveexec_b32 s11, s11
	v_mov_b32_e32 v61, v59
	s_wait_alu 0xfffe
	s_xor_b32 exec_lo, exec_lo, s11
	s_cbranch_execz .LBB8_190
; %bb.189:                              ;   in Loop: Header=BB8_2 Depth=1
	s_wait_dscnt 0x0
	v_lshlrev_b32_e32 v60, 2, v54
	ds_load_b32 v61, v60 offset:4
	v_mov_b32_e32 v60, v58
.LBB8_190:                              ;   in Loop: Header=BB8_2 Depth=1
	s_or_b32 exec_lo, exec_lo, s11
	v_add_nc_u32_e32 v62, 1, v55
	v_add_nc_u32_e32 v63, 1, v54
	s_wait_dscnt 0x0
	v_cmp_lt_i32_e64 s12, v61, v60
                                        ; implicit-def: $vgpr64
	s_delay_alu instid0(VALU_DEP_3) | instskip(NEXT) | instid1(VALU_DEP_3)
	v_cndmask_b32_e64 v55, v62, v55, s10
	v_cndmask_b32_e64 v62, v54, v63, s10
                                        ; implicit-def: $vgpr63
	s_delay_alu instid0(VALU_DEP_2) | instskip(NEXT) | instid1(VALU_DEP_2)
	v_cmp_le_i32_e64 s11, 0x100, v55
	v_cmp_gt_i32_e64 s13, 0x200, v62
	s_or_b32 s11, s11, s12
	s_wait_alu 0xfffe
	s_and_b32 s11, s13, s11
	s_wait_alu 0xfffe
	s_xor_b32 s12, s11, -1
	s_delay_alu instid0(SALU_CYCLE_1) | instskip(NEXT) | instid1(SALU_CYCLE_1)
	s_and_saveexec_b32 s13, s12
	s_xor_b32 s12, exec_lo, s13
; %bb.191:                              ;   in Loop: Header=BB8_2 Depth=1
	v_lshlrev_b32_e32 v54, 2, v55
	v_add_nc_u32_e32 v64, 1, v55
                                        ; implicit-def: $vgpr55
	ds_load_b32 v63, v54 offset:4
; %bb.192:                              ;   in Loop: Header=BB8_2 Depth=1
	s_or_saveexec_b32 s12, s12
	v_mov_b32_e32 v65, v61
	s_xor_b32 exec_lo, exec_lo, s12
	s_cbranch_execz .LBB8_1
; %bb.193:                              ;   in Loop: Header=BB8_2 Depth=1
	s_wait_dscnt 0x0
	v_dual_mov_b32 v63, v60 :: v_dual_lshlrev_b32 v54, 2, v62
	v_add_nc_u32_e32 v62, 1, v62
	v_mov_b32_e32 v64, v55
	ds_load_b32 v65, v54 offset:4
	s_branch .LBB8_1
.LBB8_194:
	v_lshlrev_b32_e32 v0, 2, v0
	s_add_nc_u64 s[0:1], s[14:15], s[18:19]
	s_clause 0x7
	global_store_b32 v0, v54, s[0:1]
	global_store_b32 v0, v55, s[0:1] offset:256
	global_store_b32 v0, v48, s[0:1] offset:512
	;; [unrolled: 1-line block ×7, first 2 shown]
	s_endpgm
	.section	.rodata,"a",@progbits
	.p2align	6, 0x0
	.amdhsa_kernel _Z16sort_keys_kernelIiLj64ELj8EN10test_utils4lessELj10EEvPKT_PS2_T2_
		.amdhsa_group_segment_fixed_size 2052
		.amdhsa_private_segment_fixed_size 0
		.amdhsa_kernarg_size 20
		.amdhsa_user_sgpr_count 2
		.amdhsa_user_sgpr_dispatch_ptr 0
		.amdhsa_user_sgpr_queue_ptr 0
		.amdhsa_user_sgpr_kernarg_segment_ptr 1
		.amdhsa_user_sgpr_dispatch_id 0
		.amdhsa_user_sgpr_private_segment_size 0
		.amdhsa_wavefront_size32 1
		.amdhsa_uses_dynamic_stack 0
		.amdhsa_enable_private_segment 0
		.amdhsa_system_sgpr_workgroup_id_x 1
		.amdhsa_system_sgpr_workgroup_id_y 0
		.amdhsa_system_sgpr_workgroup_id_z 0
		.amdhsa_system_sgpr_workgroup_info 0
		.amdhsa_system_vgpr_workitem_id 0
		.amdhsa_next_free_vgpr 66
		.amdhsa_next_free_sgpr 20
		.amdhsa_reserve_vcc 1
		.amdhsa_float_round_mode_32 0
		.amdhsa_float_round_mode_16_64 0
		.amdhsa_float_denorm_mode_32 3
		.amdhsa_float_denorm_mode_16_64 3
		.amdhsa_fp16_overflow 0
		.amdhsa_workgroup_processor_mode 1
		.amdhsa_memory_ordered 1
		.amdhsa_forward_progress 1
		.amdhsa_inst_pref_size 82
		.amdhsa_round_robin_scheduling 0
		.amdhsa_exception_fp_ieee_invalid_op 0
		.amdhsa_exception_fp_denorm_src 0
		.amdhsa_exception_fp_ieee_div_zero 0
		.amdhsa_exception_fp_ieee_overflow 0
		.amdhsa_exception_fp_ieee_underflow 0
		.amdhsa_exception_fp_ieee_inexact 0
		.amdhsa_exception_int_div_zero 0
	.end_amdhsa_kernel
	.section	.text._Z16sort_keys_kernelIiLj64ELj8EN10test_utils4lessELj10EEvPKT_PS2_T2_,"axG",@progbits,_Z16sort_keys_kernelIiLj64ELj8EN10test_utils4lessELj10EEvPKT_PS2_T2_,comdat
.Lfunc_end8:
	.size	_Z16sort_keys_kernelIiLj64ELj8EN10test_utils4lessELj10EEvPKT_PS2_T2_, .Lfunc_end8-_Z16sort_keys_kernelIiLj64ELj8EN10test_utils4lessELj10EEvPKT_PS2_T2_
                                        ; -- End function
	.set _Z16sort_keys_kernelIiLj64ELj8EN10test_utils4lessELj10EEvPKT_PS2_T2_.num_vgpr, 66
	.set _Z16sort_keys_kernelIiLj64ELj8EN10test_utils4lessELj10EEvPKT_PS2_T2_.num_agpr, 0
	.set _Z16sort_keys_kernelIiLj64ELj8EN10test_utils4lessELj10EEvPKT_PS2_T2_.numbered_sgpr, 20
	.set _Z16sort_keys_kernelIiLj64ELj8EN10test_utils4lessELj10EEvPKT_PS2_T2_.num_named_barrier, 0
	.set _Z16sort_keys_kernelIiLj64ELj8EN10test_utils4lessELj10EEvPKT_PS2_T2_.private_seg_size, 0
	.set _Z16sort_keys_kernelIiLj64ELj8EN10test_utils4lessELj10EEvPKT_PS2_T2_.uses_vcc, 1
	.set _Z16sort_keys_kernelIiLj64ELj8EN10test_utils4lessELj10EEvPKT_PS2_T2_.uses_flat_scratch, 0
	.set _Z16sort_keys_kernelIiLj64ELj8EN10test_utils4lessELj10EEvPKT_PS2_T2_.has_dyn_sized_stack, 0
	.set _Z16sort_keys_kernelIiLj64ELj8EN10test_utils4lessELj10EEvPKT_PS2_T2_.has_recursion, 0
	.set _Z16sort_keys_kernelIiLj64ELj8EN10test_utils4lessELj10EEvPKT_PS2_T2_.has_indirect_call, 0
	.section	.AMDGPU.csdata,"",@progbits
; Kernel info:
; codeLenInByte = 10472
; TotalNumSgprs: 22
; NumVgprs: 66
; ScratchSize: 0
; MemoryBound: 0
; FloatMode: 240
; IeeeMode: 1
; LDSByteSize: 2052 bytes/workgroup (compile time only)
; SGPRBlocks: 0
; VGPRBlocks: 8
; NumSGPRsForWavesPerEU: 22
; NumVGPRsForWavesPerEU: 66
; Occupancy: 16
; WaveLimiterHint : 1
; COMPUTE_PGM_RSRC2:SCRATCH_EN: 0
; COMPUTE_PGM_RSRC2:USER_SGPR: 2
; COMPUTE_PGM_RSRC2:TRAP_HANDLER: 0
; COMPUTE_PGM_RSRC2:TGID_X_EN: 1
; COMPUTE_PGM_RSRC2:TGID_Y_EN: 0
; COMPUTE_PGM_RSRC2:TGID_Z_EN: 0
; COMPUTE_PGM_RSRC2:TIDIG_COMP_CNT: 0
	.section	.text._Z17sort_pairs_kernelIiLj64ELj8EN10test_utils4lessELj10EEvPKT_PS2_T2_,"axG",@progbits,_Z17sort_pairs_kernelIiLj64ELj8EN10test_utils4lessELj10EEvPKT_PS2_T2_,comdat
	.protected	_Z17sort_pairs_kernelIiLj64ELj8EN10test_utils4lessELj10EEvPKT_PS2_T2_ ; -- Begin function _Z17sort_pairs_kernelIiLj64ELj8EN10test_utils4lessELj10EEvPKT_PS2_T2_
	.globl	_Z17sort_pairs_kernelIiLj64ELj8EN10test_utils4lessELj10EEvPKT_PS2_T2_
	.p2align	8
	.type	_Z17sort_pairs_kernelIiLj64ELj8EN10test_utils4lessELj10EEvPKT_PS2_T2_,@function
_Z17sort_pairs_kernelIiLj64ELj8EN10test_utils4lessELj10EEvPKT_PS2_T2_: ; @_Z17sort_pairs_kernelIiLj64ELj8EN10test_utils4lessELj10EEvPKT_PS2_T2_
; %bb.0:
	s_load_b128 s[44:47], s[0:1], 0x0
	s_lshl_b32 s42, ttmp9, 9
	s_mov_b32 s43, 0
	v_lshlrev_b32_e32 v1, 2, v0
	s_lshl_b64 s[48:49], s[42:43], 2
	v_lshlrev_b32_e32 v9, 3, v0
	s_delay_alu instid0(VALU_DEP_1)
	v_and_b32_e32 v2, 0x1f0, v9
	v_and_b32_e32 v3, 0x1e0, v9
	;; [unrolled: 1-line block ×5, first 2 shown]
	v_or_b32_e32 v10, 8, v2
	v_add_nc_u32_e32 v11, 16, v2
	v_or_b32_e32 v13, 16, v3
	v_add_nc_u32_e32 v14, 32, v3
	v_and_b32_e32 v5, 0x180, v9
	s_wait_kmcnt 0x0
	s_add_nc_u64 s[0:1], s[44:45], s[48:49]
	v_sub_nc_u32_e32 v45, v11, v10
	s_clause 0x7
	global_load_b32 v62, v1, s[0:1]
	global_load_b32 v63, v1, s[0:1] offset:256
	global_load_b32 v57, v1, s[0:1] offset:512
	;; [unrolled: 1-line block ×7, first 2 shown]
	v_or_b32_e32 v16, 32, v4
	v_add_nc_u32_e32 v17, 64, v4
	v_sub_nc_u32_e32 v35, v10, v2
	v_sub_nc_u32_e32 v46, v14, v13
	;; [unrolled: 1-line block ×3, first 2 shown]
	v_cmp_ge_i32_e64 s0, v40, v45
	v_and_b32_e32 v42, 56, v9
	v_and_b32_e32 v6, 0x100, v9
	v_or_b32_e32 v19, 64, v5
	v_add_nc_u32_e32 v20, 0x80, v5
	v_lshlrev_b32_e32 v30, 2, v40
	v_add_nc_u32_e32 v25, v10, v40
	v_sub_nc_u32_e32 v36, v13, v3
	v_sub_nc_u32_e32 v47, v17, v16
	v_min_i32_e32 v35, v40, v35
	v_sub_nc_u32_e32 v51, v41, v46
	v_cndmask_b32_e64 v40, 0, v50, s0
	v_cmp_ge_i32_e64 s0, v41, v46
	v_and_b32_e32 v43, 0x78, v9
	v_or_b32_e32 v22, 0x80, v6
	v_add_nc_u32_e32 v23, 0x100, v6
	v_lshlrev_b32_e32 v31, 2, v41
	v_add_nc_u32_e32 v26, v13, v41
	v_sub_nc_u32_e32 v37, v16, v4
	v_sub_nc_u32_e32 v48, v20, v19
	v_min_i32_e32 v36, v41, v36
	v_sub_nc_u32_e32 v52, v42, v47
	s_wait_alu 0xf1ff
	v_cndmask_b32_e64 v41, 0, v51, s0
	v_cmp_ge_i32_e64 s0, v42, v47
	v_and_b32_e32 v44, 0xf8, v9
	v_lshlrev_b32_e32 v32, 2, v42
	v_add_nc_u32_e32 v27, v16, v42
	v_sub_nc_u32_e32 v38, v19, v5
	v_sub_nc_u32_e32 v49, v23, v22
	v_min_i32_e32 v37, v42, v37
	v_sub_nc_u32_e32 v53, v43, v48
	s_wait_alu 0xf1ff
	v_cndmask_b32_e64 v42, 0, v52, s0
	v_cmp_ge_i32_e64 s0, v43, v48
	v_lshlrev_b32_e32 v33, 2, v43
	v_add_nc_u32_e32 v28, v19, v43
	v_sub_nc_u32_e32 v39, v22, v6
	v_min_i32_e32 v38, v43, v38
	v_sub_nc_u32_e32 v60, v44, v49
	s_wait_alu 0xf1ff
	v_cndmask_b32_e64 v43, 0, v53, s0
	v_cmp_ge_i32_e64 s0, v44, v49
	v_lshlrev_b32_e32 v1, 5, v0
	v_lshlrev_b32_e32 v34, 2, v44
	v_add_nc_u32_e32 v29, v22, v44
	v_min_i32_e32 v39, v44, v39
	s_wait_alu 0xf1ff
	v_cndmask_b32_e64 v44, 0, v60, s0
	v_subrev_nc_u32_e64 v7, 0x100, v9 clamp
	v_min_i32_e32 v8, 0x100, v9
	v_add_nc_u32_e32 v9, 0x100, v9
	v_lshlrev_b32_e32 v12, 2, v2
	v_lshlrev_b32_e32 v15, 2, v3
	;; [unrolled: 1-line block ×5, first 2 shown]
	v_lshl_add_u32 v30, v10, 2, v30
	v_lshl_add_u32 v31, v13, 2, v31
	v_lshl_add_u32 v32, v16, 2, v32
	v_lshl_add_u32 v33, v19, 2, v33
	v_lshl_add_u32 v34, v22, 2, v34
	v_cmp_lt_i32_e64 s0, v40, v35
	v_cmp_lt_i32_e64 s1, v41, v36
	;; [unrolled: 1-line block ×5, first 2 shown]
	v_add_nc_u32_e32 v45, 0x400, v1
	v_cmp_lt_i32_e32 vcc_lo, v7, v8
	s_wait_loadcnt 0x7
	v_add_nc_u32_e32 v49, 1, v62
	s_wait_loadcnt 0x6
	v_add_nc_u32_e32 v52, 1, v63
	;; [unrolled: 2-line block ×8, first 2 shown]
	s_branch .LBB9_2
.LBB9_1:                                ;   in Loop: Header=BB9_2 Depth=1
	s_or_b32 exec_lo, exec_lo, s12
	v_cmp_le_i32_e64 s12, 0x100, v82
	s_wait_dscnt 0x0
	v_cmp_lt_i32_e64 s13, v85, v83
	v_cmp_gt_i32_e64 s14, 0x200, v80
	v_cndmask_b32_e64 v59, v54, v59, s5
	v_cndmask_b32_e64 v62, v62, v63, s6
	;; [unrolled: 1-line block ×3, first 2 shown]
	s_or_b32 s12, s12, s13
	v_cndmask_b32_e64 v70, v70, v71, s8
	s_wait_alu 0xfffe
	s_and_b32 s12, s14, s12
	v_cndmask_b32_e64 v75, v75, v76, s9
	v_cndmask_b32_e64 v78, v78, v79, s10
	s_wait_alu 0xfffe
	v_cndmask_b32_e64 v63, v82, v80, s12
	s_wait_loadcnt 0x0
	s_barrier_signal -1
	s_barrier_wait -1
	global_inv scope:SCOPE_SE
	ds_store_2addr_b32 v1, v46, v47 offset1:1
	ds_store_2addr_b32 v1, v48, v49 offset0:2 offset1:3
	ds_store_2addr_b32 v1, v50, v51 offset0:4 offset1:5
	ds_store_2addr_b32 v1, v52, v53 offset0:6 offset1:7
	v_lshlrev_b32_e32 v46, 2, v59
	v_lshlrev_b32_e32 v47, 2, v62
	;; [unrolled: 1-line block ×5, first 2 shown]
	s_wait_loadcnt_dscnt 0x0
	s_barrier_signal -1
	s_barrier_wait -1
	global_inv scope:SCOPE_SE
	v_lshlrev_b32_e32 v62, 2, v78
	v_lshlrev_b32_e32 v66, 2, v81
	;; [unrolled: 1-line block ×3, first 2 shown]
	ds_load_b32 v49, v46
	ds_load_b32 v52, v47
	;; [unrolled: 1-line block ×8, first 2 shown]
	v_cndmask_b32_e64 v54, v83, v85, s12
	v_cndmask_b32_e64 v62, v55, v56, s5
	;; [unrolled: 1-line block ×8, first 2 shown]
	s_add_co_i32 s43, s43, 1
	s_delay_alu instid0(SALU_CYCLE_1)
	s_cmp_eq_u32 s43, 10
	s_cbranch_scc1 .LBB9_194
.LBB9_2:                                ; =>This Loop Header: Depth=1
                                        ;     Child Loop BB9_4 Depth 2
                                        ;     Child Loop BB9_36 Depth 2
	;; [unrolled: 1-line block ×6, first 2 shown]
	v_cmp_lt_i32_e64 s5, v63, v62
	v_cmp_lt_i32_e64 s6, v59, v57
	v_cmp_lt_i32_e64 s7, v56, v58
	v_cmp_lt_i32_e64 s8, v54, v55
	s_wait_alu 0xf1ff
	v_cndmask_b32_e64 v60, v62, v63, s5
	v_cndmask_b32_e64 v61, v59, v57, s6
	;; [unrolled: 1-line block ×8, first 2 shown]
	v_cmp_lt_i32_e64 s9, v57, v62
	s_barrier_signal -1
	v_cmp_lt_i32_e64 s10, v56, v61
	s_barrier_wait -1
	v_cmp_lt_i32_e64 s11, v54, v59
	s_wait_alu 0xf1ff
	v_cndmask_b32_e64 v55, v57, v62, s9
	v_cndmask_b32_e64 v57, v62, v57, s9
	;; [unrolled: 1-line block ×6, first 2 shown]
	v_cmp_lt_i32_e64 s12, v57, v60
	global_inv scope:SCOPE_SE
	v_cmp_lt_i32_e64 s13, v56, v55
	v_cmp_lt_i32_e64 s15, v58, v61
	;; [unrolled: 1-line block ×3, first 2 shown]
	s_wait_alu 0xf1ff
	v_cndmask_b32_e64 v59, v60, v57, s12
	v_cndmask_b32_e64 v57, v57, v60, s12
	;; [unrolled: 1-line block ×8, first 2 shown]
	v_cmp_lt_i32_e64 s16, v55, v57
	s_delay_alu instid0(VALU_DEP_4) | instskip(NEXT) | instid1(VALU_DEP_3)
	v_cmp_lt_i32_e64 s17, v54, v60
	v_cmp_lt_i32_e64 s18, v58, v56
	s_wait_alu 0xf1ff
	s_delay_alu instid0(VALU_DEP_3)
	v_cndmask_b32_e64 v61, v55, v57, s16
	v_cndmask_b32_e64 v55, v57, v55, s16
	;; [unrolled: 1-line block ×6, first 2 shown]
	v_cmp_lt_i32_e64 s19, v55, v59
	s_delay_alu instid0(VALU_DEP_4) | instskip(NEXT) | instid1(VALU_DEP_4)
	v_cmp_lt_i32_e64 s20, v54, v61
	v_cmp_lt_i32_e64 s22, v62, v60
	s_delay_alu instid0(VALU_DEP_4)
	v_cmp_lt_i32_e64 s21, v56, v57
	s_wait_alu 0xf1ff
	v_cndmask_b32_e64 v58, v59, v55, s19
	v_cndmask_b32_e64 v55, v55, v59, s19
	;; [unrolled: 1-line block ×8, first 2 shown]
	v_cmp_lt_i32_e64 s23, v54, v55
	s_delay_alu instid0(VALU_DEP_4) | instskip(NEXT) | instid1(VALU_DEP_3)
	v_cmp_lt_i32_e64 s24, v56, v59
	v_cmp_lt_i32_e64 s25, v60, v61
	s_wait_alu 0xf1ff
	s_delay_alu instid0(VALU_DEP_3)
	v_cndmask_b32_e64 v62, v54, v55, s23
	v_cndmask_b32_e64 v54, v55, v54, s23
	;; [unrolled: 1-line block ×6, first 2 shown]
	v_cmp_lt_i32_e64 s26, v54, v58
	s_delay_alu instid0(VALU_DEP_4) | instskip(NEXT) | instid1(VALU_DEP_4)
	v_cmp_lt_i32_e64 s27, v56, v62
	v_cmp_lt_i32_e64 s31, v57, v59
	s_delay_alu instid0(VALU_DEP_4)
	v_cmp_lt_i32_e64 s29, v60, v55
	s_wait_alu 0xf1ff
	v_cndmask_b32_e64 v61, v58, v54, s26
	v_cndmask_b32_e64 v54, v54, v58, s26
	;; [unrolled: 1-line block ×8, first 2 shown]
	v_cmp_lt_i32_e64 s33, v56, v54
	s_delay_alu instid0(VALU_DEP_4) | instskip(NEXT) | instid1(VALU_DEP_3)
	v_cmp_lt_i32_e64 s28, v55, v58
	v_cmp_lt_i32_e64 s30, v57, v62
	s_wait_alu 0xf1ff
	s_delay_alu instid0(VALU_DEP_3)
	v_cndmask_b32_e64 v59, v56, v54, s33
	v_cndmask_b32_e64 v54, v54, v56, s33
	;; [unrolled: 1-line block ×6, first 2 shown]
	ds_store_2addr_b32 v1, v61, v54 offset1:1
	ds_store_2addr_b32 v1, v59, v55 offset0:2 offset1:3
	ds_store_2addr_b32 v1, v56, v57 offset0:4 offset1:5
	;; [unrolled: 1-line block ×3, first 2 shown]
	v_mov_b32_e32 v56, v40
	s_wait_loadcnt_dscnt 0x0
	s_barrier_signal -1
	s_barrier_wait -1
	global_inv scope:SCOPE_SE
	s_and_saveexec_b32 s35, s0
	s_cbranch_execz .LBB9_6
; %bb.3:                                ;   in Loop: Header=BB9_2 Depth=1
	v_mov_b32_e32 v56, v40
	v_mov_b32_e32 v54, v35
	s_mov_b32 s36, 0
.LBB9_4:                                ;   Parent Loop BB9_2 Depth=1
                                        ; =>  This Inner Loop Header: Depth=2
	s_delay_alu instid0(VALU_DEP_1) | instskip(NEXT) | instid1(VALU_DEP_1)
	v_sub_nc_u32_e32 v55, v54, v56
	v_lshrrev_b32_e32 v55, 1, v55
	s_delay_alu instid0(VALU_DEP_1) | instskip(NEXT) | instid1(VALU_DEP_1)
	v_add_nc_u32_e32 v55, v55, v56
	v_not_b32_e32 v57, v55
	v_lshl_add_u32 v58, v55, 2, v12
	v_add_nc_u32_e32 v59, 1, v55
	s_delay_alu instid0(VALU_DEP_3)
	v_lshl_add_u32 v57, v57, 2, v30
	ds_load_b32 v58, v58
	ds_load_b32 v57, v57
	s_wait_dscnt 0x0
	v_cmp_lt_i32_e64 s34, v57, v58
	s_wait_alu 0xf1ff
	s_delay_alu instid0(VALU_DEP_1) | instskip(SKIP_1) | instid1(VALU_DEP_1)
	v_cndmask_b32_e64 v54, v54, v55, s34
	v_cndmask_b32_e64 v56, v59, v56, s34
	v_cmp_ge_i32_e64 s34, v56, v54
	s_wait_alu 0xfffe
	s_or_b32 s36, s34, s36
	s_wait_alu 0xfffe
	s_and_not1_b32 exec_lo, exec_lo, s36
	s_cbranch_execnz .LBB9_4
; %bb.5:                                ;   in Loop: Header=BB9_2 Depth=1
	s_or_b32 exec_lo, exec_lo, s36
.LBB9_6:                                ;   in Loop: Header=BB9_2 Depth=1
	s_wait_alu 0xfffe
	s_or_b32 exec_lo, exec_lo, s35
	v_sub_nc_u32_e32 v60, v25, v56
	v_lshl_add_u32 v57, v56, 2, v12
	v_add_nc_u32_e32 v62, v56, v2
                                        ; implicit-def: $vgpr56
	s_delay_alu instid0(VALU_DEP_3) | instskip(SKIP_1) | instid1(VALU_DEP_3)
	v_lshlrev_b32_e32 v58, 2, v60
	v_cmp_gt_i32_e64 s36, v11, v60
	v_cmp_le_i32_e64 s34, v10, v62
	ds_load_b32 v54, v57
	ds_load_b32 v55, v58
	s_wait_dscnt 0x0
	v_cmp_lt_i32_e64 s35, v55, v54
	s_or_b32 s34, s34, s35
	s_wait_alu 0xfffe
	s_and_b32 s34, s36, s34
	s_wait_alu 0xfffe
	s_xor_b32 s35, s34, -1
	s_wait_alu 0xfffe
	s_and_saveexec_b32 s36, s35
	s_wait_alu 0xfffe
	s_xor_b32 s35, exec_lo, s36
; %bb.7:                                ;   in Loop: Header=BB9_2 Depth=1
	ds_load_b32 v56, v57 offset:4
                                        ; implicit-def: $vgpr58
; %bb.8:                                ;   in Loop: Header=BB9_2 Depth=1
	s_wait_alu 0xfffe
	s_or_saveexec_b32 s35, s35
	v_mov_b32_e32 v57, v55
	s_wait_alu 0xfffe
	s_xor_b32 exec_lo, exec_lo, s35
	s_cbranch_execz .LBB9_10
; %bb.9:                                ;   in Loop: Header=BB9_2 Depth=1
	ds_load_b32 v57, v58 offset:4
	s_wait_dscnt 0x1
	v_mov_b32_e32 v56, v54
.LBB9_10:                               ;   in Loop: Header=BB9_2 Depth=1
	s_or_b32 exec_lo, exec_lo, s35
	v_add_nc_u32_e32 v58, 1, v62
	v_add_nc_u32_e32 v59, 1, v60
	s_wait_dscnt 0x0
	v_cmp_lt_i32_e64 s36, v57, v56
	s_delay_alu instid0(VALU_DEP_3) | instskip(NEXT) | instid1(VALU_DEP_3)
	v_cndmask_b32_e64 v65, v58, v62, s34
	v_cndmask_b32_e64 v66, v60, v59, s34
                                        ; implicit-def: $vgpr58
	s_delay_alu instid0(VALU_DEP_2) | instskip(NEXT) | instid1(VALU_DEP_2)
	v_cmp_ge_i32_e64 s35, v65, v10
	v_cmp_lt_i32_e64 s37, v66, v11
	s_or_b32 s35, s35, s36
	s_wait_alu 0xfffe
	s_and_b32 s35, s37, s35
	s_wait_alu 0xfffe
	s_xor_b32 s36, s35, -1
	s_wait_alu 0xfffe
	s_and_saveexec_b32 s37, s36
	s_wait_alu 0xfffe
	s_xor_b32 s36, exec_lo, s37
; %bb.11:                               ;   in Loop: Header=BB9_2 Depth=1
	v_lshlrev_b32_e32 v58, 2, v65
	ds_load_b32 v58, v58 offset:4
; %bb.12:                               ;   in Loop: Header=BB9_2 Depth=1
	s_wait_alu 0xfffe
	s_or_saveexec_b32 s36, s36
	v_mov_b32_e32 v59, v57
	s_wait_alu 0xfffe
	s_xor_b32 exec_lo, exec_lo, s36
	s_cbranch_execz .LBB9_14
; %bb.13:                               ;   in Loop: Header=BB9_2 Depth=1
	s_wait_dscnt 0x0
	v_lshlrev_b32_e32 v58, 2, v66
	ds_load_b32 v59, v58 offset:4
	v_mov_b32_e32 v58, v56
.LBB9_14:                               ;   in Loop: Header=BB9_2 Depth=1
	s_or_b32 exec_lo, exec_lo, s36
	v_add_nc_u32_e32 v61, 1, v65
	v_add_nc_u32_e32 v63, 1, v66
	s_wait_dscnt 0x0
	v_cmp_lt_i32_e64 s37, v59, v58
	s_delay_alu instid0(VALU_DEP_3) | instskip(NEXT) | instid1(VALU_DEP_3)
	v_cndmask_b32_e64 v69, v61, v65, s35
	v_cndmask_b32_e64 v70, v66, v63, s35
                                        ; implicit-def: $vgpr61
	s_delay_alu instid0(VALU_DEP_2) | instskip(NEXT) | instid1(VALU_DEP_2)
	v_cmp_ge_i32_e64 s36, v69, v10
	v_cmp_lt_i32_e64 s38, v70, v11
	s_or_b32 s36, s36, s37
	s_wait_alu 0xfffe
	s_and_b32 s36, s38, s36
	s_wait_alu 0xfffe
	s_xor_b32 s37, s36, -1
	s_wait_alu 0xfffe
	s_and_saveexec_b32 s38, s37
	s_wait_alu 0xfffe
	s_xor_b32 s37, exec_lo, s38
; %bb.15:                               ;   in Loop: Header=BB9_2 Depth=1
	v_lshlrev_b32_e32 v61, 2, v69
	ds_load_b32 v61, v61 offset:4
; %bb.16:                               ;   in Loop: Header=BB9_2 Depth=1
	s_wait_alu 0xfffe
	s_or_saveexec_b32 s37, s37
	v_mov_b32_e32 v63, v59
	s_wait_alu 0xfffe
	s_xor_b32 exec_lo, exec_lo, s37
	s_cbranch_execz .LBB9_18
; %bb.17:                               ;   in Loop: Header=BB9_2 Depth=1
	s_wait_dscnt 0x0
	v_lshlrev_b32_e32 v61, 2, v70
	ds_load_b32 v63, v61 offset:4
	v_mov_b32_e32 v61, v58
.LBB9_18:                               ;   in Loop: Header=BB9_2 Depth=1
	s_or_b32 exec_lo, exec_lo, s37
	v_add_nc_u32_e32 v64, 1, v69
	v_add_nc_u32_e32 v67, 1, v70
	s_wait_dscnt 0x0
	v_cmp_lt_i32_e64 s38, v63, v61
	s_delay_alu instid0(VALU_DEP_3) | instskip(NEXT) | instid1(VALU_DEP_3)
	v_cndmask_b32_e64 v72, v64, v69, s36
	v_cndmask_b32_e64 v73, v70, v67, s36
                                        ; implicit-def: $vgpr64
	s_delay_alu instid0(VALU_DEP_2) | instskip(NEXT) | instid1(VALU_DEP_2)
	v_cmp_ge_i32_e64 s37, v72, v10
	v_cmp_lt_i32_e64 s39, v73, v11
	s_or_b32 s37, s37, s38
	s_wait_alu 0xfffe
	s_and_b32 s37, s39, s37
	s_wait_alu 0xfffe
	s_xor_b32 s38, s37, -1
	s_wait_alu 0xfffe
	s_and_saveexec_b32 s39, s38
	s_wait_alu 0xfffe
	s_xor_b32 s38, exec_lo, s39
; %bb.19:                               ;   in Loop: Header=BB9_2 Depth=1
	v_lshlrev_b32_e32 v64, 2, v72
	ds_load_b32 v64, v64 offset:4
; %bb.20:                               ;   in Loop: Header=BB9_2 Depth=1
	s_wait_alu 0xfffe
	s_or_saveexec_b32 s38, s38
	v_mov_b32_e32 v67, v63
	s_wait_alu 0xfffe
	s_xor_b32 exec_lo, exec_lo, s38
	s_cbranch_execz .LBB9_22
; %bb.21:                               ;   in Loop: Header=BB9_2 Depth=1
	s_wait_dscnt 0x0
	v_lshlrev_b32_e32 v64, 2, v73
	ds_load_b32 v67, v64 offset:4
	v_mov_b32_e32 v64, v61
.LBB9_22:                               ;   in Loop: Header=BB9_2 Depth=1
	s_or_b32 exec_lo, exec_lo, s38
	v_add_nc_u32_e32 v68, 1, v72
	v_add_nc_u32_e32 v71, 1, v73
	s_wait_dscnt 0x0
	v_cmp_lt_i32_e64 s39, v67, v64
	s_delay_alu instid0(VALU_DEP_3) | instskip(NEXT) | instid1(VALU_DEP_3)
	v_cndmask_b32_e64 v74, v68, v72, s37
	v_cndmask_b32_e64 v75, v73, v71, s37
                                        ; implicit-def: $vgpr68
	s_delay_alu instid0(VALU_DEP_2) | instskip(NEXT) | instid1(VALU_DEP_2)
	v_cmp_ge_i32_e64 s38, v74, v10
	v_cmp_lt_i32_e64 s40, v75, v11
	s_or_b32 s38, s38, s39
	s_wait_alu 0xfffe
	s_and_b32 s38, s40, s38
	s_wait_alu 0xfffe
	s_xor_b32 s39, s38, -1
	s_wait_alu 0xfffe
	s_and_saveexec_b32 s40, s39
	s_wait_alu 0xfffe
	s_xor_b32 s39, exec_lo, s40
; %bb.23:                               ;   in Loop: Header=BB9_2 Depth=1
	v_lshlrev_b32_e32 v68, 2, v74
	ds_load_b32 v68, v68 offset:4
; %bb.24:                               ;   in Loop: Header=BB9_2 Depth=1
	s_wait_alu 0xfffe
	s_or_saveexec_b32 s39, s39
	v_mov_b32_e32 v71, v67
	s_wait_alu 0xfffe
	s_xor_b32 exec_lo, exec_lo, s39
	s_cbranch_execz .LBB9_26
; %bb.25:                               ;   in Loop: Header=BB9_2 Depth=1
	s_wait_dscnt 0x0
	v_lshlrev_b32_e32 v68, 2, v75
	ds_load_b32 v71, v68 offset:4
	v_mov_b32_e32 v68, v64
.LBB9_26:                               ;   in Loop: Header=BB9_2 Depth=1
	s_or_b32 exec_lo, exec_lo, s39
	v_add_nc_u32_e32 v76, 1, v74
	v_add_nc_u32_e32 v77, 1, v75
	s_wait_dscnt 0x0
	v_cmp_lt_i32_e64 s40, v71, v68
                                        ; implicit-def: $vgpr80
	s_delay_alu instid0(VALU_DEP_3) | instskip(NEXT) | instid1(VALU_DEP_3)
	v_cndmask_b32_e64 v78, v76, v74, s38
	v_cndmask_b32_e64 v79, v75, v77, s38
	s_delay_alu instid0(VALU_DEP_2) | instskip(NEXT) | instid1(VALU_DEP_2)
	v_cmp_ge_i32_e64 s39, v78, v10
	v_cmp_lt_i32_e64 s41, v79, v11
	s_or_b32 s39, s39, s40
	s_wait_alu 0xfffe
	s_and_b32 s39, s41, s39
	s_wait_alu 0xfffe
	s_xor_b32 s40, s39, -1
	s_wait_alu 0xfffe
	s_and_saveexec_b32 s41, s40
	s_wait_alu 0xfffe
	s_xor_b32 s40, exec_lo, s41
; %bb.27:                               ;   in Loop: Header=BB9_2 Depth=1
	v_lshlrev_b32_e32 v76, 2, v78
	ds_load_b32 v80, v76 offset:4
; %bb.28:                               ;   in Loop: Header=BB9_2 Depth=1
	s_wait_alu 0xfffe
	s_or_saveexec_b32 s40, s40
	v_mov_b32_e32 v81, v71
	s_wait_alu 0xfffe
	s_xor_b32 exec_lo, exec_lo, s40
	s_cbranch_execz .LBB9_30
; %bb.29:                               ;   in Loop: Header=BB9_2 Depth=1
	v_lshlrev_b32_e32 v76, 2, v79
	s_wait_dscnt 0x0
	v_mov_b32_e32 v80, v68
	ds_load_b32 v81, v76 offset:4
.LBB9_30:                               ;   in Loop: Header=BB9_2 Depth=1
	s_or_b32 exec_lo, exec_lo, s40
	v_add_nc_u32_e32 v76, 1, v78
	v_add_nc_u32_e32 v77, 1, v79
	s_wait_dscnt 0x0
	v_cmp_lt_i32_e64 s41, v81, v80
	s_delay_alu instid0(VALU_DEP_3) | instskip(NEXT) | instid1(VALU_DEP_3)
	v_cndmask_b32_e64 v82, v76, v78, s39
	v_cndmask_b32_e64 v83, v79, v77, s39
                                        ; implicit-def: $vgpr76
	s_delay_alu instid0(VALU_DEP_2) | instskip(NEXT) | instid1(VALU_DEP_2)
	v_cmp_ge_i32_e64 s40, v82, v10
	v_cmp_lt_i32_e64 s42, v83, v11
	s_or_b32 s40, s40, s41
	s_wait_alu 0xfffe
	s_and_b32 s40, s42, s40
	s_wait_alu 0xfffe
	s_xor_b32 s41, s40, -1
	s_wait_alu 0xfffe
	s_and_saveexec_b32 s42, s41
	s_delay_alu instid0(SALU_CYCLE_1)
	s_xor_b32 s41, exec_lo, s42
; %bb.31:                               ;   in Loop: Header=BB9_2 Depth=1
	v_lshlrev_b32_e32 v76, 2, v82
	ds_load_b32 v76, v76 offset:4
; %bb.32:                               ;   in Loop: Header=BB9_2 Depth=1
	s_wait_alu 0xfffe
	s_or_saveexec_b32 s41, s41
	v_mov_b32_e32 v77, v81
	s_wait_alu 0xfffe
	s_xor_b32 exec_lo, exec_lo, s41
	s_cbranch_execz .LBB9_34
; %bb.33:                               ;   in Loop: Header=BB9_2 Depth=1
	s_wait_dscnt 0x0
	v_lshlrev_b32_e32 v76, 2, v83
	ds_load_b32 v77, v76 offset:4
	v_mov_b32_e32 v76, v80
.LBB9_34:                               ;   in Loop: Header=BB9_2 Depth=1
	s_or_b32 exec_lo, exec_lo, s41
	v_cndmask_b32_e64 v60, v62, v60, s34
	v_cndmask_b32_e64 v62, v49, v52, s5
	v_cndmask_b32_e64 v49, v52, v49, s5
	v_cndmask_b32_e64 v52, v53, v50, s6
	v_cndmask_b32_e64 v50, v50, v53, s6
	v_cndmask_b32_e64 v53, v48, v51, s7
	v_cndmask_b32_e64 v48, v51, v48, s7
	v_cndmask_b32_e64 v51, v47, v46, s8
	v_cndmask_b32_e64 v46, v46, v47, s8
	v_cndmask_b32_e64 v47, v50, v49, s9
	v_cndmask_b32_e64 v49, v49, v50, s9
	v_cndmask_b32_e64 v50, v48, v52, s10
	v_cndmask_b32_e64 v48, v52, v48, s10
	v_cndmask_b32_e64 v52, v46, v53, s11
	v_cndmask_b32_e64 v46, v53, v46, s11
	v_cndmask_b32_e64 v53, v62, v49, s12
	v_cndmask_b32_e64 v49, v49, v62, s12
	v_cndmask_b32_e64 v62, v48, v47, s13
	v_cndmask_b32_e64 v47, v47, v48, s13
	v_cndmask_b32_e64 v48, v46, v50, s14
	v_cndmask_b32_e64 v46, v50, v46, s14
	v_cndmask_b32_e64 v50, v51, v52, s15
	v_cndmask_b32_e64 v51, v52, v51, s15
	v_cndmask_b32_e64 v52, v47, v49, s16
	v_cndmask_b32_e64 v47, v49, v47, s16
	v_cndmask_b32_e64 v49, v46, v62, s17
	v_cndmask_b32_e64 v46, v62, v46, s17
	v_cndmask_b32_e64 v62, v51, v48, s18
	v_cndmask_b32_e64 v48, v48, v51, s18
	v_add_nc_u32_e32 v85, 1, v82
	v_cndmask_b32_e64 v51, v53, v47, s19
	v_cndmask_b32_e64 v47, v47, v53, s19
	;; [unrolled: 1-line block ×8, first 2 shown]
	v_add_nc_u32_e32 v84, 1, v83
	v_cndmask_b32_e64 v80, v80, v81, s40
	v_cndmask_b32_e64 v81, v82, v83, s40
	;; [unrolled: 1-line block ×14, first 2 shown]
	v_cmp_ge_i32_e64 s5, v82, v10
	s_wait_dscnt 0x0
	v_cmp_lt_i32_e64 s6, v77, v76
	v_cndmask_b32_e64 v62, v50, v47, s29
	v_cndmask_b32_e64 v47, v47, v50, s29
	;; [unrolled: 1-line block ×4, first 2 shown]
	v_cmp_lt_i32_e64 s7, v83, v11
	v_cndmask_b32_e64 v53, v48, v46, s33
	v_cndmask_b32_e64 v46, v46, v48, s33
	s_or_b32 s5, s5, s6
	v_cndmask_b32_e64 v65, v65, v66, s35
	v_cndmask_b32_e64 v48, v47, v51, s28
	;; [unrolled: 1-line block ×6, first 2 shown]
	s_wait_alu 0xfffe
	s_and_b32 s5, s7, s5
	v_cndmask_b32_e64 v72, v72, v73, s37
	v_cndmask_b32_e64 v78, v78, v79, s39
	;; [unrolled: 1-line block ×3, first 2 shown]
	s_wait_alu 0xfffe
	v_cndmask_b32_e64 v66, v82, v83, s5
	s_wait_loadcnt 0x0
	s_barrier_signal -1
	s_barrier_wait -1
	global_inv scope:SCOPE_SE
	ds_store_2addr_b32 v1, v52, v46 offset1:1
	ds_store_2addr_b32 v1, v53, v47 offset0:2 offset1:3
	ds_store_2addr_b32 v1, v48, v49 offset0:4 offset1:5
	;; [unrolled: 1-line block ×3, first 2 shown]
	v_lshlrev_b32_e32 v46, 2, v60
	v_lshlrev_b32_e32 v47, 2, v65
	;; [unrolled: 1-line block ×8, first 2 shown]
	s_wait_loadcnt_dscnt 0x0
	s_barrier_signal -1
	s_barrier_wait -1
	global_inv scope:SCOPE_SE
	ds_load_b32 v46, v46
	ds_load_b32 v47, v47
	;; [unrolled: 1-line block ×8, first 2 shown]
	v_cndmask_b32_e64 v56, v56, v57, s35
	v_cndmask_b32_e64 v54, v54, v55, s34
	;; [unrolled: 1-line block ×7, first 2 shown]
	s_wait_loadcnt_dscnt 0x0
	s_barrier_signal -1
	s_barrier_wait -1
	global_inv scope:SCOPE_SE
	ds_store_2addr_b32 v1, v54, v56 offset1:1
	ds_store_2addr_b32 v1, v58, v61 offset0:2 offset1:3
	ds_store_2addr_b32 v1, v64, v60 offset0:4 offset1:5
	;; [unrolled: 1-line block ×3, first 2 shown]
	v_mov_b32_e32 v56, v41
	s_wait_loadcnt_dscnt 0x0
	s_barrier_signal -1
	s_barrier_wait -1
	global_inv scope:SCOPE_SE
	s_and_saveexec_b32 s6, s1
	s_cbranch_execz .LBB9_38
; %bb.35:                               ;   in Loop: Header=BB9_2 Depth=1
	v_mov_b32_e32 v56, v41
	v_mov_b32_e32 v54, v36
	s_mov_b32 s7, 0
.LBB9_36:                               ;   Parent Loop BB9_2 Depth=1
                                        ; =>  This Inner Loop Header: Depth=2
	s_delay_alu instid0(VALU_DEP_1) | instskip(NEXT) | instid1(VALU_DEP_1)
	v_sub_nc_u32_e32 v55, v54, v56
	v_lshrrev_b32_e32 v55, 1, v55
	s_delay_alu instid0(VALU_DEP_1) | instskip(NEXT) | instid1(VALU_DEP_1)
	v_add_nc_u32_e32 v55, v55, v56
	v_not_b32_e32 v57, v55
	v_lshl_add_u32 v58, v55, 2, v15
	v_add_nc_u32_e32 v59, 1, v55
	s_delay_alu instid0(VALU_DEP_3)
	v_lshl_add_u32 v57, v57, 2, v31
	ds_load_b32 v58, v58
	ds_load_b32 v57, v57
	s_wait_dscnt 0x0
	v_cmp_lt_i32_e64 s5, v57, v58
	s_wait_alu 0xf1ff
	s_delay_alu instid0(VALU_DEP_1) | instskip(SKIP_1) | instid1(VALU_DEP_1)
	v_cndmask_b32_e64 v54, v54, v55, s5
	v_cndmask_b32_e64 v56, v59, v56, s5
	v_cmp_ge_i32_e64 s5, v56, v54
	s_wait_alu 0xfffe
	s_or_b32 s7, s5, s7
	s_wait_alu 0xfffe
	s_and_not1_b32 exec_lo, exec_lo, s7
	s_cbranch_execnz .LBB9_36
; %bb.37:                               ;   in Loop: Header=BB9_2 Depth=1
	s_or_b32 exec_lo, exec_lo, s7
.LBB9_38:                               ;   in Loop: Header=BB9_2 Depth=1
	s_wait_alu 0xfffe
	s_or_b32 exec_lo, exec_lo, s6
	v_sub_nc_u32_e32 v58, v26, v56
	v_lshl_add_u32 v57, v56, 2, v15
	v_add_nc_u32_e32 v59, v56, v3
                                        ; implicit-def: $vgpr56
	s_delay_alu instid0(VALU_DEP_3) | instskip(SKIP_1) | instid1(VALU_DEP_3)
	v_lshlrev_b32_e32 v60, 2, v58
	v_cmp_gt_i32_e64 s7, v14, v58
	v_cmp_le_i32_e64 s5, v13, v59
	ds_load_b32 v54, v57
	ds_load_b32 v55, v60
	s_wait_dscnt 0x0
	v_cmp_lt_i32_e64 s6, v55, v54
	s_or_b32 s5, s5, s6
	s_wait_alu 0xfffe
	s_and_b32 s5, s7, s5
	s_wait_alu 0xfffe
	s_xor_b32 s6, s5, -1
	s_wait_alu 0xfffe
	s_and_saveexec_b32 s7, s6
	s_wait_alu 0xfffe
	s_xor_b32 s6, exec_lo, s7
; %bb.39:                               ;   in Loop: Header=BB9_2 Depth=1
	ds_load_b32 v56, v57 offset:4
                                        ; implicit-def: $vgpr60
; %bb.40:                               ;   in Loop: Header=BB9_2 Depth=1
	s_wait_alu 0xfffe
	s_or_saveexec_b32 s6, s6
	v_mov_b32_e32 v57, v55
	s_wait_alu 0xfffe
	s_xor_b32 exec_lo, exec_lo, s6
	s_cbranch_execz .LBB9_42
; %bb.41:                               ;   in Loop: Header=BB9_2 Depth=1
	ds_load_b32 v57, v60 offset:4
	s_wait_dscnt 0x1
	v_mov_b32_e32 v56, v54
.LBB9_42:                               ;   in Loop: Header=BB9_2 Depth=1
	s_or_b32 exec_lo, exec_lo, s6
	v_add_nc_u32_e32 v60, 1, v59
	v_add_nc_u32_e32 v61, 1, v58
	s_wait_dscnt 0x0
	v_cmp_lt_i32_e64 s7, v57, v56
	s_delay_alu instid0(VALU_DEP_3) | instskip(NEXT) | instid1(VALU_DEP_3)
	v_cndmask_b32_e64 v62, v60, v59, s5
	v_cndmask_b32_e64 v63, v58, v61, s5
                                        ; implicit-def: $vgpr60
	s_delay_alu instid0(VALU_DEP_2) | instskip(NEXT) | instid1(VALU_DEP_2)
	v_cmp_ge_i32_e64 s6, v62, v13
	v_cmp_lt_i32_e64 s8, v63, v14
	s_or_b32 s6, s6, s7
	s_wait_alu 0xfffe
	s_and_b32 s6, s8, s6
	s_wait_alu 0xfffe
	s_xor_b32 s7, s6, -1
	s_wait_alu 0xfffe
	s_and_saveexec_b32 s8, s7
	s_wait_alu 0xfffe
	s_xor_b32 s7, exec_lo, s8
; %bb.43:                               ;   in Loop: Header=BB9_2 Depth=1
	v_lshlrev_b32_e32 v60, 2, v62
	ds_load_b32 v60, v60 offset:4
; %bb.44:                               ;   in Loop: Header=BB9_2 Depth=1
	s_wait_alu 0xfffe
	s_or_saveexec_b32 s7, s7
	v_mov_b32_e32 v61, v57
	s_wait_alu 0xfffe
	s_xor_b32 exec_lo, exec_lo, s7
	s_cbranch_execz .LBB9_46
; %bb.45:                               ;   in Loop: Header=BB9_2 Depth=1
	s_wait_dscnt 0x0
	v_lshlrev_b32_e32 v60, 2, v63
	ds_load_b32 v61, v60 offset:4
	v_mov_b32_e32 v60, v56
.LBB9_46:                               ;   in Loop: Header=BB9_2 Depth=1
	s_or_b32 exec_lo, exec_lo, s7
	v_add_nc_u32_e32 v64, 1, v62
	v_add_nc_u32_e32 v65, 1, v63
	s_wait_dscnt 0x0
	v_cmp_lt_i32_e64 s8, v61, v60
	s_delay_alu instid0(VALU_DEP_3) | instskip(NEXT) | instid1(VALU_DEP_3)
	v_cndmask_b32_e64 v66, v64, v62, s6
	v_cndmask_b32_e64 v67, v63, v65, s6
                                        ; implicit-def: $vgpr64
	s_delay_alu instid0(VALU_DEP_2) | instskip(NEXT) | instid1(VALU_DEP_2)
	v_cmp_ge_i32_e64 s7, v66, v13
	v_cmp_lt_i32_e64 s9, v67, v14
	s_or_b32 s7, s7, s8
	s_wait_alu 0xfffe
	s_and_b32 s7, s9, s7
	s_wait_alu 0xfffe
	s_xor_b32 s8, s7, -1
	s_wait_alu 0xfffe
	s_and_saveexec_b32 s9, s8
	s_wait_alu 0xfffe
	s_xor_b32 s8, exec_lo, s9
; %bb.47:                               ;   in Loop: Header=BB9_2 Depth=1
	v_lshlrev_b32_e32 v64, 2, v66
	ds_load_b32 v64, v64 offset:4
; %bb.48:                               ;   in Loop: Header=BB9_2 Depth=1
	s_wait_alu 0xfffe
	s_or_saveexec_b32 s8, s8
	v_mov_b32_e32 v65, v61
	s_wait_alu 0xfffe
	s_xor_b32 exec_lo, exec_lo, s8
	s_cbranch_execz .LBB9_50
; %bb.49:                               ;   in Loop: Header=BB9_2 Depth=1
	s_wait_dscnt 0x0
	v_lshlrev_b32_e32 v64, 2, v67
	ds_load_b32 v65, v64 offset:4
	v_mov_b32_e32 v64, v60
.LBB9_50:                               ;   in Loop: Header=BB9_2 Depth=1
	s_or_b32 exec_lo, exec_lo, s8
	v_add_nc_u32_e32 v68, 1, v66
	v_add_nc_u32_e32 v69, 1, v67
	s_wait_dscnt 0x0
	v_cmp_lt_i32_e64 s9, v65, v64
	s_delay_alu instid0(VALU_DEP_3) | instskip(NEXT) | instid1(VALU_DEP_3)
	v_cndmask_b32_e64 v71, v68, v66, s7
	v_cndmask_b32_e64 v72, v67, v69, s7
                                        ; implicit-def: $vgpr68
	s_delay_alu instid0(VALU_DEP_2) | instskip(NEXT) | instid1(VALU_DEP_2)
	v_cmp_ge_i32_e64 s8, v71, v13
	v_cmp_lt_i32_e64 s10, v72, v14
	s_or_b32 s8, s8, s9
	s_wait_alu 0xfffe
	s_and_b32 s8, s10, s8
	s_wait_alu 0xfffe
	s_xor_b32 s9, s8, -1
	s_wait_alu 0xfffe
	s_and_saveexec_b32 s10, s9
	s_wait_alu 0xfffe
	s_xor_b32 s9, exec_lo, s10
; %bb.51:                               ;   in Loop: Header=BB9_2 Depth=1
	v_lshlrev_b32_e32 v68, 2, v71
	ds_load_b32 v68, v68 offset:4
; %bb.52:                               ;   in Loop: Header=BB9_2 Depth=1
	s_wait_alu 0xfffe
	s_or_saveexec_b32 s9, s9
	v_mov_b32_e32 v69, v65
	s_wait_alu 0xfffe
	s_xor_b32 exec_lo, exec_lo, s9
	s_cbranch_execz .LBB9_54
; %bb.53:                               ;   in Loop: Header=BB9_2 Depth=1
	s_wait_dscnt 0x0
	v_lshlrev_b32_e32 v68, 2, v72
	ds_load_b32 v69, v68 offset:4
	v_mov_b32_e32 v68, v64
.LBB9_54:                               ;   in Loop: Header=BB9_2 Depth=1
	s_or_b32 exec_lo, exec_lo, s9
	v_add_nc_u32_e32 v70, 1, v71
	v_add_nc_u32_e32 v73, 1, v72
	s_wait_dscnt 0x0
	v_cmp_lt_i32_e64 s10, v69, v68
	s_delay_alu instid0(VALU_DEP_3) | instskip(NEXT) | instid1(VALU_DEP_3)
	v_cndmask_b32_e64 v74, v70, v71, s8
	v_cndmask_b32_e64 v75, v72, v73, s8
                                        ; implicit-def: $vgpr70
	s_delay_alu instid0(VALU_DEP_2) | instskip(NEXT) | instid1(VALU_DEP_2)
	v_cmp_ge_i32_e64 s9, v74, v13
	v_cmp_lt_i32_e64 s11, v75, v14
	s_or_b32 s9, s9, s10
	s_wait_alu 0xfffe
	s_and_b32 s9, s11, s9
	s_wait_alu 0xfffe
	s_xor_b32 s10, s9, -1
	s_wait_alu 0xfffe
	s_and_saveexec_b32 s11, s10
	s_wait_alu 0xfffe
	s_xor_b32 s10, exec_lo, s11
; %bb.55:                               ;   in Loop: Header=BB9_2 Depth=1
	v_lshlrev_b32_e32 v70, 2, v74
	ds_load_b32 v70, v70 offset:4
; %bb.56:                               ;   in Loop: Header=BB9_2 Depth=1
	s_wait_alu 0xfffe
	s_or_saveexec_b32 s10, s10
	v_mov_b32_e32 v73, v69
	s_wait_alu 0xfffe
	s_xor_b32 exec_lo, exec_lo, s10
	s_cbranch_execz .LBB9_58
; %bb.57:                               ;   in Loop: Header=BB9_2 Depth=1
	s_wait_dscnt 0x0
	v_lshlrev_b32_e32 v70, 2, v75
	ds_load_b32 v73, v70 offset:4
	v_mov_b32_e32 v70, v68
.LBB9_58:                               ;   in Loop: Header=BB9_2 Depth=1
	s_or_b32 exec_lo, exec_lo, s10
	v_add_nc_u32_e32 v76, 1, v74
	v_add_nc_u32_e32 v77, 1, v75
	s_wait_dscnt 0x0
	v_cmp_lt_i32_e64 s11, v73, v70
                                        ; implicit-def: $vgpr78
	s_delay_alu instid0(VALU_DEP_3) | instskip(NEXT) | instid1(VALU_DEP_3)
	v_cndmask_b32_e64 v76, v76, v74, s9
	v_cndmask_b32_e64 v77, v75, v77, s9
	s_delay_alu instid0(VALU_DEP_2) | instskip(NEXT) | instid1(VALU_DEP_2)
	v_cmp_ge_i32_e64 s10, v76, v13
	v_cmp_lt_i32_e64 s12, v77, v14
	s_or_b32 s10, s10, s11
	s_wait_alu 0xfffe
	s_and_b32 s10, s12, s10
	s_wait_alu 0xfffe
	s_xor_b32 s11, s10, -1
	s_wait_alu 0xfffe
	s_and_saveexec_b32 s12, s11
	s_wait_alu 0xfffe
	s_xor_b32 s11, exec_lo, s12
; %bb.59:                               ;   in Loop: Header=BB9_2 Depth=1
	v_lshlrev_b32_e32 v78, 2, v76
	ds_load_b32 v78, v78 offset:4
; %bb.60:                               ;   in Loop: Header=BB9_2 Depth=1
	s_wait_alu 0xfffe
	s_or_saveexec_b32 s11, s11
	v_mov_b32_e32 v80, v73
	s_wait_alu 0xfffe
	s_xor_b32 exec_lo, exec_lo, s11
	s_cbranch_execz .LBB9_62
; %bb.61:                               ;   in Loop: Header=BB9_2 Depth=1
	s_wait_dscnt 0x0
	v_lshlrev_b32_e32 v78, 2, v77
	ds_load_b32 v80, v78 offset:4
	v_mov_b32_e32 v78, v70
.LBB9_62:                               ;   in Loop: Header=BB9_2 Depth=1
	s_or_b32 exec_lo, exec_lo, s11
	v_add_nc_u32_e32 v79, 1, v76
	v_add_nc_u32_e32 v81, 1, v77
	s_wait_dscnt 0x0
	v_cmp_lt_i32_e64 s12, v80, v78
	s_delay_alu instid0(VALU_DEP_3) | instskip(NEXT) | instid1(VALU_DEP_3)
	v_cndmask_b32_e64 v82, v79, v76, s10
	v_cndmask_b32_e64 v81, v77, v81, s10
                                        ; implicit-def: $vgpr79
	s_delay_alu instid0(VALU_DEP_2) | instskip(NEXT) | instid1(VALU_DEP_2)
	v_cmp_ge_i32_e64 s11, v82, v13
	v_cmp_lt_i32_e64 s13, v81, v14
	s_or_b32 s11, s11, s12
	s_wait_alu 0xfffe
	s_and_b32 s11, s13, s11
	s_wait_alu 0xfffe
	s_xor_b32 s12, s11, -1
	s_wait_alu 0xfffe
	s_and_saveexec_b32 s13, s12
	s_wait_alu 0xfffe
	s_xor_b32 s12, exec_lo, s13
; %bb.63:                               ;   in Loop: Header=BB9_2 Depth=1
	v_lshlrev_b32_e32 v79, 2, v82
	ds_load_b32 v79, v79 offset:4
; %bb.64:                               ;   in Loop: Header=BB9_2 Depth=1
	s_wait_alu 0xfffe
	s_or_saveexec_b32 s12, s12
	v_mov_b32_e32 v83, v80
	s_wait_alu 0xfffe
	s_xor_b32 exec_lo, exec_lo, s12
	s_cbranch_execz .LBB9_66
; %bb.65:                               ;   in Loop: Header=BB9_2 Depth=1
	s_wait_dscnt 0x0
	v_lshlrev_b32_e32 v79, 2, v81
	ds_load_b32 v83, v79 offset:4
	v_mov_b32_e32 v79, v78
.LBB9_66:                               ;   in Loop: Header=BB9_2 Depth=1
	s_or_b32 exec_lo, exec_lo, s12
	v_add_nc_u32_e32 v84, 1, v82
	v_cndmask_b32_e64 v78, v78, v80, s11
	v_add_nc_u32_e32 v80, 1, v81
	v_cndmask_b32_e64 v76, v76, v77, s10
	v_cndmask_b32_e64 v74, v74, v75, s9
	;; [unrolled: 1-line block ×5, first 2 shown]
	s_wait_dscnt 0x0
	v_cmp_lt_i32_e64 s11, v83, v79
	v_cndmask_b32_e64 v58, v59, v58, s5
	v_cmp_ge_i32_e64 s12, v77, v13
	v_cndmask_b32_e64 v62, v62, v63, s6
	v_cmp_lt_i32_e64 s13, v75, v14
	v_cndmask_b32_e64 v66, v66, v67, s7
	v_cndmask_b32_e64 v71, v71, v72, s8
	s_or_b32 s11, s12, s11
	s_wait_loadcnt 0x0
	s_wait_alu 0xfffe
	s_and_b32 s11, s13, s11
	s_barrier_signal -1
	s_wait_alu 0xfffe
	v_cndmask_b32_e64 v63, v77, v75, s11
	s_barrier_wait -1
	global_inv scope:SCOPE_SE
	ds_store_2addr_b32 v1, v46, v47 offset1:1
	ds_store_2addr_b32 v1, v48, v49 offset0:2 offset1:3
	ds_store_2addr_b32 v1, v50, v51 offset0:4 offset1:5
	;; [unrolled: 1-line block ×3, first 2 shown]
	v_lshlrev_b32_e32 v46, 2, v58
	v_lshlrev_b32_e32 v47, 2, v62
	;; [unrolled: 1-line block ×8, first 2 shown]
	s_wait_loadcnt_dscnt 0x0
	s_barrier_signal -1
	s_barrier_wait -1
	global_inv scope:SCOPE_SE
	ds_load_b32 v46, v46
	ds_load_b32 v47, v47
	;; [unrolled: 1-line block ×8, first 2 shown]
	v_cndmask_b32_e64 v56, v56, v57, s6
	v_cndmask_b32_e64 v54, v54, v55, s5
	;; [unrolled: 1-line block ×7, first 2 shown]
	s_wait_loadcnt_dscnt 0x0
	s_barrier_signal -1
	s_barrier_wait -1
	global_inv scope:SCOPE_SE
	ds_store_2addr_b32 v1, v54, v56 offset1:1
	ds_store_2addr_b32 v1, v60, v63 offset0:2 offset1:3
	ds_store_2addr_b32 v1, v62, v58 offset0:4 offset1:5
	ds_store_2addr_b32 v1, v78, v59 offset0:6 offset1:7
	v_mov_b32_e32 v56, v42
	s_wait_loadcnt_dscnt 0x0
	s_barrier_signal -1
	s_barrier_wait -1
	global_inv scope:SCOPE_SE
	s_and_saveexec_b32 s6, s2
	s_cbranch_execz .LBB9_70
; %bb.67:                               ;   in Loop: Header=BB9_2 Depth=1
	v_mov_b32_e32 v56, v42
	v_mov_b32_e32 v54, v37
	s_mov_b32 s7, 0
.LBB9_68:                               ;   Parent Loop BB9_2 Depth=1
                                        ; =>  This Inner Loop Header: Depth=2
	s_delay_alu instid0(VALU_DEP_1) | instskip(NEXT) | instid1(VALU_DEP_1)
	v_sub_nc_u32_e32 v55, v54, v56
	v_lshrrev_b32_e32 v55, 1, v55
	s_delay_alu instid0(VALU_DEP_1) | instskip(NEXT) | instid1(VALU_DEP_1)
	v_add_nc_u32_e32 v55, v55, v56
	v_not_b32_e32 v57, v55
	v_lshl_add_u32 v58, v55, 2, v18
	v_add_nc_u32_e32 v59, 1, v55
	s_delay_alu instid0(VALU_DEP_3)
	v_lshl_add_u32 v57, v57, 2, v32
	ds_load_b32 v58, v58
	ds_load_b32 v57, v57
	s_wait_dscnt 0x0
	v_cmp_lt_i32_e64 s5, v57, v58
	s_wait_alu 0xf1ff
	s_delay_alu instid0(VALU_DEP_1) | instskip(SKIP_1) | instid1(VALU_DEP_1)
	v_cndmask_b32_e64 v54, v54, v55, s5
	v_cndmask_b32_e64 v56, v59, v56, s5
	v_cmp_ge_i32_e64 s5, v56, v54
	s_wait_alu 0xfffe
	s_or_b32 s7, s5, s7
	s_wait_alu 0xfffe
	s_and_not1_b32 exec_lo, exec_lo, s7
	s_cbranch_execnz .LBB9_68
; %bb.69:                               ;   in Loop: Header=BB9_2 Depth=1
	s_or_b32 exec_lo, exec_lo, s7
.LBB9_70:                               ;   in Loop: Header=BB9_2 Depth=1
	s_wait_alu 0xfffe
	s_or_b32 exec_lo, exec_lo, s6
	v_sub_nc_u32_e32 v58, v27, v56
	v_lshl_add_u32 v57, v56, 2, v18
	v_add_nc_u32_e32 v59, v56, v4
                                        ; implicit-def: $vgpr56
	s_delay_alu instid0(VALU_DEP_3) | instskip(SKIP_1) | instid1(VALU_DEP_3)
	v_lshlrev_b32_e32 v60, 2, v58
	v_cmp_gt_i32_e64 s7, v17, v58
	v_cmp_le_i32_e64 s5, v16, v59
	ds_load_b32 v54, v57
	ds_load_b32 v55, v60
	s_wait_dscnt 0x0
	v_cmp_lt_i32_e64 s6, v55, v54
	s_or_b32 s5, s5, s6
	s_wait_alu 0xfffe
	s_and_b32 s5, s7, s5
	s_wait_alu 0xfffe
	s_xor_b32 s6, s5, -1
	s_wait_alu 0xfffe
	s_and_saveexec_b32 s7, s6
	s_wait_alu 0xfffe
	s_xor_b32 s6, exec_lo, s7
; %bb.71:                               ;   in Loop: Header=BB9_2 Depth=1
	ds_load_b32 v56, v57 offset:4
                                        ; implicit-def: $vgpr60
; %bb.72:                               ;   in Loop: Header=BB9_2 Depth=1
	s_wait_alu 0xfffe
	s_or_saveexec_b32 s6, s6
	v_mov_b32_e32 v57, v55
	s_wait_alu 0xfffe
	s_xor_b32 exec_lo, exec_lo, s6
	s_cbranch_execz .LBB9_74
; %bb.73:                               ;   in Loop: Header=BB9_2 Depth=1
	ds_load_b32 v57, v60 offset:4
	s_wait_dscnt 0x1
	v_mov_b32_e32 v56, v54
.LBB9_74:                               ;   in Loop: Header=BB9_2 Depth=1
	s_or_b32 exec_lo, exec_lo, s6
	v_add_nc_u32_e32 v60, 1, v59
	v_add_nc_u32_e32 v61, 1, v58
	s_wait_dscnt 0x0
	v_cmp_lt_i32_e64 s7, v57, v56
	s_delay_alu instid0(VALU_DEP_3) | instskip(NEXT) | instid1(VALU_DEP_3)
	v_cndmask_b32_e64 v62, v60, v59, s5
	v_cndmask_b32_e64 v63, v58, v61, s5
                                        ; implicit-def: $vgpr60
	s_delay_alu instid0(VALU_DEP_2) | instskip(NEXT) | instid1(VALU_DEP_2)
	v_cmp_ge_i32_e64 s6, v62, v16
	v_cmp_lt_i32_e64 s8, v63, v17
	s_or_b32 s6, s6, s7
	s_wait_alu 0xfffe
	s_and_b32 s6, s8, s6
	s_wait_alu 0xfffe
	s_xor_b32 s7, s6, -1
	s_wait_alu 0xfffe
	s_and_saveexec_b32 s8, s7
	s_wait_alu 0xfffe
	s_xor_b32 s7, exec_lo, s8
; %bb.75:                               ;   in Loop: Header=BB9_2 Depth=1
	v_lshlrev_b32_e32 v60, 2, v62
	ds_load_b32 v60, v60 offset:4
; %bb.76:                               ;   in Loop: Header=BB9_2 Depth=1
	s_wait_alu 0xfffe
	s_or_saveexec_b32 s7, s7
	v_mov_b32_e32 v61, v57
	s_wait_alu 0xfffe
	s_xor_b32 exec_lo, exec_lo, s7
	s_cbranch_execz .LBB9_78
; %bb.77:                               ;   in Loop: Header=BB9_2 Depth=1
	s_wait_dscnt 0x0
	v_lshlrev_b32_e32 v60, 2, v63
	ds_load_b32 v61, v60 offset:4
	v_mov_b32_e32 v60, v56
.LBB9_78:                               ;   in Loop: Header=BB9_2 Depth=1
	s_or_b32 exec_lo, exec_lo, s7
	v_add_nc_u32_e32 v64, 1, v62
	v_add_nc_u32_e32 v65, 1, v63
	s_wait_dscnt 0x0
	v_cmp_lt_i32_e64 s8, v61, v60
	s_delay_alu instid0(VALU_DEP_3) | instskip(NEXT) | instid1(VALU_DEP_3)
	v_cndmask_b32_e64 v66, v64, v62, s6
	v_cndmask_b32_e64 v67, v63, v65, s6
                                        ; implicit-def: $vgpr64
	s_delay_alu instid0(VALU_DEP_2) | instskip(NEXT) | instid1(VALU_DEP_2)
	v_cmp_ge_i32_e64 s7, v66, v16
	v_cmp_lt_i32_e64 s9, v67, v17
	s_or_b32 s7, s7, s8
	s_wait_alu 0xfffe
	s_and_b32 s7, s9, s7
	s_wait_alu 0xfffe
	s_xor_b32 s8, s7, -1
	s_wait_alu 0xfffe
	s_and_saveexec_b32 s9, s8
	s_wait_alu 0xfffe
	s_xor_b32 s8, exec_lo, s9
; %bb.79:                               ;   in Loop: Header=BB9_2 Depth=1
	v_lshlrev_b32_e32 v64, 2, v66
	ds_load_b32 v64, v64 offset:4
; %bb.80:                               ;   in Loop: Header=BB9_2 Depth=1
	s_wait_alu 0xfffe
	s_or_saveexec_b32 s8, s8
	v_mov_b32_e32 v65, v61
	s_wait_alu 0xfffe
	s_xor_b32 exec_lo, exec_lo, s8
	s_cbranch_execz .LBB9_82
; %bb.81:                               ;   in Loop: Header=BB9_2 Depth=1
	s_wait_dscnt 0x0
	v_lshlrev_b32_e32 v64, 2, v67
	ds_load_b32 v65, v64 offset:4
	v_mov_b32_e32 v64, v60
.LBB9_82:                               ;   in Loop: Header=BB9_2 Depth=1
	s_or_b32 exec_lo, exec_lo, s8
	v_add_nc_u32_e32 v68, 1, v66
	v_add_nc_u32_e32 v69, 1, v67
	s_wait_dscnt 0x0
	v_cmp_lt_i32_e64 s9, v65, v64
	s_delay_alu instid0(VALU_DEP_3) | instskip(NEXT) | instid1(VALU_DEP_3)
	v_cndmask_b32_e64 v71, v68, v66, s7
	v_cndmask_b32_e64 v72, v67, v69, s7
                                        ; implicit-def: $vgpr68
	s_delay_alu instid0(VALU_DEP_2) | instskip(NEXT) | instid1(VALU_DEP_2)
	v_cmp_ge_i32_e64 s8, v71, v16
	v_cmp_lt_i32_e64 s10, v72, v17
	s_or_b32 s8, s8, s9
	s_wait_alu 0xfffe
	s_and_b32 s8, s10, s8
	s_wait_alu 0xfffe
	s_xor_b32 s9, s8, -1
	s_wait_alu 0xfffe
	s_and_saveexec_b32 s10, s9
	s_wait_alu 0xfffe
	s_xor_b32 s9, exec_lo, s10
; %bb.83:                               ;   in Loop: Header=BB9_2 Depth=1
	v_lshlrev_b32_e32 v68, 2, v71
	ds_load_b32 v68, v68 offset:4
; %bb.84:                               ;   in Loop: Header=BB9_2 Depth=1
	s_wait_alu 0xfffe
	s_or_saveexec_b32 s9, s9
	v_mov_b32_e32 v69, v65
	s_wait_alu 0xfffe
	s_xor_b32 exec_lo, exec_lo, s9
	s_cbranch_execz .LBB9_86
; %bb.85:                               ;   in Loop: Header=BB9_2 Depth=1
	s_wait_dscnt 0x0
	v_lshlrev_b32_e32 v68, 2, v72
	ds_load_b32 v69, v68 offset:4
	v_mov_b32_e32 v68, v64
.LBB9_86:                               ;   in Loop: Header=BB9_2 Depth=1
	s_or_b32 exec_lo, exec_lo, s9
	v_add_nc_u32_e32 v70, 1, v71
	v_add_nc_u32_e32 v73, 1, v72
	s_wait_dscnt 0x0
	v_cmp_lt_i32_e64 s10, v69, v68
	s_delay_alu instid0(VALU_DEP_3) | instskip(NEXT) | instid1(VALU_DEP_3)
	v_cndmask_b32_e64 v74, v70, v71, s8
	v_cndmask_b32_e64 v75, v72, v73, s8
                                        ; implicit-def: $vgpr70
	s_delay_alu instid0(VALU_DEP_2) | instskip(NEXT) | instid1(VALU_DEP_2)
	v_cmp_ge_i32_e64 s9, v74, v16
	v_cmp_lt_i32_e64 s11, v75, v17
	s_or_b32 s9, s9, s10
	s_wait_alu 0xfffe
	s_and_b32 s9, s11, s9
	s_wait_alu 0xfffe
	s_xor_b32 s10, s9, -1
	s_wait_alu 0xfffe
	s_and_saveexec_b32 s11, s10
	s_wait_alu 0xfffe
	s_xor_b32 s10, exec_lo, s11
; %bb.87:                               ;   in Loop: Header=BB9_2 Depth=1
	v_lshlrev_b32_e32 v70, 2, v74
	ds_load_b32 v70, v70 offset:4
; %bb.88:                               ;   in Loop: Header=BB9_2 Depth=1
	s_wait_alu 0xfffe
	s_or_saveexec_b32 s10, s10
	v_mov_b32_e32 v73, v69
	s_wait_alu 0xfffe
	s_xor_b32 exec_lo, exec_lo, s10
	s_cbranch_execz .LBB9_90
; %bb.89:                               ;   in Loop: Header=BB9_2 Depth=1
	s_wait_dscnt 0x0
	v_lshlrev_b32_e32 v70, 2, v75
	ds_load_b32 v73, v70 offset:4
	v_mov_b32_e32 v70, v68
.LBB9_90:                               ;   in Loop: Header=BB9_2 Depth=1
	s_or_b32 exec_lo, exec_lo, s10
	v_add_nc_u32_e32 v76, 1, v74
	v_add_nc_u32_e32 v77, 1, v75
	s_wait_dscnt 0x0
	v_cmp_lt_i32_e64 s11, v73, v70
                                        ; implicit-def: $vgpr78
	s_delay_alu instid0(VALU_DEP_3) | instskip(NEXT) | instid1(VALU_DEP_3)
	v_cndmask_b32_e64 v76, v76, v74, s9
	v_cndmask_b32_e64 v77, v75, v77, s9
	s_delay_alu instid0(VALU_DEP_2) | instskip(NEXT) | instid1(VALU_DEP_2)
	v_cmp_ge_i32_e64 s10, v76, v16
	v_cmp_lt_i32_e64 s12, v77, v17
	s_or_b32 s10, s10, s11
	s_wait_alu 0xfffe
	s_and_b32 s10, s12, s10
	s_wait_alu 0xfffe
	s_xor_b32 s11, s10, -1
	s_wait_alu 0xfffe
	s_and_saveexec_b32 s12, s11
	s_wait_alu 0xfffe
	s_xor_b32 s11, exec_lo, s12
; %bb.91:                               ;   in Loop: Header=BB9_2 Depth=1
	v_lshlrev_b32_e32 v78, 2, v76
	ds_load_b32 v78, v78 offset:4
; %bb.92:                               ;   in Loop: Header=BB9_2 Depth=1
	s_wait_alu 0xfffe
	s_or_saveexec_b32 s11, s11
	v_mov_b32_e32 v80, v73
	s_wait_alu 0xfffe
	s_xor_b32 exec_lo, exec_lo, s11
	s_cbranch_execz .LBB9_94
; %bb.93:                               ;   in Loop: Header=BB9_2 Depth=1
	s_wait_dscnt 0x0
	v_lshlrev_b32_e32 v78, 2, v77
	ds_load_b32 v80, v78 offset:4
	v_mov_b32_e32 v78, v70
.LBB9_94:                               ;   in Loop: Header=BB9_2 Depth=1
	s_or_b32 exec_lo, exec_lo, s11
	v_add_nc_u32_e32 v79, 1, v76
	v_add_nc_u32_e32 v81, 1, v77
	s_wait_dscnt 0x0
	v_cmp_lt_i32_e64 s12, v80, v78
	s_delay_alu instid0(VALU_DEP_3) | instskip(NEXT) | instid1(VALU_DEP_3)
	v_cndmask_b32_e64 v82, v79, v76, s10
	v_cndmask_b32_e64 v81, v77, v81, s10
                                        ; implicit-def: $vgpr79
	s_delay_alu instid0(VALU_DEP_2) | instskip(NEXT) | instid1(VALU_DEP_2)
	v_cmp_ge_i32_e64 s11, v82, v16
	v_cmp_lt_i32_e64 s13, v81, v17
	s_or_b32 s11, s11, s12
	s_wait_alu 0xfffe
	s_and_b32 s11, s13, s11
	s_wait_alu 0xfffe
	s_xor_b32 s12, s11, -1
	s_wait_alu 0xfffe
	s_and_saveexec_b32 s13, s12
	s_wait_alu 0xfffe
	s_xor_b32 s12, exec_lo, s13
; %bb.95:                               ;   in Loop: Header=BB9_2 Depth=1
	v_lshlrev_b32_e32 v79, 2, v82
	ds_load_b32 v79, v79 offset:4
; %bb.96:                               ;   in Loop: Header=BB9_2 Depth=1
	s_wait_alu 0xfffe
	s_or_saveexec_b32 s12, s12
	v_mov_b32_e32 v83, v80
	s_wait_alu 0xfffe
	s_xor_b32 exec_lo, exec_lo, s12
	s_cbranch_execz .LBB9_98
; %bb.97:                               ;   in Loop: Header=BB9_2 Depth=1
	s_wait_dscnt 0x0
	v_lshlrev_b32_e32 v79, 2, v81
	ds_load_b32 v83, v79 offset:4
	v_mov_b32_e32 v79, v78
.LBB9_98:                               ;   in Loop: Header=BB9_2 Depth=1
	s_or_b32 exec_lo, exec_lo, s12
	v_add_nc_u32_e32 v84, 1, v82
	v_cndmask_b32_e64 v78, v78, v80, s11
	v_add_nc_u32_e32 v80, 1, v81
	v_cndmask_b32_e64 v76, v76, v77, s10
	v_cndmask_b32_e64 v74, v74, v75, s9
	;; [unrolled: 1-line block ×5, first 2 shown]
	s_wait_dscnt 0x0
	v_cmp_lt_i32_e64 s11, v83, v79
	v_cndmask_b32_e64 v58, v59, v58, s5
	v_cmp_ge_i32_e64 s12, v77, v16
	v_cndmask_b32_e64 v62, v62, v63, s6
	v_cmp_lt_i32_e64 s13, v75, v17
	v_cndmask_b32_e64 v66, v66, v67, s7
	v_cndmask_b32_e64 v71, v71, v72, s8
	s_or_b32 s11, s12, s11
	s_wait_loadcnt 0x0
	s_wait_alu 0xfffe
	s_and_b32 s11, s13, s11
	s_barrier_signal -1
	s_wait_alu 0xfffe
	v_cndmask_b32_e64 v63, v77, v75, s11
	s_barrier_wait -1
	global_inv scope:SCOPE_SE
	ds_store_2addr_b32 v1, v46, v47 offset1:1
	ds_store_2addr_b32 v1, v48, v49 offset0:2 offset1:3
	ds_store_2addr_b32 v1, v50, v51 offset0:4 offset1:5
	;; [unrolled: 1-line block ×3, first 2 shown]
	v_lshlrev_b32_e32 v46, 2, v58
	v_lshlrev_b32_e32 v47, 2, v62
	;; [unrolled: 1-line block ×8, first 2 shown]
	s_wait_loadcnt_dscnt 0x0
	s_barrier_signal -1
	s_barrier_wait -1
	global_inv scope:SCOPE_SE
	ds_load_b32 v46, v46
	ds_load_b32 v47, v47
	;; [unrolled: 1-line block ×8, first 2 shown]
	v_cndmask_b32_e64 v56, v56, v57, s6
	v_cndmask_b32_e64 v54, v54, v55, s5
	;; [unrolled: 1-line block ×7, first 2 shown]
	s_wait_loadcnt_dscnt 0x0
	s_barrier_signal -1
	s_barrier_wait -1
	global_inv scope:SCOPE_SE
	ds_store_2addr_b32 v1, v54, v56 offset1:1
	ds_store_2addr_b32 v1, v60, v63 offset0:2 offset1:3
	ds_store_2addr_b32 v1, v62, v58 offset0:4 offset1:5
	;; [unrolled: 1-line block ×3, first 2 shown]
	v_mov_b32_e32 v56, v43
	s_wait_loadcnt_dscnt 0x0
	s_barrier_signal -1
	s_barrier_wait -1
	global_inv scope:SCOPE_SE
	s_and_saveexec_b32 s6, s3
	s_cbranch_execz .LBB9_102
; %bb.99:                               ;   in Loop: Header=BB9_2 Depth=1
	v_mov_b32_e32 v56, v43
	v_mov_b32_e32 v54, v38
	s_mov_b32 s7, 0
.LBB9_100:                              ;   Parent Loop BB9_2 Depth=1
                                        ; =>  This Inner Loop Header: Depth=2
	s_delay_alu instid0(VALU_DEP_1) | instskip(NEXT) | instid1(VALU_DEP_1)
	v_sub_nc_u32_e32 v55, v54, v56
	v_lshrrev_b32_e32 v55, 1, v55
	s_delay_alu instid0(VALU_DEP_1) | instskip(NEXT) | instid1(VALU_DEP_1)
	v_add_nc_u32_e32 v55, v55, v56
	v_not_b32_e32 v57, v55
	v_lshl_add_u32 v58, v55, 2, v21
	v_add_nc_u32_e32 v59, 1, v55
	s_delay_alu instid0(VALU_DEP_3)
	v_lshl_add_u32 v57, v57, 2, v33
	ds_load_b32 v58, v58
	ds_load_b32 v57, v57
	s_wait_dscnt 0x0
	v_cmp_lt_i32_e64 s5, v57, v58
	s_wait_alu 0xf1ff
	s_delay_alu instid0(VALU_DEP_1) | instskip(SKIP_1) | instid1(VALU_DEP_1)
	v_cndmask_b32_e64 v54, v54, v55, s5
	v_cndmask_b32_e64 v56, v59, v56, s5
	v_cmp_ge_i32_e64 s5, v56, v54
	s_wait_alu 0xfffe
	s_or_b32 s7, s5, s7
	s_wait_alu 0xfffe
	s_and_not1_b32 exec_lo, exec_lo, s7
	s_cbranch_execnz .LBB9_100
; %bb.101:                              ;   in Loop: Header=BB9_2 Depth=1
	s_or_b32 exec_lo, exec_lo, s7
.LBB9_102:                              ;   in Loop: Header=BB9_2 Depth=1
	s_wait_alu 0xfffe
	s_or_b32 exec_lo, exec_lo, s6
	v_sub_nc_u32_e32 v58, v28, v56
	v_lshl_add_u32 v57, v56, 2, v21
	v_add_nc_u32_e32 v59, v56, v5
                                        ; implicit-def: $vgpr56
	s_delay_alu instid0(VALU_DEP_3) | instskip(SKIP_1) | instid1(VALU_DEP_3)
	v_lshlrev_b32_e32 v60, 2, v58
	v_cmp_gt_i32_e64 s7, v20, v58
	v_cmp_le_i32_e64 s5, v19, v59
	ds_load_b32 v54, v57
	ds_load_b32 v55, v60
	s_wait_dscnt 0x0
	v_cmp_lt_i32_e64 s6, v55, v54
	s_or_b32 s5, s5, s6
	s_wait_alu 0xfffe
	s_and_b32 s5, s7, s5
	s_wait_alu 0xfffe
	s_xor_b32 s6, s5, -1
	s_wait_alu 0xfffe
	s_and_saveexec_b32 s7, s6
	s_wait_alu 0xfffe
	s_xor_b32 s6, exec_lo, s7
; %bb.103:                              ;   in Loop: Header=BB9_2 Depth=1
	ds_load_b32 v56, v57 offset:4
                                        ; implicit-def: $vgpr60
; %bb.104:                              ;   in Loop: Header=BB9_2 Depth=1
	s_wait_alu 0xfffe
	s_or_saveexec_b32 s6, s6
	v_mov_b32_e32 v57, v55
	s_wait_alu 0xfffe
	s_xor_b32 exec_lo, exec_lo, s6
	s_cbranch_execz .LBB9_106
; %bb.105:                              ;   in Loop: Header=BB9_2 Depth=1
	ds_load_b32 v57, v60 offset:4
	s_wait_dscnt 0x1
	v_mov_b32_e32 v56, v54
.LBB9_106:                              ;   in Loop: Header=BB9_2 Depth=1
	s_or_b32 exec_lo, exec_lo, s6
	v_add_nc_u32_e32 v60, 1, v59
	v_add_nc_u32_e32 v61, 1, v58
	s_wait_dscnt 0x0
	v_cmp_lt_i32_e64 s7, v57, v56
	s_delay_alu instid0(VALU_DEP_3) | instskip(NEXT) | instid1(VALU_DEP_3)
	v_cndmask_b32_e64 v62, v60, v59, s5
	v_cndmask_b32_e64 v63, v58, v61, s5
                                        ; implicit-def: $vgpr60
	s_delay_alu instid0(VALU_DEP_2) | instskip(NEXT) | instid1(VALU_DEP_2)
	v_cmp_ge_i32_e64 s6, v62, v19
	v_cmp_lt_i32_e64 s8, v63, v20
	s_or_b32 s6, s6, s7
	s_wait_alu 0xfffe
	s_and_b32 s6, s8, s6
	s_wait_alu 0xfffe
	s_xor_b32 s7, s6, -1
	s_wait_alu 0xfffe
	s_and_saveexec_b32 s8, s7
	s_wait_alu 0xfffe
	s_xor_b32 s7, exec_lo, s8
; %bb.107:                              ;   in Loop: Header=BB9_2 Depth=1
	v_lshlrev_b32_e32 v60, 2, v62
	ds_load_b32 v60, v60 offset:4
; %bb.108:                              ;   in Loop: Header=BB9_2 Depth=1
	s_wait_alu 0xfffe
	s_or_saveexec_b32 s7, s7
	v_mov_b32_e32 v61, v57
	s_wait_alu 0xfffe
	s_xor_b32 exec_lo, exec_lo, s7
	s_cbranch_execz .LBB9_110
; %bb.109:                              ;   in Loop: Header=BB9_2 Depth=1
	s_wait_dscnt 0x0
	v_lshlrev_b32_e32 v60, 2, v63
	ds_load_b32 v61, v60 offset:4
	v_mov_b32_e32 v60, v56
.LBB9_110:                              ;   in Loop: Header=BB9_2 Depth=1
	s_or_b32 exec_lo, exec_lo, s7
	v_add_nc_u32_e32 v64, 1, v62
	v_add_nc_u32_e32 v65, 1, v63
	s_wait_dscnt 0x0
	v_cmp_lt_i32_e64 s8, v61, v60
	s_delay_alu instid0(VALU_DEP_3) | instskip(NEXT) | instid1(VALU_DEP_3)
	v_cndmask_b32_e64 v66, v64, v62, s6
	v_cndmask_b32_e64 v67, v63, v65, s6
                                        ; implicit-def: $vgpr64
	s_delay_alu instid0(VALU_DEP_2) | instskip(NEXT) | instid1(VALU_DEP_2)
	v_cmp_ge_i32_e64 s7, v66, v19
	v_cmp_lt_i32_e64 s9, v67, v20
	s_or_b32 s7, s7, s8
	s_wait_alu 0xfffe
	s_and_b32 s7, s9, s7
	s_wait_alu 0xfffe
	s_xor_b32 s8, s7, -1
	s_wait_alu 0xfffe
	s_and_saveexec_b32 s9, s8
	s_wait_alu 0xfffe
	s_xor_b32 s8, exec_lo, s9
; %bb.111:                              ;   in Loop: Header=BB9_2 Depth=1
	v_lshlrev_b32_e32 v64, 2, v66
	ds_load_b32 v64, v64 offset:4
; %bb.112:                              ;   in Loop: Header=BB9_2 Depth=1
	s_wait_alu 0xfffe
	s_or_saveexec_b32 s8, s8
	v_mov_b32_e32 v65, v61
	s_wait_alu 0xfffe
	s_xor_b32 exec_lo, exec_lo, s8
	s_cbranch_execz .LBB9_114
; %bb.113:                              ;   in Loop: Header=BB9_2 Depth=1
	s_wait_dscnt 0x0
	v_lshlrev_b32_e32 v64, 2, v67
	ds_load_b32 v65, v64 offset:4
	v_mov_b32_e32 v64, v60
.LBB9_114:                              ;   in Loop: Header=BB9_2 Depth=1
	s_or_b32 exec_lo, exec_lo, s8
	v_add_nc_u32_e32 v68, 1, v66
	v_add_nc_u32_e32 v69, 1, v67
	s_wait_dscnt 0x0
	v_cmp_lt_i32_e64 s9, v65, v64
	s_delay_alu instid0(VALU_DEP_3) | instskip(NEXT) | instid1(VALU_DEP_3)
	v_cndmask_b32_e64 v71, v68, v66, s7
	v_cndmask_b32_e64 v72, v67, v69, s7
                                        ; implicit-def: $vgpr68
	s_delay_alu instid0(VALU_DEP_2) | instskip(NEXT) | instid1(VALU_DEP_2)
	v_cmp_ge_i32_e64 s8, v71, v19
	v_cmp_lt_i32_e64 s10, v72, v20
	s_or_b32 s8, s8, s9
	s_wait_alu 0xfffe
	s_and_b32 s8, s10, s8
	s_wait_alu 0xfffe
	s_xor_b32 s9, s8, -1
	s_wait_alu 0xfffe
	s_and_saveexec_b32 s10, s9
	s_wait_alu 0xfffe
	s_xor_b32 s9, exec_lo, s10
; %bb.115:                              ;   in Loop: Header=BB9_2 Depth=1
	v_lshlrev_b32_e32 v68, 2, v71
	ds_load_b32 v68, v68 offset:4
; %bb.116:                              ;   in Loop: Header=BB9_2 Depth=1
	s_wait_alu 0xfffe
	s_or_saveexec_b32 s9, s9
	v_mov_b32_e32 v69, v65
	s_wait_alu 0xfffe
	s_xor_b32 exec_lo, exec_lo, s9
	s_cbranch_execz .LBB9_118
; %bb.117:                              ;   in Loop: Header=BB9_2 Depth=1
	s_wait_dscnt 0x0
	v_lshlrev_b32_e32 v68, 2, v72
	ds_load_b32 v69, v68 offset:4
	v_mov_b32_e32 v68, v64
.LBB9_118:                              ;   in Loop: Header=BB9_2 Depth=1
	s_or_b32 exec_lo, exec_lo, s9
	v_add_nc_u32_e32 v70, 1, v71
	v_add_nc_u32_e32 v73, 1, v72
	s_wait_dscnt 0x0
	v_cmp_lt_i32_e64 s10, v69, v68
	s_delay_alu instid0(VALU_DEP_3) | instskip(NEXT) | instid1(VALU_DEP_3)
	v_cndmask_b32_e64 v74, v70, v71, s8
	v_cndmask_b32_e64 v75, v72, v73, s8
                                        ; implicit-def: $vgpr70
	s_delay_alu instid0(VALU_DEP_2) | instskip(NEXT) | instid1(VALU_DEP_2)
	v_cmp_ge_i32_e64 s9, v74, v19
	v_cmp_lt_i32_e64 s11, v75, v20
	s_or_b32 s9, s9, s10
	s_wait_alu 0xfffe
	s_and_b32 s9, s11, s9
	s_wait_alu 0xfffe
	s_xor_b32 s10, s9, -1
	s_wait_alu 0xfffe
	s_and_saveexec_b32 s11, s10
	s_wait_alu 0xfffe
	s_xor_b32 s10, exec_lo, s11
; %bb.119:                              ;   in Loop: Header=BB9_2 Depth=1
	v_lshlrev_b32_e32 v70, 2, v74
	ds_load_b32 v70, v70 offset:4
; %bb.120:                              ;   in Loop: Header=BB9_2 Depth=1
	s_wait_alu 0xfffe
	s_or_saveexec_b32 s10, s10
	v_mov_b32_e32 v73, v69
	s_wait_alu 0xfffe
	s_xor_b32 exec_lo, exec_lo, s10
	s_cbranch_execz .LBB9_122
; %bb.121:                              ;   in Loop: Header=BB9_2 Depth=1
	s_wait_dscnt 0x0
	v_lshlrev_b32_e32 v70, 2, v75
	ds_load_b32 v73, v70 offset:4
	v_mov_b32_e32 v70, v68
.LBB9_122:                              ;   in Loop: Header=BB9_2 Depth=1
	s_or_b32 exec_lo, exec_lo, s10
	v_add_nc_u32_e32 v76, 1, v74
	v_add_nc_u32_e32 v77, 1, v75
	s_wait_dscnt 0x0
	v_cmp_lt_i32_e64 s11, v73, v70
                                        ; implicit-def: $vgpr78
	s_delay_alu instid0(VALU_DEP_3) | instskip(NEXT) | instid1(VALU_DEP_3)
	v_cndmask_b32_e64 v76, v76, v74, s9
	v_cndmask_b32_e64 v77, v75, v77, s9
	s_delay_alu instid0(VALU_DEP_2) | instskip(NEXT) | instid1(VALU_DEP_2)
	v_cmp_ge_i32_e64 s10, v76, v19
	v_cmp_lt_i32_e64 s12, v77, v20
	s_or_b32 s10, s10, s11
	s_wait_alu 0xfffe
	s_and_b32 s10, s12, s10
	s_wait_alu 0xfffe
	s_xor_b32 s11, s10, -1
	s_wait_alu 0xfffe
	s_and_saveexec_b32 s12, s11
	s_wait_alu 0xfffe
	s_xor_b32 s11, exec_lo, s12
; %bb.123:                              ;   in Loop: Header=BB9_2 Depth=1
	v_lshlrev_b32_e32 v78, 2, v76
	ds_load_b32 v78, v78 offset:4
; %bb.124:                              ;   in Loop: Header=BB9_2 Depth=1
	s_wait_alu 0xfffe
	s_or_saveexec_b32 s11, s11
	v_mov_b32_e32 v80, v73
	s_wait_alu 0xfffe
	s_xor_b32 exec_lo, exec_lo, s11
	s_cbranch_execz .LBB9_126
; %bb.125:                              ;   in Loop: Header=BB9_2 Depth=1
	s_wait_dscnt 0x0
	v_lshlrev_b32_e32 v78, 2, v77
	ds_load_b32 v80, v78 offset:4
	v_mov_b32_e32 v78, v70
.LBB9_126:                              ;   in Loop: Header=BB9_2 Depth=1
	s_or_b32 exec_lo, exec_lo, s11
	v_add_nc_u32_e32 v79, 1, v76
	v_add_nc_u32_e32 v81, 1, v77
	s_wait_dscnt 0x0
	v_cmp_lt_i32_e64 s12, v80, v78
	s_delay_alu instid0(VALU_DEP_3) | instskip(NEXT) | instid1(VALU_DEP_3)
	v_cndmask_b32_e64 v82, v79, v76, s10
	v_cndmask_b32_e64 v81, v77, v81, s10
                                        ; implicit-def: $vgpr79
	s_delay_alu instid0(VALU_DEP_2) | instskip(NEXT) | instid1(VALU_DEP_2)
	v_cmp_ge_i32_e64 s11, v82, v19
	v_cmp_lt_i32_e64 s13, v81, v20
	s_or_b32 s11, s11, s12
	s_wait_alu 0xfffe
	s_and_b32 s11, s13, s11
	s_wait_alu 0xfffe
	s_xor_b32 s12, s11, -1
	s_wait_alu 0xfffe
	s_and_saveexec_b32 s13, s12
	s_wait_alu 0xfffe
	s_xor_b32 s12, exec_lo, s13
; %bb.127:                              ;   in Loop: Header=BB9_2 Depth=1
	v_lshlrev_b32_e32 v79, 2, v82
	ds_load_b32 v79, v79 offset:4
; %bb.128:                              ;   in Loop: Header=BB9_2 Depth=1
	s_wait_alu 0xfffe
	s_or_saveexec_b32 s12, s12
	v_mov_b32_e32 v83, v80
	s_wait_alu 0xfffe
	s_xor_b32 exec_lo, exec_lo, s12
	s_cbranch_execz .LBB9_130
; %bb.129:                              ;   in Loop: Header=BB9_2 Depth=1
	s_wait_dscnt 0x0
	v_lshlrev_b32_e32 v79, 2, v81
	ds_load_b32 v83, v79 offset:4
	v_mov_b32_e32 v79, v78
.LBB9_130:                              ;   in Loop: Header=BB9_2 Depth=1
	s_or_b32 exec_lo, exec_lo, s12
	v_add_nc_u32_e32 v84, 1, v82
	v_cndmask_b32_e64 v78, v78, v80, s11
	v_add_nc_u32_e32 v80, 1, v81
	v_cndmask_b32_e64 v76, v76, v77, s10
	v_cndmask_b32_e64 v74, v74, v75, s9
	;; [unrolled: 1-line block ×5, first 2 shown]
	s_wait_dscnt 0x0
	v_cmp_lt_i32_e64 s11, v83, v79
	v_cndmask_b32_e64 v58, v59, v58, s5
	v_cmp_ge_i32_e64 s12, v77, v19
	v_cndmask_b32_e64 v62, v62, v63, s6
	v_cmp_lt_i32_e64 s13, v75, v20
	v_cndmask_b32_e64 v66, v66, v67, s7
	v_cndmask_b32_e64 v71, v71, v72, s8
	s_or_b32 s11, s12, s11
	s_wait_loadcnt 0x0
	s_wait_alu 0xfffe
	s_and_b32 s11, s13, s11
	s_barrier_signal -1
	s_wait_alu 0xfffe
	v_cndmask_b32_e64 v63, v77, v75, s11
	s_barrier_wait -1
	global_inv scope:SCOPE_SE
	ds_store_2addr_b32 v1, v46, v47 offset1:1
	ds_store_2addr_b32 v1, v48, v49 offset0:2 offset1:3
	ds_store_2addr_b32 v1, v50, v51 offset0:4 offset1:5
	;; [unrolled: 1-line block ×3, first 2 shown]
	v_lshlrev_b32_e32 v46, 2, v58
	v_lshlrev_b32_e32 v47, 2, v62
	;; [unrolled: 1-line block ×8, first 2 shown]
	s_wait_loadcnt_dscnt 0x0
	s_barrier_signal -1
	s_barrier_wait -1
	global_inv scope:SCOPE_SE
	ds_load_b32 v46, v46
	ds_load_b32 v47, v47
	;; [unrolled: 1-line block ×8, first 2 shown]
	v_cndmask_b32_e64 v56, v56, v57, s6
	v_cndmask_b32_e64 v54, v54, v55, s5
	;; [unrolled: 1-line block ×7, first 2 shown]
	s_wait_loadcnt_dscnt 0x0
	s_barrier_signal -1
	s_barrier_wait -1
	global_inv scope:SCOPE_SE
	ds_store_2addr_b32 v1, v54, v56 offset1:1
	ds_store_2addr_b32 v1, v60, v63 offset0:2 offset1:3
	ds_store_2addr_b32 v1, v62, v58 offset0:4 offset1:5
	;; [unrolled: 1-line block ×3, first 2 shown]
	v_mov_b32_e32 v56, v44
	s_wait_loadcnt_dscnt 0x0
	s_barrier_signal -1
	s_barrier_wait -1
	global_inv scope:SCOPE_SE
	s_and_saveexec_b32 s6, s4
	s_cbranch_execz .LBB9_134
; %bb.131:                              ;   in Loop: Header=BB9_2 Depth=1
	v_mov_b32_e32 v56, v44
	v_mov_b32_e32 v54, v39
	s_mov_b32 s7, 0
.LBB9_132:                              ;   Parent Loop BB9_2 Depth=1
                                        ; =>  This Inner Loop Header: Depth=2
	s_delay_alu instid0(VALU_DEP_1) | instskip(NEXT) | instid1(VALU_DEP_1)
	v_sub_nc_u32_e32 v55, v54, v56
	v_lshrrev_b32_e32 v55, 1, v55
	s_delay_alu instid0(VALU_DEP_1) | instskip(NEXT) | instid1(VALU_DEP_1)
	v_add_nc_u32_e32 v55, v55, v56
	v_not_b32_e32 v57, v55
	v_lshl_add_u32 v58, v55, 2, v24
	v_add_nc_u32_e32 v59, 1, v55
	s_delay_alu instid0(VALU_DEP_3)
	v_lshl_add_u32 v57, v57, 2, v34
	ds_load_b32 v58, v58
	ds_load_b32 v57, v57
	s_wait_dscnt 0x0
	v_cmp_lt_i32_e64 s5, v57, v58
	s_wait_alu 0xf1ff
	s_delay_alu instid0(VALU_DEP_1) | instskip(SKIP_1) | instid1(VALU_DEP_1)
	v_cndmask_b32_e64 v54, v54, v55, s5
	v_cndmask_b32_e64 v56, v59, v56, s5
	v_cmp_ge_i32_e64 s5, v56, v54
	s_wait_alu 0xfffe
	s_or_b32 s7, s5, s7
	s_wait_alu 0xfffe
	s_and_not1_b32 exec_lo, exec_lo, s7
	s_cbranch_execnz .LBB9_132
; %bb.133:                              ;   in Loop: Header=BB9_2 Depth=1
	s_or_b32 exec_lo, exec_lo, s7
.LBB9_134:                              ;   in Loop: Header=BB9_2 Depth=1
	s_wait_alu 0xfffe
	s_or_b32 exec_lo, exec_lo, s6
	v_sub_nc_u32_e32 v58, v29, v56
	v_lshl_add_u32 v57, v56, 2, v24
	v_add_nc_u32_e32 v59, v56, v6
                                        ; implicit-def: $vgpr56
	s_delay_alu instid0(VALU_DEP_3) | instskip(SKIP_1) | instid1(VALU_DEP_3)
	v_lshlrev_b32_e32 v60, 2, v58
	v_cmp_gt_i32_e64 s7, v23, v58
	v_cmp_le_i32_e64 s5, v22, v59
	ds_load_b32 v54, v57
	ds_load_b32 v55, v60
	s_wait_dscnt 0x0
	v_cmp_lt_i32_e64 s6, v55, v54
	s_or_b32 s5, s5, s6
	s_wait_alu 0xfffe
	s_and_b32 s5, s7, s5
	s_wait_alu 0xfffe
	s_xor_b32 s6, s5, -1
	s_wait_alu 0xfffe
	s_and_saveexec_b32 s7, s6
	s_wait_alu 0xfffe
	s_xor_b32 s6, exec_lo, s7
; %bb.135:                              ;   in Loop: Header=BB9_2 Depth=1
	ds_load_b32 v56, v57 offset:4
                                        ; implicit-def: $vgpr60
; %bb.136:                              ;   in Loop: Header=BB9_2 Depth=1
	s_wait_alu 0xfffe
	s_or_saveexec_b32 s6, s6
	v_mov_b32_e32 v57, v55
	s_wait_alu 0xfffe
	s_xor_b32 exec_lo, exec_lo, s6
	s_cbranch_execz .LBB9_138
; %bb.137:                              ;   in Loop: Header=BB9_2 Depth=1
	ds_load_b32 v57, v60 offset:4
	s_wait_dscnt 0x1
	v_mov_b32_e32 v56, v54
.LBB9_138:                              ;   in Loop: Header=BB9_2 Depth=1
	s_or_b32 exec_lo, exec_lo, s6
	v_add_nc_u32_e32 v60, 1, v59
	v_add_nc_u32_e32 v61, 1, v58
	s_wait_dscnt 0x0
	v_cmp_lt_i32_e64 s7, v57, v56
	s_delay_alu instid0(VALU_DEP_3) | instskip(NEXT) | instid1(VALU_DEP_3)
	v_cndmask_b32_e64 v62, v60, v59, s5
	v_cndmask_b32_e64 v63, v58, v61, s5
                                        ; implicit-def: $vgpr60
	s_delay_alu instid0(VALU_DEP_2) | instskip(NEXT) | instid1(VALU_DEP_2)
	v_cmp_ge_i32_e64 s6, v62, v22
	v_cmp_lt_i32_e64 s8, v63, v23
	s_or_b32 s6, s6, s7
	s_wait_alu 0xfffe
	s_and_b32 s6, s8, s6
	s_wait_alu 0xfffe
	s_xor_b32 s7, s6, -1
	s_wait_alu 0xfffe
	s_and_saveexec_b32 s8, s7
	s_wait_alu 0xfffe
	s_xor_b32 s7, exec_lo, s8
; %bb.139:                              ;   in Loop: Header=BB9_2 Depth=1
	v_lshlrev_b32_e32 v60, 2, v62
	ds_load_b32 v60, v60 offset:4
; %bb.140:                              ;   in Loop: Header=BB9_2 Depth=1
	s_wait_alu 0xfffe
	s_or_saveexec_b32 s7, s7
	v_mov_b32_e32 v61, v57
	s_wait_alu 0xfffe
	s_xor_b32 exec_lo, exec_lo, s7
	s_cbranch_execz .LBB9_142
; %bb.141:                              ;   in Loop: Header=BB9_2 Depth=1
	s_wait_dscnt 0x0
	v_lshlrev_b32_e32 v60, 2, v63
	ds_load_b32 v61, v60 offset:4
	v_mov_b32_e32 v60, v56
.LBB9_142:                              ;   in Loop: Header=BB9_2 Depth=1
	s_or_b32 exec_lo, exec_lo, s7
	v_add_nc_u32_e32 v64, 1, v62
	v_add_nc_u32_e32 v65, 1, v63
	s_wait_dscnt 0x0
	v_cmp_lt_i32_e64 s8, v61, v60
	s_delay_alu instid0(VALU_DEP_3) | instskip(NEXT) | instid1(VALU_DEP_3)
	v_cndmask_b32_e64 v66, v64, v62, s6
	v_cndmask_b32_e64 v67, v63, v65, s6
                                        ; implicit-def: $vgpr64
	s_delay_alu instid0(VALU_DEP_2) | instskip(NEXT) | instid1(VALU_DEP_2)
	v_cmp_ge_i32_e64 s7, v66, v22
	v_cmp_lt_i32_e64 s9, v67, v23
	s_or_b32 s7, s7, s8
	s_wait_alu 0xfffe
	s_and_b32 s7, s9, s7
	s_wait_alu 0xfffe
	s_xor_b32 s8, s7, -1
	s_wait_alu 0xfffe
	s_and_saveexec_b32 s9, s8
	s_wait_alu 0xfffe
	s_xor_b32 s8, exec_lo, s9
; %bb.143:                              ;   in Loop: Header=BB9_2 Depth=1
	v_lshlrev_b32_e32 v64, 2, v66
	ds_load_b32 v64, v64 offset:4
; %bb.144:                              ;   in Loop: Header=BB9_2 Depth=1
	s_wait_alu 0xfffe
	s_or_saveexec_b32 s8, s8
	v_mov_b32_e32 v65, v61
	s_wait_alu 0xfffe
	s_xor_b32 exec_lo, exec_lo, s8
	s_cbranch_execz .LBB9_146
; %bb.145:                              ;   in Loop: Header=BB9_2 Depth=1
	s_wait_dscnt 0x0
	v_lshlrev_b32_e32 v64, 2, v67
	ds_load_b32 v65, v64 offset:4
	v_mov_b32_e32 v64, v60
.LBB9_146:                              ;   in Loop: Header=BB9_2 Depth=1
	s_or_b32 exec_lo, exec_lo, s8
	v_add_nc_u32_e32 v68, 1, v66
	v_add_nc_u32_e32 v69, 1, v67
	s_wait_dscnt 0x0
	v_cmp_lt_i32_e64 s9, v65, v64
	s_delay_alu instid0(VALU_DEP_3) | instskip(NEXT) | instid1(VALU_DEP_3)
	v_cndmask_b32_e64 v71, v68, v66, s7
	v_cndmask_b32_e64 v72, v67, v69, s7
                                        ; implicit-def: $vgpr68
	s_delay_alu instid0(VALU_DEP_2) | instskip(NEXT) | instid1(VALU_DEP_2)
	v_cmp_ge_i32_e64 s8, v71, v22
	v_cmp_lt_i32_e64 s10, v72, v23
	s_or_b32 s8, s8, s9
	s_wait_alu 0xfffe
	s_and_b32 s8, s10, s8
	s_wait_alu 0xfffe
	s_xor_b32 s9, s8, -1
	s_wait_alu 0xfffe
	s_and_saveexec_b32 s10, s9
	s_wait_alu 0xfffe
	s_xor_b32 s9, exec_lo, s10
; %bb.147:                              ;   in Loop: Header=BB9_2 Depth=1
	v_lshlrev_b32_e32 v68, 2, v71
	ds_load_b32 v68, v68 offset:4
; %bb.148:                              ;   in Loop: Header=BB9_2 Depth=1
	s_wait_alu 0xfffe
	s_or_saveexec_b32 s9, s9
	v_mov_b32_e32 v69, v65
	s_wait_alu 0xfffe
	s_xor_b32 exec_lo, exec_lo, s9
	s_cbranch_execz .LBB9_150
; %bb.149:                              ;   in Loop: Header=BB9_2 Depth=1
	s_wait_dscnt 0x0
	v_lshlrev_b32_e32 v68, 2, v72
	ds_load_b32 v69, v68 offset:4
	v_mov_b32_e32 v68, v64
.LBB9_150:                              ;   in Loop: Header=BB9_2 Depth=1
	s_or_b32 exec_lo, exec_lo, s9
	v_add_nc_u32_e32 v70, 1, v71
	v_add_nc_u32_e32 v73, 1, v72
	s_wait_dscnt 0x0
	v_cmp_lt_i32_e64 s10, v69, v68
	s_delay_alu instid0(VALU_DEP_3) | instskip(NEXT) | instid1(VALU_DEP_3)
	v_cndmask_b32_e64 v74, v70, v71, s8
	v_cndmask_b32_e64 v75, v72, v73, s8
                                        ; implicit-def: $vgpr70
	s_delay_alu instid0(VALU_DEP_2) | instskip(NEXT) | instid1(VALU_DEP_2)
	v_cmp_ge_i32_e64 s9, v74, v22
	v_cmp_lt_i32_e64 s11, v75, v23
	s_or_b32 s9, s9, s10
	s_wait_alu 0xfffe
	s_and_b32 s9, s11, s9
	s_wait_alu 0xfffe
	s_xor_b32 s10, s9, -1
	s_wait_alu 0xfffe
	s_and_saveexec_b32 s11, s10
	s_wait_alu 0xfffe
	s_xor_b32 s10, exec_lo, s11
; %bb.151:                              ;   in Loop: Header=BB9_2 Depth=1
	v_lshlrev_b32_e32 v70, 2, v74
	ds_load_b32 v70, v70 offset:4
; %bb.152:                              ;   in Loop: Header=BB9_2 Depth=1
	s_wait_alu 0xfffe
	s_or_saveexec_b32 s10, s10
	v_mov_b32_e32 v73, v69
	s_wait_alu 0xfffe
	s_xor_b32 exec_lo, exec_lo, s10
	s_cbranch_execz .LBB9_154
; %bb.153:                              ;   in Loop: Header=BB9_2 Depth=1
	s_wait_dscnt 0x0
	v_lshlrev_b32_e32 v70, 2, v75
	ds_load_b32 v73, v70 offset:4
	v_mov_b32_e32 v70, v68
.LBB9_154:                              ;   in Loop: Header=BB9_2 Depth=1
	s_or_b32 exec_lo, exec_lo, s10
	v_add_nc_u32_e32 v76, 1, v74
	v_add_nc_u32_e32 v77, 1, v75
	s_wait_dscnt 0x0
	v_cmp_lt_i32_e64 s11, v73, v70
                                        ; implicit-def: $vgpr78
	s_delay_alu instid0(VALU_DEP_3) | instskip(NEXT) | instid1(VALU_DEP_3)
	v_cndmask_b32_e64 v76, v76, v74, s9
	v_cndmask_b32_e64 v77, v75, v77, s9
	s_delay_alu instid0(VALU_DEP_2) | instskip(NEXT) | instid1(VALU_DEP_2)
	v_cmp_ge_i32_e64 s10, v76, v22
	v_cmp_lt_i32_e64 s12, v77, v23
	s_or_b32 s10, s10, s11
	s_wait_alu 0xfffe
	s_and_b32 s10, s12, s10
	s_wait_alu 0xfffe
	s_xor_b32 s11, s10, -1
	s_wait_alu 0xfffe
	s_and_saveexec_b32 s12, s11
	s_wait_alu 0xfffe
	s_xor_b32 s11, exec_lo, s12
; %bb.155:                              ;   in Loop: Header=BB9_2 Depth=1
	v_lshlrev_b32_e32 v78, 2, v76
	ds_load_b32 v78, v78 offset:4
; %bb.156:                              ;   in Loop: Header=BB9_2 Depth=1
	s_wait_alu 0xfffe
	s_or_saveexec_b32 s11, s11
	v_mov_b32_e32 v80, v73
	s_wait_alu 0xfffe
	s_xor_b32 exec_lo, exec_lo, s11
	s_cbranch_execz .LBB9_158
; %bb.157:                              ;   in Loop: Header=BB9_2 Depth=1
	s_wait_dscnt 0x0
	v_lshlrev_b32_e32 v78, 2, v77
	ds_load_b32 v80, v78 offset:4
	v_mov_b32_e32 v78, v70
.LBB9_158:                              ;   in Loop: Header=BB9_2 Depth=1
	s_or_b32 exec_lo, exec_lo, s11
	v_add_nc_u32_e32 v79, 1, v76
	v_add_nc_u32_e32 v81, 1, v77
	s_wait_dscnt 0x0
	v_cmp_lt_i32_e64 s12, v80, v78
	s_delay_alu instid0(VALU_DEP_3) | instskip(NEXT) | instid1(VALU_DEP_3)
	v_cndmask_b32_e64 v82, v79, v76, s10
	v_cndmask_b32_e64 v81, v77, v81, s10
                                        ; implicit-def: $vgpr79
	s_delay_alu instid0(VALU_DEP_2) | instskip(NEXT) | instid1(VALU_DEP_2)
	v_cmp_ge_i32_e64 s11, v82, v22
	v_cmp_lt_i32_e64 s13, v81, v23
	s_or_b32 s11, s11, s12
	s_wait_alu 0xfffe
	s_and_b32 s11, s13, s11
	s_wait_alu 0xfffe
	s_xor_b32 s12, s11, -1
	s_wait_alu 0xfffe
	s_and_saveexec_b32 s13, s12
	s_wait_alu 0xfffe
	s_xor_b32 s12, exec_lo, s13
; %bb.159:                              ;   in Loop: Header=BB9_2 Depth=1
	v_lshlrev_b32_e32 v79, 2, v82
	ds_load_b32 v79, v79 offset:4
; %bb.160:                              ;   in Loop: Header=BB9_2 Depth=1
	s_wait_alu 0xfffe
	s_or_saveexec_b32 s12, s12
	v_mov_b32_e32 v83, v80
	s_wait_alu 0xfffe
	s_xor_b32 exec_lo, exec_lo, s12
	s_cbranch_execz .LBB9_162
; %bb.161:                              ;   in Loop: Header=BB9_2 Depth=1
	s_wait_dscnt 0x0
	v_lshlrev_b32_e32 v79, 2, v81
	ds_load_b32 v83, v79 offset:4
	v_mov_b32_e32 v79, v78
.LBB9_162:                              ;   in Loop: Header=BB9_2 Depth=1
	s_or_b32 exec_lo, exec_lo, s12
	v_add_nc_u32_e32 v84, 1, v82
	v_cndmask_b32_e64 v78, v78, v80, s11
	v_add_nc_u32_e32 v80, 1, v81
	v_cndmask_b32_e64 v76, v76, v77, s10
	v_cndmask_b32_e64 v74, v74, v75, s9
	;; [unrolled: 1-line block ×5, first 2 shown]
	s_wait_dscnt 0x0
	v_cmp_lt_i32_e64 s11, v83, v79
	v_cndmask_b32_e64 v58, v59, v58, s5
	v_cmp_ge_i32_e64 s12, v77, v22
	v_cndmask_b32_e64 v62, v62, v63, s6
	v_cmp_lt_i32_e64 s13, v75, v23
	v_cndmask_b32_e64 v66, v66, v67, s7
	v_cndmask_b32_e64 v71, v71, v72, s8
	s_or_b32 s11, s12, s11
	s_wait_loadcnt 0x0
	s_wait_alu 0xfffe
	s_and_b32 s11, s13, s11
	s_barrier_signal -1
	s_wait_alu 0xfffe
	v_cndmask_b32_e64 v63, v77, v75, s11
	s_barrier_wait -1
	global_inv scope:SCOPE_SE
	ds_store_2addr_b32 v1, v46, v47 offset1:1
	ds_store_2addr_b32 v1, v48, v49 offset0:2 offset1:3
	ds_store_2addr_b32 v1, v50, v51 offset0:4 offset1:5
	;; [unrolled: 1-line block ×3, first 2 shown]
	v_lshlrev_b32_e32 v46, 2, v58
	v_lshlrev_b32_e32 v47, 2, v62
	;; [unrolled: 1-line block ×8, first 2 shown]
	s_wait_loadcnt_dscnt 0x0
	s_barrier_signal -1
	s_barrier_wait -1
	global_inv scope:SCOPE_SE
	ds_load_b32 v46, v46
	ds_load_b32 v47, v47
	;; [unrolled: 1-line block ×8, first 2 shown]
	v_cndmask_b32_e64 v56, v56, v57, s6
	v_cndmask_b32_e64 v54, v54, v55, s5
	;; [unrolled: 1-line block ×7, first 2 shown]
	s_wait_loadcnt_dscnt 0x0
	s_barrier_signal -1
	s_barrier_wait -1
	global_inv scope:SCOPE_SE
	ds_store_2addr_b32 v1, v54, v56 offset1:1
	ds_store_2addr_b32 v1, v60, v63 offset0:2 offset1:3
	ds_store_2addr_b32 v1, v62, v58 offset0:4 offset1:5
	;; [unrolled: 1-line block ×3, first 2 shown]
	v_mov_b32_e32 v54, v7
	s_wait_loadcnt_dscnt 0x0
	s_barrier_signal -1
	s_barrier_wait -1
	global_inv scope:SCOPE_SE
	s_and_saveexec_b32 s6, vcc_lo
	s_cbranch_execz .LBB9_166
; %bb.163:                              ;   in Loop: Header=BB9_2 Depth=1
	v_dual_mov_b32 v54, v7 :: v_dual_mov_b32 v55, v8
	s_mov_b32 s7, 0
.LBB9_164:                              ;   Parent Loop BB9_2 Depth=1
                                        ; =>  This Inner Loop Header: Depth=2
	s_delay_alu instid0(VALU_DEP_1) | instskip(NEXT) | instid1(VALU_DEP_1)
	v_sub_nc_u32_e32 v56, v55, v54
	v_lshrrev_b32_e32 v56, 1, v56
	s_delay_alu instid0(VALU_DEP_1) | instskip(NEXT) | instid1(VALU_DEP_1)
	v_add_nc_u32_e32 v56, v56, v54
	v_not_b32_e32 v57, v56
	v_lshlrev_b32_e32 v58, 2, v56
	v_add_nc_u32_e32 v59, 1, v56
	s_delay_alu instid0(VALU_DEP_3)
	v_lshl_add_u32 v57, v57, 2, v45
	ds_load_b32 v58, v58
	ds_load_b32 v57, v57
	s_wait_dscnt 0x0
	v_cmp_lt_i32_e64 s5, v57, v58
	s_wait_alu 0xf1ff
	s_delay_alu instid0(VALU_DEP_1) | instskip(SKIP_1) | instid1(VALU_DEP_1)
	v_cndmask_b32_e64 v55, v55, v56, s5
	v_cndmask_b32_e64 v54, v59, v54, s5
	v_cmp_ge_i32_e64 s5, v54, v55
	s_wait_alu 0xfffe
	s_or_b32 s7, s5, s7
	s_wait_alu 0xfffe
	s_and_not1_b32 exec_lo, exec_lo, s7
	s_cbranch_execnz .LBB9_164
; %bb.165:                              ;   in Loop: Header=BB9_2 Depth=1
	s_or_b32 exec_lo, exec_lo, s7
.LBB9_166:                              ;   in Loop: Header=BB9_2 Depth=1
	s_wait_alu 0xfffe
	s_or_b32 exec_lo, exec_lo, s6
	v_sub_nc_u32_e32 v59, v9, v54
	v_lshlrev_b32_e32 v58, 2, v54
	v_cmp_le_i32_e64 s5, 0x100, v54
                                        ; implicit-def: $vgpr57
	s_delay_alu instid0(VALU_DEP_3)
	v_lshlrev_b32_e32 v60, 2, v59
	v_cmp_gt_i32_e64 s7, 0x200, v59
	ds_load_b32 v55, v58
	ds_load_b32 v56, v60
	s_wait_dscnt 0x0
	v_cmp_lt_i32_e64 s6, v56, v55
	s_or_b32 s5, s5, s6
	s_wait_alu 0xfffe
	s_and_b32 s5, s7, s5
	s_wait_alu 0xfffe
	s_xor_b32 s6, s5, -1
	s_wait_alu 0xfffe
	s_and_saveexec_b32 s7, s6
	s_wait_alu 0xfffe
	s_xor_b32 s6, exec_lo, s7
; %bb.167:                              ;   in Loop: Header=BB9_2 Depth=1
	ds_load_b32 v57, v58 offset:4
                                        ; implicit-def: $vgpr60
; %bb.168:                              ;   in Loop: Header=BB9_2 Depth=1
	s_wait_alu 0xfffe
	s_or_saveexec_b32 s6, s6
	v_mov_b32_e32 v58, v56
	s_wait_alu 0xfffe
	s_xor_b32 exec_lo, exec_lo, s6
	s_cbranch_execz .LBB9_170
; %bb.169:                              ;   in Loop: Header=BB9_2 Depth=1
	ds_load_b32 v58, v60 offset:4
	s_wait_dscnt 0x1
	v_mov_b32_e32 v57, v55
.LBB9_170:                              ;   in Loop: Header=BB9_2 Depth=1
	s_or_b32 exec_lo, exec_lo, s6
	v_add_nc_u32_e32 v60, 1, v54
	v_add_nc_u32_e32 v61, 1, v59
	s_wait_dscnt 0x0
	v_cmp_lt_i32_e64 s7, v58, v57
	s_delay_alu instid0(VALU_DEP_3) | instskip(NEXT) | instid1(VALU_DEP_3)
	v_cndmask_b32_e64 v62, v60, v54, s5
	v_cndmask_b32_e64 v63, v59, v61, s5
                                        ; implicit-def: $vgpr60
	s_delay_alu instid0(VALU_DEP_2) | instskip(NEXT) | instid1(VALU_DEP_2)
	v_cmp_le_i32_e64 s6, 0x100, v62
	v_cmp_gt_i32_e64 s8, 0x200, v63
	s_or_b32 s6, s6, s7
	s_wait_alu 0xfffe
	s_and_b32 s6, s8, s6
	s_wait_alu 0xfffe
	s_xor_b32 s7, s6, -1
	s_wait_alu 0xfffe
	s_and_saveexec_b32 s8, s7
	s_wait_alu 0xfffe
	s_xor_b32 s7, exec_lo, s8
; %bb.171:                              ;   in Loop: Header=BB9_2 Depth=1
	v_lshlrev_b32_e32 v60, 2, v62
	ds_load_b32 v60, v60 offset:4
; %bb.172:                              ;   in Loop: Header=BB9_2 Depth=1
	s_wait_alu 0xfffe
	s_or_saveexec_b32 s7, s7
	v_mov_b32_e32 v61, v58
	s_wait_alu 0xfffe
	s_xor_b32 exec_lo, exec_lo, s7
	s_cbranch_execz .LBB9_174
; %bb.173:                              ;   in Loop: Header=BB9_2 Depth=1
	s_wait_dscnt 0x0
	v_lshlrev_b32_e32 v60, 2, v63
	ds_load_b32 v61, v60 offset:4
	v_mov_b32_e32 v60, v57
.LBB9_174:                              ;   in Loop: Header=BB9_2 Depth=1
	s_or_b32 exec_lo, exec_lo, s7
	v_add_nc_u32_e32 v64, 1, v62
	v_add_nc_u32_e32 v65, 1, v63
	s_wait_dscnt 0x0
	v_cmp_lt_i32_e64 s8, v61, v60
	s_delay_alu instid0(VALU_DEP_3) | instskip(NEXT) | instid1(VALU_DEP_3)
	v_cndmask_b32_e64 v66, v64, v62, s6
	v_cndmask_b32_e64 v67, v63, v65, s6
                                        ; implicit-def: $vgpr64
	s_delay_alu instid0(VALU_DEP_2) | instskip(NEXT) | instid1(VALU_DEP_2)
	v_cmp_le_i32_e64 s7, 0x100, v66
	v_cmp_gt_i32_e64 s9, 0x200, v67
	s_or_b32 s7, s7, s8
	s_wait_alu 0xfffe
	s_and_b32 s7, s9, s7
	s_wait_alu 0xfffe
	s_xor_b32 s8, s7, -1
	s_wait_alu 0xfffe
	s_and_saveexec_b32 s9, s8
	s_wait_alu 0xfffe
	s_xor_b32 s8, exec_lo, s9
; %bb.175:                              ;   in Loop: Header=BB9_2 Depth=1
	v_lshlrev_b32_e32 v64, 2, v66
	ds_load_b32 v64, v64 offset:4
; %bb.176:                              ;   in Loop: Header=BB9_2 Depth=1
	s_wait_alu 0xfffe
	s_or_saveexec_b32 s8, s8
	v_mov_b32_e32 v65, v61
	s_wait_alu 0xfffe
	s_xor_b32 exec_lo, exec_lo, s8
	s_cbranch_execz .LBB9_178
; %bb.177:                              ;   in Loop: Header=BB9_2 Depth=1
	s_wait_dscnt 0x0
	v_lshlrev_b32_e32 v64, 2, v67
	ds_load_b32 v65, v64 offset:4
	v_mov_b32_e32 v64, v60
.LBB9_178:                              ;   in Loop: Header=BB9_2 Depth=1
	s_or_b32 exec_lo, exec_lo, s8
	v_add_nc_u32_e32 v68, 1, v66
	v_add_nc_u32_e32 v69, 1, v67
	s_wait_dscnt 0x0
	v_cmp_lt_i32_e64 s9, v65, v64
	s_delay_alu instid0(VALU_DEP_3) | instskip(NEXT) | instid1(VALU_DEP_3)
	v_cndmask_b32_e64 v70, v68, v66, s7
	v_cndmask_b32_e64 v71, v67, v69, s7
                                        ; implicit-def: $vgpr68
	s_delay_alu instid0(VALU_DEP_2) | instskip(NEXT) | instid1(VALU_DEP_2)
	v_cmp_le_i32_e64 s8, 0x100, v70
	v_cmp_gt_i32_e64 s10, 0x200, v71
	s_or_b32 s8, s8, s9
	s_wait_alu 0xfffe
	s_and_b32 s8, s10, s8
	s_wait_alu 0xfffe
	s_xor_b32 s9, s8, -1
	s_wait_alu 0xfffe
	s_and_saveexec_b32 s10, s9
	s_wait_alu 0xfffe
	s_xor_b32 s9, exec_lo, s10
; %bb.179:                              ;   in Loop: Header=BB9_2 Depth=1
	v_lshlrev_b32_e32 v68, 2, v70
	ds_load_b32 v68, v68 offset:4
; %bb.180:                              ;   in Loop: Header=BB9_2 Depth=1
	s_wait_alu 0xfffe
	s_or_saveexec_b32 s9, s9
	v_mov_b32_e32 v69, v65
	s_wait_alu 0xfffe
	s_xor_b32 exec_lo, exec_lo, s9
	s_cbranch_execz .LBB9_182
; %bb.181:                              ;   in Loop: Header=BB9_2 Depth=1
	s_wait_dscnt 0x0
	v_lshlrev_b32_e32 v68, 2, v71
	ds_load_b32 v69, v68 offset:4
	v_mov_b32_e32 v68, v64
.LBB9_182:                              ;   in Loop: Header=BB9_2 Depth=1
	s_or_b32 exec_lo, exec_lo, s9
	v_add_nc_u32_e32 v72, 1, v70
	v_add_nc_u32_e32 v73, 1, v71
	s_wait_dscnt 0x0
	v_cmp_lt_i32_e64 s10, v69, v68
	s_delay_alu instid0(VALU_DEP_3) | instskip(NEXT) | instid1(VALU_DEP_3)
	v_cndmask_b32_e64 v75, v72, v70, s8
	v_cndmask_b32_e64 v76, v71, v73, s8
                                        ; implicit-def: $vgpr72
	s_delay_alu instid0(VALU_DEP_2) | instskip(NEXT) | instid1(VALU_DEP_2)
	v_cmp_le_i32_e64 s9, 0x100, v75
	v_cmp_gt_i32_e64 s11, 0x200, v76
	s_or_b32 s9, s9, s10
	s_wait_alu 0xfffe
	s_and_b32 s9, s11, s9
	s_wait_alu 0xfffe
	s_xor_b32 s10, s9, -1
	s_wait_alu 0xfffe
	s_and_saveexec_b32 s11, s10
	s_wait_alu 0xfffe
	s_xor_b32 s10, exec_lo, s11
; %bb.183:                              ;   in Loop: Header=BB9_2 Depth=1
	v_lshlrev_b32_e32 v72, 2, v75
	ds_load_b32 v72, v72 offset:4
; %bb.184:                              ;   in Loop: Header=BB9_2 Depth=1
	s_wait_alu 0xfffe
	s_or_saveexec_b32 s10, s10
	v_mov_b32_e32 v73, v69
	s_wait_alu 0xfffe
	s_xor_b32 exec_lo, exec_lo, s10
	s_cbranch_execz .LBB9_186
; %bb.185:                              ;   in Loop: Header=BB9_2 Depth=1
	s_wait_dscnt 0x0
	v_lshlrev_b32_e32 v72, 2, v76
	ds_load_b32 v73, v72 offset:4
	v_mov_b32_e32 v72, v68
.LBB9_186:                              ;   in Loop: Header=BB9_2 Depth=1
	s_or_b32 exec_lo, exec_lo, s10
	v_add_nc_u32_e32 v74, 1, v75
	v_add_nc_u32_e32 v77, 1, v76
	s_wait_dscnt 0x0
	v_cmp_lt_i32_e64 s11, v73, v72
	s_delay_alu instid0(VALU_DEP_3) | instskip(NEXT) | instid1(VALU_DEP_3)
	v_cndmask_b32_e64 v78, v74, v75, s9
	v_cndmask_b32_e64 v79, v76, v77, s9
                                        ; implicit-def: $vgpr74
	s_delay_alu instid0(VALU_DEP_2) | instskip(NEXT) | instid1(VALU_DEP_2)
	v_cmp_le_i32_e64 s10, 0x100, v78
	v_cmp_gt_i32_e64 s12, 0x200, v79
	s_or_b32 s10, s10, s11
	s_wait_alu 0xfffe
	s_and_b32 s10, s12, s10
	s_wait_alu 0xfffe
	s_xor_b32 s11, s10, -1
	s_wait_alu 0xfffe
	s_and_saveexec_b32 s12, s11
	s_wait_alu 0xfffe
	s_xor_b32 s11, exec_lo, s12
; %bb.187:                              ;   in Loop: Header=BB9_2 Depth=1
	v_lshlrev_b32_e32 v74, 2, v78
	ds_load_b32 v74, v74 offset:4
; %bb.188:                              ;   in Loop: Header=BB9_2 Depth=1
	s_wait_alu 0xfffe
	s_or_saveexec_b32 s11, s11
	v_mov_b32_e32 v77, v73
	s_wait_alu 0xfffe
	s_xor_b32 exec_lo, exec_lo, s11
	s_cbranch_execz .LBB9_190
; %bb.189:                              ;   in Loop: Header=BB9_2 Depth=1
	s_wait_dscnt 0x0
	v_lshlrev_b32_e32 v74, 2, v79
	ds_load_b32 v77, v74 offset:4
	v_mov_b32_e32 v74, v72
.LBB9_190:                              ;   in Loop: Header=BB9_2 Depth=1
	s_or_b32 exec_lo, exec_lo, s11
	v_add_nc_u32_e32 v80, 1, v78
	v_add_nc_u32_e32 v81, 1, v79
	s_wait_dscnt 0x0
	v_cmp_lt_i32_e64 s12, v77, v74
                                        ; implicit-def: $vgpr83
                                        ; implicit-def: $vgpr82
	s_delay_alu instid0(VALU_DEP_3) | instskip(NEXT) | instid1(VALU_DEP_3)
	v_cndmask_b32_e64 v84, v80, v78, s10
	v_cndmask_b32_e64 v80, v79, v81, s10
	s_delay_alu instid0(VALU_DEP_2) | instskip(NEXT) | instid1(VALU_DEP_2)
	v_cmp_le_i32_e64 s11, 0x100, v84
	v_cmp_gt_i32_e64 s13, 0x200, v80
	s_or_b32 s11, s11, s12
	s_wait_alu 0xfffe
	s_and_b32 s11, s13, s11
	s_wait_alu 0xfffe
	s_xor_b32 s12, s11, -1
	s_wait_alu 0xfffe
	s_and_saveexec_b32 s13, s12
	s_wait_alu 0xfffe
	s_xor_b32 s12, exec_lo, s13
; %bb.191:                              ;   in Loop: Header=BB9_2 Depth=1
	v_lshlrev_b32_e32 v81, 2, v84
	v_add_nc_u32_e32 v82, 1, v84
	ds_load_b32 v83, v81 offset:4
; %bb.192:                              ;   in Loop: Header=BB9_2 Depth=1
	s_wait_alu 0xfffe
	s_or_saveexec_b32 s12, s12
	v_mov_b32_e32 v81, v84
	v_mov_b32_e32 v85, v77
	s_wait_alu 0xfffe
	s_xor_b32 exec_lo, exec_lo, s12
	s_cbranch_execz .LBB9_1
; %bb.193:                              ;   in Loop: Header=BB9_2 Depth=1
	v_dual_mov_b32 v82, v84 :: v_dual_lshlrev_b32 v81, 2, v80
	s_wait_dscnt 0x0
	v_add_nc_u32_e32 v83, 1, v80
	ds_load_b32 v85, v81 offset:4
	v_dual_mov_b32 v81, v80 :: v_dual_mov_b32 v80, v83
	v_mov_b32_e32 v83, v74
	s_branch .LBB9_1
.LBB9_194:
	s_wait_dscnt 0x7
	v_add_nc_u32_e32 v1, v62, v49
	v_lshlrev_b32_e32 v0, 2, v0
	s_wait_dscnt 0x6
	v_add_nc_u32_e32 v2, v63, v52
	s_wait_dscnt 0x5
	v_add_nc_u32_e32 v3, v57, v50
	;; [unrolled: 2-line block ×3, first 2 shown]
	s_add_nc_u64 s[0:1], s[46:47], s[48:49]
	s_wait_dscnt 0x3
	v_add_nc_u32_e32 v5, v58, v51
	s_wait_dscnt 0x2
	v_add_nc_u32_e32 v6, v56, v48
	;; [unrolled: 2-line block ×4, first 2 shown]
	s_clause 0x7
	global_store_b32 v0, v1, s[0:1]
	global_store_b32 v0, v2, s[0:1] offset:256
	global_store_b32 v0, v3, s[0:1] offset:512
	global_store_b32 v0, v4, s[0:1] offset:768
	global_store_b32 v0, v5, s[0:1] offset:1024
	global_store_b32 v0, v6, s[0:1] offset:1280
	global_store_b32 v0, v7, s[0:1] offset:1536
	global_store_b32 v0, v8, s[0:1] offset:1792
	s_endpgm
	.section	.rodata,"a",@progbits
	.p2align	6, 0x0
	.amdhsa_kernel _Z17sort_pairs_kernelIiLj64ELj8EN10test_utils4lessELj10EEvPKT_PS2_T2_
		.amdhsa_group_segment_fixed_size 2052
		.amdhsa_private_segment_fixed_size 0
		.amdhsa_kernarg_size 20
		.amdhsa_user_sgpr_count 2
		.amdhsa_user_sgpr_dispatch_ptr 0
		.amdhsa_user_sgpr_queue_ptr 0
		.amdhsa_user_sgpr_kernarg_segment_ptr 1
		.amdhsa_user_sgpr_dispatch_id 0
		.amdhsa_user_sgpr_private_segment_size 0
		.amdhsa_wavefront_size32 1
		.amdhsa_uses_dynamic_stack 0
		.amdhsa_enable_private_segment 0
		.amdhsa_system_sgpr_workgroup_id_x 1
		.amdhsa_system_sgpr_workgroup_id_y 0
		.amdhsa_system_sgpr_workgroup_id_z 0
		.amdhsa_system_sgpr_workgroup_info 0
		.amdhsa_system_vgpr_workitem_id 0
		.amdhsa_next_free_vgpr 86
		.amdhsa_next_free_sgpr 50
		.amdhsa_reserve_vcc 1
		.amdhsa_float_round_mode_32 0
		.amdhsa_float_round_mode_16_64 0
		.amdhsa_float_denorm_mode_32 3
		.amdhsa_float_denorm_mode_16_64 3
		.amdhsa_fp16_overflow 0
		.amdhsa_workgroup_processor_mode 1
		.amdhsa_memory_ordered 1
		.amdhsa_forward_progress 1
		.amdhsa_inst_pref_size 97
		.amdhsa_round_robin_scheduling 0
		.amdhsa_exception_fp_ieee_invalid_op 0
		.amdhsa_exception_fp_denorm_src 0
		.amdhsa_exception_fp_ieee_div_zero 0
		.amdhsa_exception_fp_ieee_overflow 0
		.amdhsa_exception_fp_ieee_underflow 0
		.amdhsa_exception_fp_ieee_inexact 0
		.amdhsa_exception_int_div_zero 0
	.end_amdhsa_kernel
	.section	.text._Z17sort_pairs_kernelIiLj64ELj8EN10test_utils4lessELj10EEvPKT_PS2_T2_,"axG",@progbits,_Z17sort_pairs_kernelIiLj64ELj8EN10test_utils4lessELj10EEvPKT_PS2_T2_,comdat
.Lfunc_end9:
	.size	_Z17sort_pairs_kernelIiLj64ELj8EN10test_utils4lessELj10EEvPKT_PS2_T2_, .Lfunc_end9-_Z17sort_pairs_kernelIiLj64ELj8EN10test_utils4lessELj10EEvPKT_PS2_T2_
                                        ; -- End function
	.set _Z17sort_pairs_kernelIiLj64ELj8EN10test_utils4lessELj10EEvPKT_PS2_T2_.num_vgpr, 86
	.set _Z17sort_pairs_kernelIiLj64ELj8EN10test_utils4lessELj10EEvPKT_PS2_T2_.num_agpr, 0
	.set _Z17sort_pairs_kernelIiLj64ELj8EN10test_utils4lessELj10EEvPKT_PS2_T2_.numbered_sgpr, 50
	.set _Z17sort_pairs_kernelIiLj64ELj8EN10test_utils4lessELj10EEvPKT_PS2_T2_.num_named_barrier, 0
	.set _Z17sort_pairs_kernelIiLj64ELj8EN10test_utils4lessELj10EEvPKT_PS2_T2_.private_seg_size, 0
	.set _Z17sort_pairs_kernelIiLj64ELj8EN10test_utils4lessELj10EEvPKT_PS2_T2_.uses_vcc, 1
	.set _Z17sort_pairs_kernelIiLj64ELj8EN10test_utils4lessELj10EEvPKT_PS2_T2_.uses_flat_scratch, 0
	.set _Z17sort_pairs_kernelIiLj64ELj8EN10test_utils4lessELj10EEvPKT_PS2_T2_.has_dyn_sized_stack, 0
	.set _Z17sort_pairs_kernelIiLj64ELj8EN10test_utils4lessELj10EEvPKT_PS2_T2_.has_recursion, 0
	.set _Z17sort_pairs_kernelIiLj64ELj8EN10test_utils4lessELj10EEvPKT_PS2_T2_.has_indirect_call, 0
	.section	.AMDGPU.csdata,"",@progbits
; Kernel info:
; codeLenInByte = 12364
; TotalNumSgprs: 52
; NumVgprs: 86
; ScratchSize: 0
; MemoryBound: 0
; FloatMode: 240
; IeeeMode: 1
; LDSByteSize: 2052 bytes/workgroup (compile time only)
; SGPRBlocks: 0
; VGPRBlocks: 10
; NumSGPRsForWavesPerEU: 52
; NumVGPRsForWavesPerEU: 86
; Occupancy: 16
; WaveLimiterHint : 1
; COMPUTE_PGM_RSRC2:SCRATCH_EN: 0
; COMPUTE_PGM_RSRC2:USER_SGPR: 2
; COMPUTE_PGM_RSRC2:TRAP_HANDLER: 0
; COMPUTE_PGM_RSRC2:TGID_X_EN: 1
; COMPUTE_PGM_RSRC2:TGID_Y_EN: 0
; COMPUTE_PGM_RSRC2:TGID_Z_EN: 0
; COMPUTE_PGM_RSRC2:TIDIG_COMP_CNT: 0
	.section	.text._Z16sort_keys_kernelIiLj128ELj1EN10test_utils4lessELj10EEvPKT_PS2_T2_,"axG",@progbits,_Z16sort_keys_kernelIiLj128ELj1EN10test_utils4lessELj10EEvPKT_PS2_T2_,comdat
	.protected	_Z16sort_keys_kernelIiLj128ELj1EN10test_utils4lessELj10EEvPKT_PS2_T2_ ; -- Begin function _Z16sort_keys_kernelIiLj128ELj1EN10test_utils4lessELj10EEvPKT_PS2_T2_
	.globl	_Z16sort_keys_kernelIiLj128ELj1EN10test_utils4lessELj10EEvPKT_PS2_T2_
	.p2align	8
	.type	_Z16sort_keys_kernelIiLj128ELj1EN10test_utils4lessELj10EEvPKT_PS2_T2_,@function
_Z16sort_keys_kernelIiLj128ELj1EN10test_utils4lessELj10EEvPKT_PS2_T2_: ; @_Z16sort_keys_kernelIiLj128ELj1EN10test_utils4lessELj10EEvPKT_PS2_T2_
; %bb.0:
	s_load_b128 s[8:11], s[0:1], 0x0
	s_lshl_b32 s12, ttmp9, 7
	s_mov_b32 s13, 0
	v_lshlrev_b32_e32 v1, 2, v0
	s_lshl_b64 s[14:15], s[12:13], 2
	v_and_b32_e32 v13, 0x7c, v0
	v_and_b32_e32 v19, 0x78, v0
	;; [unrolled: 1-line block ×6, first 2 shown]
	v_or_b32_e32 v42, 2, v13
	v_add_nc_u32_e32 v4, 4, v13
	v_or_b32_e32 v44, 4, v19
	v_add_nc_u32_e32 v10, 8, v19
	;; [unrolled: 2-line block ×4, first 2 shown]
	v_or_b32_e32 v51, 32, v38
	s_wait_kmcnt 0x0
	s_add_nc_u64 s[0:1], s[8:9], s[14:15]
	v_add_nc_u32_e32 v26, 64, v38
	global_load_b32 v48, v1, s[0:1]
	v_and_b32_e32 v39, 1, v0
	v_or_b32_e32 v2, 1, v7
	v_and_b32_e32 v43, 3, v0
	v_sub_nc_u32_e32 v11, v4, v42
	v_and_b32_e32 v45, 7, v0
	v_sub_nc_u32_e32 v17, v10, v44
	;; [unrolled: 2-line block ×5, first 2 shown]
	v_add_nc_u32_e32 v5, -1, v39
	v_sub_nc_u32_e32 v3, v2, v7
	v_cmp_lt_i32_e32 vcc_lo, 0, v39
	v_sub_nc_u32_e32 v12, v43, v11
	v_sub_nc_u32_e32 v9, v42, v13
	v_cmp_ge_i32_e64 s0, v43, v11
	v_sub_nc_u32_e32 v18, v45, v17
	v_sub_nc_u32_e32 v15, v44, v19
	v_cmp_ge_i32_e64 s1, v45, v17
	;; [unrolled: 3-line block ×5, first 2 shown]
	v_dual_cndmask_b32 v5, 0, v5 :: v_dual_add_nc_u32 v8, v2, v39
	v_min_i32_e32 v6, v39, v3
	v_cndmask_b32_e64 v11, 0, v12, s0
	v_min_i32_e32 v12, v43, v9
	v_add_nc_u32_e32 v14, v42, v43
	v_cndmask_b32_e64 v17, 0, v18, s1
	v_min_i32_e32 v18, v45, v15
	v_add_nc_u32_e32 v20, v44, v45
	v_cndmask_b32_e64 v23, 0, v24, s2
	v_min_i32_e32 v24, v47, v21
	v_cndmask_b32_e64 v28, 0, v29, s3
	v_min_i32_e32 v29, v50, v27
	v_add_nc_u32_e32 v30, v46, v47
	v_add_nc_u32_e32 v33, v49, v50
	v_cndmask_b32_e64 v34, 0, v35, s4
	v_min_i32_e32 v35, v52, v32
	v_sub_nc_u32_e64 v36, v0, 64 clamp
	v_min_i32_e32 v37, 64, v0
	v_lshlrev_b32_e32 v41, 2, v39
	v_add_nc_u32_e32 v39, v51, v52
	v_lshlrev_b32_e32 v43, 2, v43
	v_lshlrev_b32_e32 v45, 2, v45
	v_lshlrev_b32_e32 v47, 2, v47
	v_lshlrev_b32_e32 v50, 2, v50
	v_lshlrev_b32_e32 v52, 2, v52
	v_lshlrev_b32_e32 v7, 2, v7
	v_lshlrev_b32_e32 v13, 2, v13
	v_cmp_lt_i32_e64 s0, v11, v12
	v_lshlrev_b32_e32 v19, 2, v19
	v_cmp_lt_i32_e64 s1, v17, v18
	v_lshlrev_b32_e32 v25, 2, v25
	;; [unrolled: 2-line block ×4, first 2 shown]
	v_cmp_lt_i32_e64 s4, v34, v35
	v_cmp_lt_i32_e64 s5, v36, v37
	v_add_nc_u32_e32 v40, 64, v0
	v_lshl_add_u32 v41, v2, 2, v41
	v_lshl_add_u32 v42, v42, 2, v43
	;; [unrolled: 1-line block ×6, first 2 shown]
	v_add_nc_u32_e32 v47, 0x100, v1
	v_cmp_lt_i32_e32 vcc_lo, v5, v6
	s_branch .LBB10_2
.LBB10_1:                               ;   in Loop: Header=BB10_2 Depth=1
	s_wait_alu 0xfffe
	s_or_b32 exec_lo, exec_lo, s7
	v_sub_nc_u32_e32 v49, v40, v48
	v_lshlrev_b32_e32 v50, 2, v48
	v_cmp_le_i32_e64 s6, 64, v48
	s_add_co_i32 s13, s13, 1
	v_lshlrev_b32_e32 v51, 2, v49
	v_cmp_gt_i32_e64 s8, 0x80, v49
	ds_load_b32 v50, v50
	ds_load_b32 v51, v51
	s_wait_dscnt 0x0
	v_cmp_lt_i32_e64 s7, v51, v50
	s_or_b32 s6, s6, s7
	s_wait_alu 0xfffe
	s_and_b32 s6, s8, s6
	s_cmp_eq_u32 s13, 10
	s_wait_alu 0xfffe
	v_cndmask_b32_e64 v48, v50, v51, s6
	s_cbranch_scc1 .LBB10_30
.LBB10_2:                               ; =>This Loop Header: Depth=1
                                        ;     Child Loop BB10_4 Depth 2
                                        ;     Child Loop BB10_8 Depth 2
	;; [unrolled: 1-line block ×7, first 2 shown]
	s_wait_loadcnt 0x0
	s_barrier_signal -1
	s_barrier_wait -1
	global_inv scope:SCOPE_SE
	ds_store_b32 v1, v48
	v_mov_b32_e32 v48, v5
	s_wait_loadcnt_dscnt 0x0
	s_barrier_signal -1
	s_barrier_wait -1
	global_inv scope:SCOPE_SE
	s_and_saveexec_b32 s7, vcc_lo
	s_cbranch_execz .LBB10_6
; %bb.3:                                ;   in Loop: Header=BB10_2 Depth=1
	v_dual_mov_b32 v48, v5 :: v_dual_mov_b32 v49, v6
	s_mov_b32 s8, 0
.LBB10_4:                               ;   Parent Loop BB10_2 Depth=1
                                        ; =>  This Inner Loop Header: Depth=2
	s_delay_alu instid0(VALU_DEP_1) | instskip(NEXT) | instid1(VALU_DEP_1)
	v_sub_nc_u32_e32 v50, v49, v48
	v_lshrrev_b32_e32 v50, 1, v50
	s_delay_alu instid0(VALU_DEP_1) | instskip(NEXT) | instid1(VALU_DEP_1)
	v_add_nc_u32_e32 v50, v50, v48
	v_not_b32_e32 v51, v50
	v_lshl_add_u32 v52, v50, 2, v7
	v_add_nc_u32_e32 v53, 1, v50
	s_delay_alu instid0(VALU_DEP_3)
	v_lshl_add_u32 v51, v51, 2, v41
	ds_load_b32 v52, v52
	ds_load_b32 v51, v51
	s_wait_dscnt 0x0
	v_cmp_lt_i32_e64 s6, v51, v52
	s_wait_alu 0xf1ff
	s_delay_alu instid0(VALU_DEP_1) | instskip(SKIP_1) | instid1(VALU_DEP_1)
	v_cndmask_b32_e64 v49, v49, v50, s6
	v_cndmask_b32_e64 v48, v53, v48, s6
	v_cmp_ge_i32_e64 s6, v48, v49
	s_or_b32 s8, s6, s8
	s_delay_alu instid0(SALU_CYCLE_1)
	s_and_not1_b32 exec_lo, exec_lo, s8
	s_cbranch_execnz .LBB10_4
; %bb.5:                                ;   in Loop: Header=BB10_2 Depth=1
	s_or_b32 exec_lo, exec_lo, s8
.LBB10_6:                               ;   in Loop: Header=BB10_2 Depth=1
	s_wait_alu 0xfffe
	s_or_b32 exec_lo, exec_lo, s7
	v_sub_nc_u32_e32 v49, v8, v48
	v_lshl_add_u32 v50, v48, 2, v7
	v_cmp_ge_i32_e64 s6, v48, v3
	s_delay_alu instid0(VALU_DEP_3)
	v_dual_mov_b32 v48, v11 :: v_dual_lshlrev_b32 v51, 2, v49
	v_cmp_ge_i32_e64 s8, v2, v49
	ds_load_b32 v50, v50
	ds_load_b32 v51, v51
	s_wait_loadcnt_dscnt 0x0
	s_barrier_signal -1
	s_barrier_wait -1
	global_inv scope:SCOPE_SE
	v_cmp_lt_i32_e64 s7, v51, v50
	s_or_b32 s6, s6, s7
	s_wait_alu 0xfffe
	s_and_b32 s6, s8, s6
	s_wait_alu 0xfffe
	v_cndmask_b32_e64 v49, v50, v51, s6
	ds_store_b32 v1, v49
	s_wait_loadcnt_dscnt 0x0
	s_barrier_signal -1
	s_barrier_wait -1
	global_inv scope:SCOPE_SE
	s_and_saveexec_b32 s7, s0
	s_cbranch_execz .LBB10_10
; %bb.7:                                ;   in Loop: Header=BB10_2 Depth=1
	v_dual_mov_b32 v48, v11 :: v_dual_mov_b32 v49, v12
	s_mov_b32 s8, 0
.LBB10_8:                               ;   Parent Loop BB10_2 Depth=1
                                        ; =>  This Inner Loop Header: Depth=2
	s_delay_alu instid0(VALU_DEP_1) | instskip(NEXT) | instid1(VALU_DEP_1)
	v_sub_nc_u32_e32 v50, v49, v48
	v_lshrrev_b32_e32 v50, 1, v50
	s_delay_alu instid0(VALU_DEP_1) | instskip(NEXT) | instid1(VALU_DEP_1)
	v_add_nc_u32_e32 v50, v50, v48
	v_not_b32_e32 v51, v50
	v_lshl_add_u32 v52, v50, 2, v13
	v_add_nc_u32_e32 v53, 1, v50
	s_delay_alu instid0(VALU_DEP_3)
	v_lshl_add_u32 v51, v51, 2, v42
	ds_load_b32 v52, v52
	ds_load_b32 v51, v51
	s_wait_dscnt 0x0
	v_cmp_lt_i32_e64 s6, v51, v52
	s_wait_alu 0xf1ff
	s_delay_alu instid0(VALU_DEP_1) | instskip(SKIP_1) | instid1(VALU_DEP_1)
	v_cndmask_b32_e64 v49, v49, v50, s6
	v_cndmask_b32_e64 v48, v53, v48, s6
	v_cmp_ge_i32_e64 s6, v48, v49
	s_or_b32 s8, s6, s8
	s_delay_alu instid0(SALU_CYCLE_1)
	s_and_not1_b32 exec_lo, exec_lo, s8
	s_cbranch_execnz .LBB10_8
; %bb.9:                                ;   in Loop: Header=BB10_2 Depth=1
	s_or_b32 exec_lo, exec_lo, s8
.LBB10_10:                              ;   in Loop: Header=BB10_2 Depth=1
	s_wait_alu 0xfffe
	s_or_b32 exec_lo, exec_lo, s7
	v_sub_nc_u32_e32 v49, v14, v48
	v_lshl_add_u32 v50, v48, 2, v13
	v_cmp_ge_i32_e64 s6, v48, v9
	s_delay_alu instid0(VALU_DEP_3)
	v_dual_mov_b32 v48, v17 :: v_dual_lshlrev_b32 v51, 2, v49
	v_cmp_gt_i32_e64 s8, v4, v49
	ds_load_b32 v50, v50
	ds_load_b32 v51, v51
	s_wait_loadcnt_dscnt 0x0
	s_barrier_signal -1
	s_barrier_wait -1
	global_inv scope:SCOPE_SE
	v_cmp_lt_i32_e64 s7, v51, v50
	s_or_b32 s6, s6, s7
	s_wait_alu 0xfffe
	s_and_b32 s6, s8, s6
	s_wait_alu 0xfffe
	v_cndmask_b32_e64 v49, v50, v51, s6
	ds_store_b32 v1, v49
	s_wait_loadcnt_dscnt 0x0
	s_barrier_signal -1
	s_barrier_wait -1
	global_inv scope:SCOPE_SE
	s_and_saveexec_b32 s7, s1
	s_cbranch_execz .LBB10_14
; %bb.11:                               ;   in Loop: Header=BB10_2 Depth=1
	v_dual_mov_b32 v48, v17 :: v_dual_mov_b32 v49, v18
	s_mov_b32 s8, 0
.LBB10_12:                              ;   Parent Loop BB10_2 Depth=1
                                        ; =>  This Inner Loop Header: Depth=2
	s_delay_alu instid0(VALU_DEP_1) | instskip(NEXT) | instid1(VALU_DEP_1)
	v_sub_nc_u32_e32 v50, v49, v48
	v_lshrrev_b32_e32 v50, 1, v50
	s_delay_alu instid0(VALU_DEP_1) | instskip(NEXT) | instid1(VALU_DEP_1)
	v_add_nc_u32_e32 v50, v50, v48
	v_not_b32_e32 v51, v50
	v_lshl_add_u32 v52, v50, 2, v19
	v_add_nc_u32_e32 v53, 1, v50
	s_delay_alu instid0(VALU_DEP_3)
	v_lshl_add_u32 v51, v51, 2, v43
	ds_load_b32 v52, v52
	ds_load_b32 v51, v51
	s_wait_dscnt 0x0
	v_cmp_lt_i32_e64 s6, v51, v52
	s_wait_alu 0xf1ff
	s_delay_alu instid0(VALU_DEP_1) | instskip(SKIP_1) | instid1(VALU_DEP_1)
	v_cndmask_b32_e64 v49, v49, v50, s6
	v_cndmask_b32_e64 v48, v53, v48, s6
	v_cmp_ge_i32_e64 s6, v48, v49
	s_or_b32 s8, s6, s8
	s_delay_alu instid0(SALU_CYCLE_1)
	s_and_not1_b32 exec_lo, exec_lo, s8
	s_cbranch_execnz .LBB10_12
; %bb.13:                               ;   in Loop: Header=BB10_2 Depth=1
	s_or_b32 exec_lo, exec_lo, s8
.LBB10_14:                              ;   in Loop: Header=BB10_2 Depth=1
	s_wait_alu 0xfffe
	s_or_b32 exec_lo, exec_lo, s7
	v_sub_nc_u32_e32 v49, v20, v48
	v_lshl_add_u32 v50, v48, 2, v19
	v_cmp_ge_i32_e64 s6, v48, v15
	s_delay_alu instid0(VALU_DEP_3)
	v_dual_mov_b32 v48, v23 :: v_dual_lshlrev_b32 v51, 2, v49
	v_cmp_gt_i32_e64 s8, v10, v49
	ds_load_b32 v50, v50
	ds_load_b32 v51, v51
	s_wait_loadcnt_dscnt 0x0
	s_barrier_signal -1
	s_barrier_wait -1
	global_inv scope:SCOPE_SE
	v_cmp_lt_i32_e64 s7, v51, v50
	s_or_b32 s6, s6, s7
	s_wait_alu 0xfffe
	s_and_b32 s6, s8, s6
	s_wait_alu 0xfffe
	v_cndmask_b32_e64 v49, v50, v51, s6
	ds_store_b32 v1, v49
	s_wait_loadcnt_dscnt 0x0
	s_barrier_signal -1
	s_barrier_wait -1
	global_inv scope:SCOPE_SE
	s_and_saveexec_b32 s7, s2
	s_cbranch_execz .LBB10_18
; %bb.15:                               ;   in Loop: Header=BB10_2 Depth=1
	v_dual_mov_b32 v48, v23 :: v_dual_mov_b32 v49, v24
	s_mov_b32 s8, 0
.LBB10_16:                              ;   Parent Loop BB10_2 Depth=1
                                        ; =>  This Inner Loop Header: Depth=2
	s_delay_alu instid0(VALU_DEP_1) | instskip(NEXT) | instid1(VALU_DEP_1)
	v_sub_nc_u32_e32 v50, v49, v48
	v_lshrrev_b32_e32 v50, 1, v50
	s_delay_alu instid0(VALU_DEP_1) | instskip(NEXT) | instid1(VALU_DEP_1)
	v_add_nc_u32_e32 v50, v50, v48
	v_not_b32_e32 v51, v50
	v_lshl_add_u32 v52, v50, 2, v25
	v_add_nc_u32_e32 v53, 1, v50
	s_delay_alu instid0(VALU_DEP_3)
	v_lshl_add_u32 v51, v51, 2, v44
	ds_load_b32 v52, v52
	ds_load_b32 v51, v51
	s_wait_dscnt 0x0
	v_cmp_lt_i32_e64 s6, v51, v52
	s_wait_alu 0xf1ff
	s_delay_alu instid0(VALU_DEP_1) | instskip(SKIP_1) | instid1(VALU_DEP_1)
	v_cndmask_b32_e64 v49, v49, v50, s6
	v_cndmask_b32_e64 v48, v53, v48, s6
	v_cmp_ge_i32_e64 s6, v48, v49
	s_or_b32 s8, s6, s8
	s_delay_alu instid0(SALU_CYCLE_1)
	s_and_not1_b32 exec_lo, exec_lo, s8
	s_cbranch_execnz .LBB10_16
; %bb.17:                               ;   in Loop: Header=BB10_2 Depth=1
	s_or_b32 exec_lo, exec_lo, s8
.LBB10_18:                              ;   in Loop: Header=BB10_2 Depth=1
	;; [unrolled: 58-line block ×4, first 2 shown]
	s_wait_alu 0xfffe
	s_or_b32 exec_lo, exec_lo, s7
	v_sub_nc_u32_e32 v49, v39, v48
	v_lshl_add_u32 v50, v48, 2, v38
	v_cmp_ge_i32_e64 s6, v48, v32
	s_delay_alu instid0(VALU_DEP_3)
	v_dual_mov_b32 v48, v36 :: v_dual_lshlrev_b32 v51, 2, v49
	v_cmp_gt_i32_e64 s8, v26, v49
	ds_load_b32 v50, v50
	ds_load_b32 v51, v51
	s_wait_loadcnt_dscnt 0x0
	s_barrier_signal -1
	s_barrier_wait -1
	global_inv scope:SCOPE_SE
	v_cmp_lt_i32_e64 s7, v51, v50
	s_or_b32 s6, s6, s7
	s_wait_alu 0xfffe
	s_and_b32 s6, s8, s6
	s_wait_alu 0xfffe
	v_cndmask_b32_e64 v49, v50, v51, s6
	ds_store_b32 v1, v49
	s_wait_loadcnt_dscnt 0x0
	s_barrier_signal -1
	s_barrier_wait -1
	global_inv scope:SCOPE_SE
	s_and_saveexec_b32 s7, s5
	s_cbranch_execz .LBB10_1
; %bb.27:                               ;   in Loop: Header=BB10_2 Depth=1
	v_dual_mov_b32 v48, v36 :: v_dual_mov_b32 v49, v37
	s_mov_b32 s8, 0
.LBB10_28:                              ;   Parent Loop BB10_2 Depth=1
                                        ; =>  This Inner Loop Header: Depth=2
	s_delay_alu instid0(VALU_DEP_1) | instskip(NEXT) | instid1(VALU_DEP_1)
	v_sub_nc_u32_e32 v50, v49, v48
	v_lshrrev_b32_e32 v50, 1, v50
	s_delay_alu instid0(VALU_DEP_1) | instskip(NEXT) | instid1(VALU_DEP_1)
	v_add_nc_u32_e32 v50, v50, v48
	v_not_b32_e32 v51, v50
	v_lshlrev_b32_e32 v52, 2, v50
	v_add_nc_u32_e32 v53, 1, v50
	s_delay_alu instid0(VALU_DEP_3)
	v_lshl_add_u32 v51, v51, 2, v47
	ds_load_b32 v52, v52
	ds_load_b32 v51, v51
	s_wait_dscnt 0x0
	v_cmp_lt_i32_e64 s6, v51, v52
	s_wait_alu 0xf1ff
	s_delay_alu instid0(VALU_DEP_1) | instskip(SKIP_1) | instid1(VALU_DEP_1)
	v_cndmask_b32_e64 v49, v49, v50, s6
	v_cndmask_b32_e64 v48, v53, v48, s6
	v_cmp_ge_i32_e64 s6, v48, v49
	s_or_b32 s8, s6, s8
	s_delay_alu instid0(SALU_CYCLE_1)
	s_and_not1_b32 exec_lo, exec_lo, s8
	s_cbranch_execnz .LBB10_28
; %bb.29:                               ;   in Loop: Header=BB10_2 Depth=1
	s_or_b32 exec_lo, exec_lo, s8
	s_branch .LBB10_1
.LBB10_30:
	v_lshlrev_b32_e32 v0, 2, v0
	s_add_nc_u64 s[0:1], s[10:11], s[14:15]
	global_store_b32 v0, v48, s[0:1]
	s_endpgm
	.section	.rodata,"a",@progbits
	.p2align	6, 0x0
	.amdhsa_kernel _Z16sort_keys_kernelIiLj128ELj1EN10test_utils4lessELj10EEvPKT_PS2_T2_
		.amdhsa_group_segment_fixed_size 516
		.amdhsa_private_segment_fixed_size 0
		.amdhsa_kernarg_size 20
		.amdhsa_user_sgpr_count 2
		.amdhsa_user_sgpr_dispatch_ptr 0
		.amdhsa_user_sgpr_queue_ptr 0
		.amdhsa_user_sgpr_kernarg_segment_ptr 1
		.amdhsa_user_sgpr_dispatch_id 0
		.amdhsa_user_sgpr_private_segment_size 0
		.amdhsa_wavefront_size32 1
		.amdhsa_uses_dynamic_stack 0
		.amdhsa_enable_private_segment 0
		.amdhsa_system_sgpr_workgroup_id_x 1
		.amdhsa_system_sgpr_workgroup_id_y 0
		.amdhsa_system_sgpr_workgroup_id_z 0
		.amdhsa_system_sgpr_workgroup_info 0
		.amdhsa_system_vgpr_workitem_id 0
		.amdhsa_next_free_vgpr 54
		.amdhsa_next_free_sgpr 16
		.amdhsa_reserve_vcc 1
		.amdhsa_float_round_mode_32 0
		.amdhsa_float_round_mode_16_64 0
		.amdhsa_float_denorm_mode_32 3
		.amdhsa_float_denorm_mode_16_64 3
		.amdhsa_fp16_overflow 0
		.amdhsa_workgroup_processor_mode 1
		.amdhsa_memory_ordered 1
		.amdhsa_forward_progress 1
		.amdhsa_inst_pref_size 21
		.amdhsa_round_robin_scheduling 0
		.amdhsa_exception_fp_ieee_invalid_op 0
		.amdhsa_exception_fp_denorm_src 0
		.amdhsa_exception_fp_ieee_div_zero 0
		.amdhsa_exception_fp_ieee_overflow 0
		.amdhsa_exception_fp_ieee_underflow 0
		.amdhsa_exception_fp_ieee_inexact 0
		.amdhsa_exception_int_div_zero 0
	.end_amdhsa_kernel
	.section	.text._Z16sort_keys_kernelIiLj128ELj1EN10test_utils4lessELj10EEvPKT_PS2_T2_,"axG",@progbits,_Z16sort_keys_kernelIiLj128ELj1EN10test_utils4lessELj10EEvPKT_PS2_T2_,comdat
.Lfunc_end10:
	.size	_Z16sort_keys_kernelIiLj128ELj1EN10test_utils4lessELj10EEvPKT_PS2_T2_, .Lfunc_end10-_Z16sort_keys_kernelIiLj128ELj1EN10test_utils4lessELj10EEvPKT_PS2_T2_
                                        ; -- End function
	.set _Z16sort_keys_kernelIiLj128ELj1EN10test_utils4lessELj10EEvPKT_PS2_T2_.num_vgpr, 54
	.set _Z16sort_keys_kernelIiLj128ELj1EN10test_utils4lessELj10EEvPKT_PS2_T2_.num_agpr, 0
	.set _Z16sort_keys_kernelIiLj128ELj1EN10test_utils4lessELj10EEvPKT_PS2_T2_.numbered_sgpr, 16
	.set _Z16sort_keys_kernelIiLj128ELj1EN10test_utils4lessELj10EEvPKT_PS2_T2_.num_named_barrier, 0
	.set _Z16sort_keys_kernelIiLj128ELj1EN10test_utils4lessELj10EEvPKT_PS2_T2_.private_seg_size, 0
	.set _Z16sort_keys_kernelIiLj128ELj1EN10test_utils4lessELj10EEvPKT_PS2_T2_.uses_vcc, 1
	.set _Z16sort_keys_kernelIiLj128ELj1EN10test_utils4lessELj10EEvPKT_PS2_T2_.uses_flat_scratch, 0
	.set _Z16sort_keys_kernelIiLj128ELj1EN10test_utils4lessELj10EEvPKT_PS2_T2_.has_dyn_sized_stack, 0
	.set _Z16sort_keys_kernelIiLj128ELj1EN10test_utils4lessELj10EEvPKT_PS2_T2_.has_recursion, 0
	.set _Z16sort_keys_kernelIiLj128ELj1EN10test_utils4lessELj10EEvPKT_PS2_T2_.has_indirect_call, 0
	.section	.AMDGPU.csdata,"",@progbits
; Kernel info:
; codeLenInByte = 2672
; TotalNumSgprs: 18
; NumVgprs: 54
; ScratchSize: 0
; MemoryBound: 0
; FloatMode: 240
; IeeeMode: 1
; LDSByteSize: 516 bytes/workgroup (compile time only)
; SGPRBlocks: 0
; VGPRBlocks: 6
; NumSGPRsForWavesPerEU: 18
; NumVGPRsForWavesPerEU: 54
; Occupancy: 16
; WaveLimiterHint : 0
; COMPUTE_PGM_RSRC2:SCRATCH_EN: 0
; COMPUTE_PGM_RSRC2:USER_SGPR: 2
; COMPUTE_PGM_RSRC2:TRAP_HANDLER: 0
; COMPUTE_PGM_RSRC2:TGID_X_EN: 1
; COMPUTE_PGM_RSRC2:TGID_Y_EN: 0
; COMPUTE_PGM_RSRC2:TGID_Z_EN: 0
; COMPUTE_PGM_RSRC2:TIDIG_COMP_CNT: 0
	.section	.text._Z17sort_pairs_kernelIiLj128ELj1EN10test_utils4lessELj10EEvPKT_PS2_T2_,"axG",@progbits,_Z17sort_pairs_kernelIiLj128ELj1EN10test_utils4lessELj10EEvPKT_PS2_T2_,comdat
	.protected	_Z17sort_pairs_kernelIiLj128ELj1EN10test_utils4lessELj10EEvPKT_PS2_T2_ ; -- Begin function _Z17sort_pairs_kernelIiLj128ELj1EN10test_utils4lessELj10EEvPKT_PS2_T2_
	.globl	_Z17sort_pairs_kernelIiLj128ELj1EN10test_utils4lessELj10EEvPKT_PS2_T2_
	.p2align	8
	.type	_Z17sort_pairs_kernelIiLj128ELj1EN10test_utils4lessELj10EEvPKT_PS2_T2_,@function
_Z17sort_pairs_kernelIiLj128ELj1EN10test_utils4lessELj10EEvPKT_PS2_T2_: ; @_Z17sort_pairs_kernelIiLj128ELj1EN10test_utils4lessELj10EEvPKT_PS2_T2_
; %bb.0:
	s_load_b128 s[8:11], s[0:1], 0x0
	s_lshl_b32 s12, ttmp9, 7
	s_mov_b32 s13, 0
	v_lshlrev_b32_e32 v1, 2, v0
	s_lshl_b64 s[14:15], s[12:13], 2
	v_and_b32_e32 v3, 0x7c, v0
	v_and_b32_e32 v2, 0x7e, v0
	;; [unrolled: 1-line block ×5, first 2 shown]
	v_or_b32_e32 v13, 2, v3
	v_add_nc_u32_e32 v14, 4, v3
	v_or_b32_e32 v11, 1, v2
	v_or_b32_e32 v16, 4, v4
	v_add_nc_u32_e32 v17, 8, v4
	v_and_b32_e32 v41, 1, v0
	v_sub_nc_u32_e32 v52, v14, v13
	v_and_b32_e32 v48, 7, v0
	v_and_b32_e32 v6, 0x60, v0
	v_or_b32_e32 v19, 8, v5
	s_wait_kmcnt 0x0
	s_add_nc_u64 s[0:1], s[8:9], s[14:15]
	v_add_nc_u32_e32 v20, 16, v5
	global_load_b32 v53, v1, s[0:1]
	v_sub_nc_u32_e32 v42, v11, v2
	v_sub_nc_u32_e32 v43, v13, v3
	;; [unrolled: 1-line block ×4, first 2 shown]
	v_cmp_ge_i32_e64 s1, v47, v52
	v_and_b32_e32 v49, 15, v0
	v_and_b32_e32 v7, 64, v0
	v_add_nc_u32_e32 v28, -1, v41
	v_or_b32_e32 v22, 16, v6
	v_add_nc_u32_e32 v23, 32, v6
	v_lshlrev_b32_e32 v35, 2, v41
	v_lshlrev_b32_e32 v36, 2, v47
	v_cmp_lt_i32_e64 s0, 0, v41
	v_add_nc_u32_e32 v29, v11, v41
	v_add_nc_u32_e32 v30, v13, v47
	v_sub_nc_u32_e32 v44, v16, v4
	v_sub_nc_u32_e32 v55, v20, v19
	v_min_i32_e32 v41, v41, v42
	v_min_i32_e32 v42, v47, v43
	v_sub_nc_u32_e32 v60, v48, v54
	v_cndmask_b32_e64 v47, 0, v59, s1
	v_cmp_ge_i32_e64 s1, v48, v54
	v_and_b32_e32 v50, 31, v0
	v_or_b32_e32 v25, 32, v7
	v_add_nc_u32_e32 v26, 64, v7
	v_lshlrev_b32_e32 v37, 2, v48
	v_add_nc_u32_e32 v31, v16, v48
	v_sub_nc_u32_e32 v45, v19, v5
	v_sub_nc_u32_e32 v56, v23, v22
	v_min_i32_e32 v43, v48, v44
	v_sub_nc_u32_e32 v61, v49, v55
	s_wait_alu 0xf1ff
	v_cndmask_b32_e64 v48, 0, v60, s1
	v_cmp_ge_i32_e64 s1, v49, v55
	v_and_b32_e32 v51, 63, v0
	v_lshlrev_b32_e32 v38, 2, v49
	v_add_nc_u32_e32 v32, v19, v49
	v_sub_nc_u32_e32 v46, v22, v6
	v_sub_nc_u32_e32 v58, v26, v25
	v_min_i32_e32 v44, v49, v45
	v_sub_nc_u32_e32 v62, v50, v56
	s_wait_alu 0xf1ff
	v_cndmask_b32_e64 v49, 0, v61, s1
	v_cmp_ge_i32_e64 s1, v50, v56
	v_lshlrev_b32_e32 v39, 2, v50
	v_add_nc_u32_e32 v33, v22, v50
	v_sub_nc_u32_e32 v57, v25, v7
	v_min_i32_e32 v45, v50, v46
	v_sub_nc_u32_e32 v63, v51, v58
	s_wait_alu 0xf1ff
	v_cndmask_b32_e64 v50, 0, v62, s1
	v_cmp_ge_i32_e64 s1, v51, v58
	v_lshlrev_b32_e32 v40, 2, v51
	v_cndmask_b32_e64 v28, 0, v28, s0
	v_add_nc_u32_e32 v34, v25, v51
	v_min_i32_e32 v46, v51, v57
	s_wait_alu 0xf1ff
	v_cndmask_b32_e64 v51, 0, v63, s1
	v_sub_nc_u32_e64 v8, v0, 64 clamp
	v_min_i32_e32 v9, 64, v0
	v_add_nc_u32_e32 v10, 64, v0
	v_lshlrev_b32_e32 v12, 2, v2
	v_lshlrev_b32_e32 v15, 2, v3
	;; [unrolled: 1-line block ×6, first 2 shown]
	v_lshl_add_u32 v35, v11, 2, v35
	v_lshl_add_u32 v36, v13, 2, v36
	;; [unrolled: 1-line block ×6, first 2 shown]
	v_cmp_lt_i32_e64 s0, v28, v41
	v_cmp_lt_i32_e64 s1, v47, v42
	;; [unrolled: 1-line block ×6, first 2 shown]
	v_add_nc_u32_e32 v52, 0x100, v1
	v_cmp_lt_i32_e32 vcc_lo, v8, v9
	s_wait_loadcnt 0x0
	v_add_nc_u32_e32 v54, 1, v53
	s_branch .LBB11_2
.LBB11_1:                               ;   in Loop: Header=BB11_2 Depth=1
	s_wait_alu 0xfffe
	s_or_b32 exec_lo, exec_lo, s7
	v_sub_nc_u32_e32 v56, v10, v55
	v_lshlrev_b32_e32 v53, 2, v55
	v_cmp_le_i32_e64 s6, 64, v55
	s_add_co_i32 s13, s13, 1
	v_lshlrev_b32_e32 v57, 2, v56
	v_cmp_gt_i32_e64 s8, 0x80, v56
	ds_load_b32 v53, v53
	ds_load_b32 v57, v57
	s_wait_loadcnt_dscnt 0x0
	s_barrier_signal -1
	s_barrier_wait -1
	global_inv scope:SCOPE_SE
	ds_store_b32 v1, v54
	s_wait_loadcnt_dscnt 0x0
	s_barrier_signal -1
	s_barrier_wait -1
	global_inv scope:SCOPE_SE
	v_cmp_lt_i32_e64 s7, v57, v53
	s_or_b32 s6, s6, s7
	s_wait_alu 0xfffe
	s_and_b32 s6, s8, s6
	s_cmp_eq_u32 s13, 10
	s_wait_alu 0xfffe
	v_cndmask_b32_e64 v55, v55, v56, s6
	v_cndmask_b32_e64 v53, v53, v57, s6
	s_delay_alu instid0(VALU_DEP_2)
	v_lshlrev_b32_e32 v54, 2, v55
	ds_load_b32 v54, v54
	s_cbranch_scc1 .LBB11_30
.LBB11_2:                               ; =>This Loop Header: Depth=1
                                        ;     Child Loop BB11_4 Depth 2
                                        ;     Child Loop BB11_8 Depth 2
	;; [unrolled: 1-line block ×7, first 2 shown]
	s_barrier_signal -1
	s_barrier_wait -1
	global_inv scope:SCOPE_SE
	ds_store_b32 v1, v53
	v_mov_b32_e32 v53, v28
	s_wait_loadcnt_dscnt 0x0
	s_barrier_signal -1
	s_barrier_wait -1
	global_inv scope:SCOPE_SE
	s_and_saveexec_b32 s7, s0
	s_cbranch_execz .LBB11_6
; %bb.3:                                ;   in Loop: Header=BB11_2 Depth=1
	v_mov_b32_e32 v53, v28
	v_mov_b32_e32 v55, v41
	s_mov_b32 s8, 0
.LBB11_4:                               ;   Parent Loop BB11_2 Depth=1
                                        ; =>  This Inner Loop Header: Depth=2
	s_delay_alu instid0(VALU_DEP_1) | instskip(NEXT) | instid1(VALU_DEP_1)
	v_sub_nc_u32_e32 v56, v55, v53
	v_lshrrev_b32_e32 v56, 1, v56
	s_delay_alu instid0(VALU_DEP_1) | instskip(NEXT) | instid1(VALU_DEP_1)
	v_add_nc_u32_e32 v56, v56, v53
	v_not_b32_e32 v57, v56
	v_lshl_add_u32 v58, v56, 2, v12
	v_add_nc_u32_e32 v59, 1, v56
	s_delay_alu instid0(VALU_DEP_3)
	v_lshl_add_u32 v57, v57, 2, v35
	ds_load_b32 v58, v58
	ds_load_b32 v57, v57
	s_wait_dscnt 0x0
	v_cmp_lt_i32_e64 s6, v57, v58
	s_wait_alu 0xf1ff
	s_delay_alu instid0(VALU_DEP_1) | instskip(SKIP_1) | instid1(VALU_DEP_1)
	v_cndmask_b32_e64 v55, v55, v56, s6
	v_cndmask_b32_e64 v53, v59, v53, s6
	v_cmp_ge_i32_e64 s6, v53, v55
	s_or_b32 s8, s6, s8
	s_delay_alu instid0(SALU_CYCLE_1)
	s_and_not1_b32 exec_lo, exec_lo, s8
	s_cbranch_execnz .LBB11_4
; %bb.5:                                ;   in Loop: Header=BB11_2 Depth=1
	s_or_b32 exec_lo, exec_lo, s8
.LBB11_6:                               ;   in Loop: Header=BB11_2 Depth=1
	s_wait_alu 0xfffe
	s_or_b32 exec_lo, exec_lo, s7
	v_sub_nc_u32_e32 v55, v29, v53
	v_lshl_add_u32 v56, v53, 2, v12
	v_add_nc_u32_e32 v53, v53, v2
	s_delay_alu instid0(VALU_DEP_3) | instskip(SKIP_1) | instid1(VALU_DEP_3)
	v_lshlrev_b32_e32 v57, 2, v55
	v_cmp_ge_i32_e64 s8, v11, v55
	v_cmp_le_i32_e64 s6, v11, v53
	ds_load_b32 v56, v56
	ds_load_b32 v57, v57
	s_wait_loadcnt_dscnt 0x0
	s_barrier_signal -1
	s_barrier_wait -1
	global_inv scope:SCOPE_SE
	ds_store_b32 v1, v54
	s_wait_loadcnt_dscnt 0x0
	s_barrier_signal -1
	s_barrier_wait -1
	global_inv scope:SCOPE_SE
	v_mov_b32_e32 v54, v47
	v_cmp_lt_i32_e64 s7, v57, v56
	s_or_b32 s6, s6, s7
	s_wait_alu 0xfffe
	s_and_b32 s6, s8, s6
	s_wait_alu 0xfffe
	v_cndmask_b32_e64 v53, v53, v55, s6
	v_cndmask_b32_e64 v56, v56, v57, s6
	s_delay_alu instid0(VALU_DEP_2)
	v_lshlrev_b32_e32 v53, 2, v53
	ds_load_b32 v53, v53
	s_wait_loadcnt_dscnt 0x0
	s_barrier_signal -1
	s_barrier_wait -1
	global_inv scope:SCOPE_SE
	ds_store_b32 v1, v56
	s_wait_loadcnt_dscnt 0x0
	s_barrier_signal -1
	s_barrier_wait -1
	global_inv scope:SCOPE_SE
	s_and_saveexec_b32 s7, s1
	s_cbranch_execz .LBB11_10
; %bb.7:                                ;   in Loop: Header=BB11_2 Depth=1
	v_dual_mov_b32 v54, v47 :: v_dual_mov_b32 v55, v42
	s_mov_b32 s8, 0
.LBB11_8:                               ;   Parent Loop BB11_2 Depth=1
                                        ; =>  This Inner Loop Header: Depth=2
	s_delay_alu instid0(VALU_DEP_1) | instskip(NEXT) | instid1(VALU_DEP_1)
	v_sub_nc_u32_e32 v56, v55, v54
	v_lshrrev_b32_e32 v56, 1, v56
	s_delay_alu instid0(VALU_DEP_1) | instskip(NEXT) | instid1(VALU_DEP_1)
	v_add_nc_u32_e32 v56, v56, v54
	v_not_b32_e32 v57, v56
	v_lshl_add_u32 v58, v56, 2, v15
	v_add_nc_u32_e32 v59, 1, v56
	s_delay_alu instid0(VALU_DEP_3)
	v_lshl_add_u32 v57, v57, 2, v36
	ds_load_b32 v58, v58
	ds_load_b32 v57, v57
	s_wait_dscnt 0x0
	v_cmp_lt_i32_e64 s6, v57, v58
	s_wait_alu 0xf1ff
	s_delay_alu instid0(VALU_DEP_1) | instskip(SKIP_1) | instid1(VALU_DEP_1)
	v_cndmask_b32_e64 v55, v55, v56, s6
	v_cndmask_b32_e64 v54, v59, v54, s6
	v_cmp_ge_i32_e64 s6, v54, v55
	s_or_b32 s8, s6, s8
	s_delay_alu instid0(SALU_CYCLE_1)
	s_and_not1_b32 exec_lo, exec_lo, s8
	s_cbranch_execnz .LBB11_8
; %bb.9:                                ;   in Loop: Header=BB11_2 Depth=1
	s_or_b32 exec_lo, exec_lo, s8
.LBB11_10:                              ;   in Loop: Header=BB11_2 Depth=1
	s_wait_alu 0xfffe
	s_or_b32 exec_lo, exec_lo, s7
	v_sub_nc_u32_e32 v55, v30, v54
	v_lshl_add_u32 v56, v54, 2, v15
	v_add_nc_u32_e32 v54, v54, v3
	s_delay_alu instid0(VALU_DEP_3) | instskip(SKIP_1) | instid1(VALU_DEP_3)
	v_lshlrev_b32_e32 v57, 2, v55
	v_cmp_gt_i32_e64 s8, v14, v55
	v_cmp_le_i32_e64 s6, v13, v54
	ds_load_b32 v56, v56
	ds_load_b32 v57, v57
	s_wait_loadcnt_dscnt 0x0
	s_barrier_signal -1
	s_barrier_wait -1
	global_inv scope:SCOPE_SE
	ds_store_b32 v1, v53
	s_wait_loadcnt_dscnt 0x0
	s_barrier_signal -1
	s_barrier_wait -1
	global_inv scope:SCOPE_SE
	v_cmp_lt_i32_e64 s7, v57, v56
	s_or_b32 s6, s6, s7
	s_wait_alu 0xfffe
	s_and_b32 s6, s8, s6
	s_wait_alu 0xfffe
	v_cndmask_b32_e64 v54, v54, v55, s6
	v_cndmask_b32_e64 v56, v56, v57, s6
	s_delay_alu instid0(VALU_DEP_2)
	v_dual_mov_b32 v54, v48 :: v_dual_lshlrev_b32 v53, 2, v54
	ds_load_b32 v53, v53
	s_wait_loadcnt_dscnt 0x0
	s_barrier_signal -1
	s_barrier_wait -1
	global_inv scope:SCOPE_SE
	ds_store_b32 v1, v56
	s_wait_loadcnt_dscnt 0x0
	s_barrier_signal -1
	s_barrier_wait -1
	global_inv scope:SCOPE_SE
	s_and_saveexec_b32 s7, s2
	s_cbranch_execz .LBB11_14
; %bb.11:                               ;   in Loop: Header=BB11_2 Depth=1
	v_dual_mov_b32 v54, v48 :: v_dual_mov_b32 v55, v43
	s_mov_b32 s8, 0
.LBB11_12:                              ;   Parent Loop BB11_2 Depth=1
                                        ; =>  This Inner Loop Header: Depth=2
	s_delay_alu instid0(VALU_DEP_1) | instskip(NEXT) | instid1(VALU_DEP_1)
	v_sub_nc_u32_e32 v56, v55, v54
	v_lshrrev_b32_e32 v56, 1, v56
	s_delay_alu instid0(VALU_DEP_1) | instskip(NEXT) | instid1(VALU_DEP_1)
	v_add_nc_u32_e32 v56, v56, v54
	v_not_b32_e32 v57, v56
	v_lshl_add_u32 v58, v56, 2, v18
	v_add_nc_u32_e32 v59, 1, v56
	s_delay_alu instid0(VALU_DEP_3)
	v_lshl_add_u32 v57, v57, 2, v37
	ds_load_b32 v58, v58
	ds_load_b32 v57, v57
	s_wait_dscnt 0x0
	v_cmp_lt_i32_e64 s6, v57, v58
	s_wait_alu 0xf1ff
	s_delay_alu instid0(VALU_DEP_1) | instskip(SKIP_1) | instid1(VALU_DEP_1)
	v_cndmask_b32_e64 v55, v55, v56, s6
	v_cndmask_b32_e64 v54, v59, v54, s6
	v_cmp_ge_i32_e64 s6, v54, v55
	s_or_b32 s8, s6, s8
	s_delay_alu instid0(SALU_CYCLE_1)
	s_and_not1_b32 exec_lo, exec_lo, s8
	s_cbranch_execnz .LBB11_12
; %bb.13:                               ;   in Loop: Header=BB11_2 Depth=1
	s_or_b32 exec_lo, exec_lo, s8
.LBB11_14:                              ;   in Loop: Header=BB11_2 Depth=1
	s_wait_alu 0xfffe
	s_or_b32 exec_lo, exec_lo, s7
	v_sub_nc_u32_e32 v55, v31, v54
	v_lshl_add_u32 v56, v54, 2, v18
	v_add_nc_u32_e32 v54, v54, v4
	s_delay_alu instid0(VALU_DEP_3) | instskip(SKIP_1) | instid1(VALU_DEP_3)
	v_lshlrev_b32_e32 v57, 2, v55
	v_cmp_gt_i32_e64 s8, v17, v55
	v_cmp_le_i32_e64 s6, v16, v54
	ds_load_b32 v56, v56
	ds_load_b32 v57, v57
	s_wait_loadcnt_dscnt 0x0
	s_barrier_signal -1
	s_barrier_wait -1
	global_inv scope:SCOPE_SE
	ds_store_b32 v1, v53
	s_wait_loadcnt_dscnt 0x0
	s_barrier_signal -1
	s_barrier_wait -1
	global_inv scope:SCOPE_SE
	v_cmp_lt_i32_e64 s7, v57, v56
	s_or_b32 s6, s6, s7
	s_wait_alu 0xfffe
	s_and_b32 s6, s8, s6
	s_wait_alu 0xfffe
	v_cndmask_b32_e64 v54, v54, v55, s6
	v_cndmask_b32_e64 v56, v56, v57, s6
	s_delay_alu instid0(VALU_DEP_2)
	v_dual_mov_b32 v54, v49 :: v_dual_lshlrev_b32 v53, 2, v54
	ds_load_b32 v53, v53
	s_wait_loadcnt_dscnt 0x0
	s_barrier_signal -1
	s_barrier_wait -1
	global_inv scope:SCOPE_SE
	ds_store_b32 v1, v56
	s_wait_loadcnt_dscnt 0x0
	s_barrier_signal -1
	s_barrier_wait -1
	global_inv scope:SCOPE_SE
	s_and_saveexec_b32 s7, s3
	s_cbranch_execz .LBB11_18
; %bb.15:                               ;   in Loop: Header=BB11_2 Depth=1
	v_dual_mov_b32 v54, v49 :: v_dual_mov_b32 v55, v44
	s_mov_b32 s8, 0
.LBB11_16:                              ;   Parent Loop BB11_2 Depth=1
                                        ; =>  This Inner Loop Header: Depth=2
	s_delay_alu instid0(VALU_DEP_1) | instskip(NEXT) | instid1(VALU_DEP_1)
	v_sub_nc_u32_e32 v56, v55, v54
	v_lshrrev_b32_e32 v56, 1, v56
	s_delay_alu instid0(VALU_DEP_1) | instskip(NEXT) | instid1(VALU_DEP_1)
	v_add_nc_u32_e32 v56, v56, v54
	v_not_b32_e32 v57, v56
	v_lshl_add_u32 v58, v56, 2, v21
	v_add_nc_u32_e32 v59, 1, v56
	s_delay_alu instid0(VALU_DEP_3)
	v_lshl_add_u32 v57, v57, 2, v38
	ds_load_b32 v58, v58
	ds_load_b32 v57, v57
	s_wait_dscnt 0x0
	v_cmp_lt_i32_e64 s6, v57, v58
	s_wait_alu 0xf1ff
	s_delay_alu instid0(VALU_DEP_1) | instskip(SKIP_1) | instid1(VALU_DEP_1)
	v_cndmask_b32_e64 v55, v55, v56, s6
	v_cndmask_b32_e64 v54, v59, v54, s6
	v_cmp_ge_i32_e64 s6, v54, v55
	s_or_b32 s8, s6, s8
	s_delay_alu instid0(SALU_CYCLE_1)
	s_and_not1_b32 exec_lo, exec_lo, s8
	s_cbranch_execnz .LBB11_16
; %bb.17:                               ;   in Loop: Header=BB11_2 Depth=1
	s_or_b32 exec_lo, exec_lo, s8
.LBB11_18:                              ;   in Loop: Header=BB11_2 Depth=1
	s_wait_alu 0xfffe
	s_or_b32 exec_lo, exec_lo, s7
	v_sub_nc_u32_e32 v55, v32, v54
	v_lshl_add_u32 v56, v54, 2, v21
	v_add_nc_u32_e32 v54, v54, v5
	s_delay_alu instid0(VALU_DEP_3) | instskip(SKIP_1) | instid1(VALU_DEP_3)
	v_lshlrev_b32_e32 v57, 2, v55
	v_cmp_gt_i32_e64 s8, v20, v55
	v_cmp_le_i32_e64 s6, v19, v54
	ds_load_b32 v56, v56
	ds_load_b32 v57, v57
	s_wait_loadcnt_dscnt 0x0
	s_barrier_signal -1
	s_barrier_wait -1
	global_inv scope:SCOPE_SE
	ds_store_b32 v1, v53
	s_wait_loadcnt_dscnt 0x0
	s_barrier_signal -1
	s_barrier_wait -1
	global_inv scope:SCOPE_SE
	v_cmp_lt_i32_e64 s7, v57, v56
	s_or_b32 s6, s6, s7
	s_wait_alu 0xfffe
	s_and_b32 s6, s8, s6
	s_wait_alu 0xfffe
	v_cndmask_b32_e64 v54, v54, v55, s6
	v_cndmask_b32_e64 v56, v56, v57, s6
	s_delay_alu instid0(VALU_DEP_2)
	v_dual_mov_b32 v54, v50 :: v_dual_lshlrev_b32 v53, 2, v54
	ds_load_b32 v53, v53
	s_wait_loadcnt_dscnt 0x0
	s_barrier_signal -1
	s_barrier_wait -1
	global_inv scope:SCOPE_SE
	ds_store_b32 v1, v56
	s_wait_loadcnt_dscnt 0x0
	s_barrier_signal -1
	s_barrier_wait -1
	global_inv scope:SCOPE_SE
	s_and_saveexec_b32 s7, s4
	s_cbranch_execz .LBB11_22
; %bb.19:                               ;   in Loop: Header=BB11_2 Depth=1
	v_dual_mov_b32 v54, v50 :: v_dual_mov_b32 v55, v45
	s_mov_b32 s8, 0
.LBB11_20:                              ;   Parent Loop BB11_2 Depth=1
                                        ; =>  This Inner Loop Header: Depth=2
	s_delay_alu instid0(VALU_DEP_1) | instskip(NEXT) | instid1(VALU_DEP_1)
	v_sub_nc_u32_e32 v56, v55, v54
	v_lshrrev_b32_e32 v56, 1, v56
	s_delay_alu instid0(VALU_DEP_1) | instskip(NEXT) | instid1(VALU_DEP_1)
	v_add_nc_u32_e32 v56, v56, v54
	v_not_b32_e32 v57, v56
	v_lshl_add_u32 v58, v56, 2, v24
	v_add_nc_u32_e32 v59, 1, v56
	s_delay_alu instid0(VALU_DEP_3)
	v_lshl_add_u32 v57, v57, 2, v39
	ds_load_b32 v58, v58
	ds_load_b32 v57, v57
	s_wait_dscnt 0x0
	v_cmp_lt_i32_e64 s6, v57, v58
	s_wait_alu 0xf1ff
	s_delay_alu instid0(VALU_DEP_1) | instskip(SKIP_1) | instid1(VALU_DEP_1)
	v_cndmask_b32_e64 v55, v55, v56, s6
	v_cndmask_b32_e64 v54, v59, v54, s6
	v_cmp_ge_i32_e64 s6, v54, v55
	s_or_b32 s8, s6, s8
	s_delay_alu instid0(SALU_CYCLE_1)
	s_and_not1_b32 exec_lo, exec_lo, s8
	s_cbranch_execnz .LBB11_20
; %bb.21:                               ;   in Loop: Header=BB11_2 Depth=1
	s_or_b32 exec_lo, exec_lo, s8
.LBB11_22:                              ;   in Loop: Header=BB11_2 Depth=1
	s_wait_alu 0xfffe
	s_or_b32 exec_lo, exec_lo, s7
	v_sub_nc_u32_e32 v55, v33, v54
	v_lshl_add_u32 v56, v54, 2, v24
	v_add_nc_u32_e32 v54, v54, v6
	s_delay_alu instid0(VALU_DEP_3) | instskip(SKIP_1) | instid1(VALU_DEP_3)
	v_lshlrev_b32_e32 v57, 2, v55
	v_cmp_gt_i32_e64 s8, v23, v55
	v_cmp_le_i32_e64 s6, v22, v54
	ds_load_b32 v56, v56
	ds_load_b32 v57, v57
	s_wait_loadcnt_dscnt 0x0
	s_barrier_signal -1
	s_barrier_wait -1
	global_inv scope:SCOPE_SE
	ds_store_b32 v1, v53
	s_wait_loadcnt_dscnt 0x0
	s_barrier_signal -1
	s_barrier_wait -1
	global_inv scope:SCOPE_SE
	v_cmp_lt_i32_e64 s7, v57, v56
	s_or_b32 s6, s6, s7
	s_wait_alu 0xfffe
	s_and_b32 s6, s8, s6
	s_wait_alu 0xfffe
	v_cndmask_b32_e64 v54, v54, v55, s6
	v_cndmask_b32_e64 v56, v56, v57, s6
	s_delay_alu instid0(VALU_DEP_2)
	v_dual_mov_b32 v54, v51 :: v_dual_lshlrev_b32 v53, 2, v54
	ds_load_b32 v53, v53
	s_wait_loadcnt_dscnt 0x0
	s_barrier_signal -1
	s_barrier_wait -1
	global_inv scope:SCOPE_SE
	ds_store_b32 v1, v56
	s_wait_loadcnt_dscnt 0x0
	s_barrier_signal -1
	s_barrier_wait -1
	global_inv scope:SCOPE_SE
	s_and_saveexec_b32 s7, s5
	s_cbranch_execz .LBB11_26
; %bb.23:                               ;   in Loop: Header=BB11_2 Depth=1
	v_dual_mov_b32 v54, v51 :: v_dual_mov_b32 v55, v46
	s_mov_b32 s8, 0
.LBB11_24:                              ;   Parent Loop BB11_2 Depth=1
                                        ; =>  This Inner Loop Header: Depth=2
	s_delay_alu instid0(VALU_DEP_1) | instskip(NEXT) | instid1(VALU_DEP_1)
	v_sub_nc_u32_e32 v56, v55, v54
	v_lshrrev_b32_e32 v56, 1, v56
	s_delay_alu instid0(VALU_DEP_1) | instskip(NEXT) | instid1(VALU_DEP_1)
	v_add_nc_u32_e32 v56, v56, v54
	v_not_b32_e32 v57, v56
	v_lshl_add_u32 v58, v56, 2, v27
	v_add_nc_u32_e32 v59, 1, v56
	s_delay_alu instid0(VALU_DEP_3)
	v_lshl_add_u32 v57, v57, 2, v40
	ds_load_b32 v58, v58
	ds_load_b32 v57, v57
	s_wait_dscnt 0x0
	v_cmp_lt_i32_e64 s6, v57, v58
	s_wait_alu 0xf1ff
	s_delay_alu instid0(VALU_DEP_1) | instskip(SKIP_1) | instid1(VALU_DEP_1)
	v_cndmask_b32_e64 v55, v55, v56, s6
	v_cndmask_b32_e64 v54, v59, v54, s6
	v_cmp_ge_i32_e64 s6, v54, v55
	s_or_b32 s8, s6, s8
	s_delay_alu instid0(SALU_CYCLE_1)
	s_and_not1_b32 exec_lo, exec_lo, s8
	s_cbranch_execnz .LBB11_24
; %bb.25:                               ;   in Loop: Header=BB11_2 Depth=1
	s_or_b32 exec_lo, exec_lo, s8
.LBB11_26:                              ;   in Loop: Header=BB11_2 Depth=1
	s_wait_alu 0xfffe
	s_or_b32 exec_lo, exec_lo, s7
	v_sub_nc_u32_e32 v55, v34, v54
	v_lshl_add_u32 v56, v54, 2, v27
	v_add_nc_u32_e32 v54, v54, v7
	s_delay_alu instid0(VALU_DEP_3) | instskip(SKIP_1) | instid1(VALU_DEP_3)
	v_lshlrev_b32_e32 v57, 2, v55
	v_cmp_gt_i32_e64 s8, v26, v55
	v_cmp_le_i32_e64 s6, v25, v54
	ds_load_b32 v56, v56
	ds_load_b32 v57, v57
	s_wait_loadcnt_dscnt 0x0
	s_barrier_signal -1
	s_barrier_wait -1
	global_inv scope:SCOPE_SE
	ds_store_b32 v1, v53
	s_wait_loadcnt_dscnt 0x0
	s_barrier_signal -1
	s_barrier_wait -1
	global_inv scope:SCOPE_SE
	v_cmp_lt_i32_e64 s7, v57, v56
	s_or_b32 s6, s6, s7
	s_wait_alu 0xfffe
	s_and_b32 s6, s8, s6
	s_wait_alu 0xfffe
	v_cndmask_b32_e64 v54, v54, v55, s6
	v_cndmask_b32_e64 v56, v56, v57, s6
	v_mov_b32_e32 v55, v8
	s_delay_alu instid0(VALU_DEP_3)
	v_lshlrev_b32_e32 v53, 2, v54
	ds_load_b32 v54, v53
	s_wait_loadcnt_dscnt 0x0
	s_barrier_signal -1
	s_barrier_wait -1
	global_inv scope:SCOPE_SE
	ds_store_b32 v1, v56
	s_wait_loadcnt_dscnt 0x0
	s_barrier_signal -1
	s_barrier_wait -1
	global_inv scope:SCOPE_SE
	s_and_saveexec_b32 s7, vcc_lo
	s_cbranch_execz .LBB11_1
; %bb.27:                               ;   in Loop: Header=BB11_2 Depth=1
	v_mov_b32_e32 v55, v8
	v_mov_b32_e32 v53, v9
	s_mov_b32 s8, 0
.LBB11_28:                              ;   Parent Loop BB11_2 Depth=1
                                        ; =>  This Inner Loop Header: Depth=2
	s_delay_alu instid0(VALU_DEP_1) | instskip(NEXT) | instid1(VALU_DEP_1)
	v_sub_nc_u32_e32 v56, v53, v55
	v_lshrrev_b32_e32 v56, 1, v56
	s_delay_alu instid0(VALU_DEP_1) | instskip(NEXT) | instid1(VALU_DEP_1)
	v_add_nc_u32_e32 v56, v56, v55
	v_not_b32_e32 v57, v56
	v_lshlrev_b32_e32 v58, 2, v56
	v_add_nc_u32_e32 v59, 1, v56
	s_delay_alu instid0(VALU_DEP_3)
	v_lshl_add_u32 v57, v57, 2, v52
	ds_load_b32 v58, v58
	ds_load_b32 v57, v57
	s_wait_dscnt 0x0
	v_cmp_lt_i32_e64 s6, v57, v58
	s_wait_alu 0xf1ff
	s_delay_alu instid0(VALU_DEP_1) | instskip(SKIP_1) | instid1(VALU_DEP_1)
	v_cndmask_b32_e64 v53, v53, v56, s6
	v_cndmask_b32_e64 v55, v59, v55, s6
	v_cmp_ge_i32_e64 s6, v55, v53
	s_or_b32 s8, s6, s8
	s_delay_alu instid0(SALU_CYCLE_1)
	s_and_not1_b32 exec_lo, exec_lo, s8
	s_cbranch_execnz .LBB11_28
; %bb.29:                               ;   in Loop: Header=BB11_2 Depth=1
	s_or_b32 exec_lo, exec_lo, s8
	s_branch .LBB11_1
.LBB11_30:
	s_wait_dscnt 0x0
	v_add_nc_u32_e32 v1, v53, v54
	v_lshlrev_b32_e32 v0, 2, v0
	s_add_nc_u64 s[0:1], s[10:11], s[14:15]
	global_store_b32 v0, v1, s[0:1]
	s_endpgm
	.section	.rodata,"a",@progbits
	.p2align	6, 0x0
	.amdhsa_kernel _Z17sort_pairs_kernelIiLj128ELj1EN10test_utils4lessELj10EEvPKT_PS2_T2_
		.amdhsa_group_segment_fixed_size 516
		.amdhsa_private_segment_fixed_size 0
		.amdhsa_kernarg_size 20
		.amdhsa_user_sgpr_count 2
		.amdhsa_user_sgpr_dispatch_ptr 0
		.amdhsa_user_sgpr_queue_ptr 0
		.amdhsa_user_sgpr_kernarg_segment_ptr 1
		.amdhsa_user_sgpr_dispatch_id 0
		.amdhsa_user_sgpr_private_segment_size 0
		.amdhsa_wavefront_size32 1
		.amdhsa_uses_dynamic_stack 0
		.amdhsa_enable_private_segment 0
		.amdhsa_system_sgpr_workgroup_id_x 1
		.amdhsa_system_sgpr_workgroup_id_y 0
		.amdhsa_system_sgpr_workgroup_id_z 0
		.amdhsa_system_sgpr_workgroup_info 0
		.amdhsa_system_vgpr_workitem_id 0
		.amdhsa_next_free_vgpr 64
		.amdhsa_next_free_sgpr 16
		.amdhsa_reserve_vcc 1
		.amdhsa_float_round_mode_32 0
		.amdhsa_float_round_mode_16_64 0
		.amdhsa_float_denorm_mode_32 3
		.amdhsa_float_denorm_mode_16_64 3
		.amdhsa_fp16_overflow 0
		.amdhsa_workgroup_processor_mode 1
		.amdhsa_memory_ordered 1
		.amdhsa_forward_progress 1
		.amdhsa_inst_pref_size 26
		.amdhsa_round_robin_scheduling 0
		.amdhsa_exception_fp_ieee_invalid_op 0
		.amdhsa_exception_fp_denorm_src 0
		.amdhsa_exception_fp_ieee_div_zero 0
		.amdhsa_exception_fp_ieee_overflow 0
		.amdhsa_exception_fp_ieee_underflow 0
		.amdhsa_exception_fp_ieee_inexact 0
		.amdhsa_exception_int_div_zero 0
	.end_amdhsa_kernel
	.section	.text._Z17sort_pairs_kernelIiLj128ELj1EN10test_utils4lessELj10EEvPKT_PS2_T2_,"axG",@progbits,_Z17sort_pairs_kernelIiLj128ELj1EN10test_utils4lessELj10EEvPKT_PS2_T2_,comdat
.Lfunc_end11:
	.size	_Z17sort_pairs_kernelIiLj128ELj1EN10test_utils4lessELj10EEvPKT_PS2_T2_, .Lfunc_end11-_Z17sort_pairs_kernelIiLj128ELj1EN10test_utils4lessELj10EEvPKT_PS2_T2_
                                        ; -- End function
	.set _Z17sort_pairs_kernelIiLj128ELj1EN10test_utils4lessELj10EEvPKT_PS2_T2_.num_vgpr, 64
	.set _Z17sort_pairs_kernelIiLj128ELj1EN10test_utils4lessELj10EEvPKT_PS2_T2_.num_agpr, 0
	.set _Z17sort_pairs_kernelIiLj128ELj1EN10test_utils4lessELj10EEvPKT_PS2_T2_.numbered_sgpr, 16
	.set _Z17sort_pairs_kernelIiLj128ELj1EN10test_utils4lessELj10EEvPKT_PS2_T2_.num_named_barrier, 0
	.set _Z17sort_pairs_kernelIiLj128ELj1EN10test_utils4lessELj10EEvPKT_PS2_T2_.private_seg_size, 0
	.set _Z17sort_pairs_kernelIiLj128ELj1EN10test_utils4lessELj10EEvPKT_PS2_T2_.uses_vcc, 1
	.set _Z17sort_pairs_kernelIiLj128ELj1EN10test_utils4lessELj10EEvPKT_PS2_T2_.uses_flat_scratch, 0
	.set _Z17sort_pairs_kernelIiLj128ELj1EN10test_utils4lessELj10EEvPKT_PS2_T2_.has_dyn_sized_stack, 0
	.set _Z17sort_pairs_kernelIiLj128ELj1EN10test_utils4lessELj10EEvPKT_PS2_T2_.has_recursion, 0
	.set _Z17sort_pairs_kernelIiLj128ELj1EN10test_utils4lessELj10EEvPKT_PS2_T2_.has_indirect_call, 0
	.section	.AMDGPU.csdata,"",@progbits
; Kernel info:
; codeLenInByte = 3288
; TotalNumSgprs: 18
; NumVgprs: 64
; ScratchSize: 0
; MemoryBound: 0
; FloatMode: 240
; IeeeMode: 1
; LDSByteSize: 516 bytes/workgroup (compile time only)
; SGPRBlocks: 0
; VGPRBlocks: 7
; NumSGPRsForWavesPerEU: 18
; NumVGPRsForWavesPerEU: 64
; Occupancy: 16
; WaveLimiterHint : 0
; COMPUTE_PGM_RSRC2:SCRATCH_EN: 0
; COMPUTE_PGM_RSRC2:USER_SGPR: 2
; COMPUTE_PGM_RSRC2:TRAP_HANDLER: 0
; COMPUTE_PGM_RSRC2:TGID_X_EN: 1
; COMPUTE_PGM_RSRC2:TGID_Y_EN: 0
; COMPUTE_PGM_RSRC2:TGID_Z_EN: 0
; COMPUTE_PGM_RSRC2:TIDIG_COMP_CNT: 0
	.section	.text._Z16sort_keys_kernelIiLj128ELj2EN10test_utils4lessELj10EEvPKT_PS2_T2_,"axG",@progbits,_Z16sort_keys_kernelIiLj128ELj2EN10test_utils4lessELj10EEvPKT_PS2_T2_,comdat
	.protected	_Z16sort_keys_kernelIiLj128ELj2EN10test_utils4lessELj10EEvPKT_PS2_T2_ ; -- Begin function _Z16sort_keys_kernelIiLj128ELj2EN10test_utils4lessELj10EEvPKT_PS2_T2_
	.globl	_Z16sort_keys_kernelIiLj128ELj2EN10test_utils4lessELj10EEvPKT_PS2_T2_
	.p2align	8
	.type	_Z16sort_keys_kernelIiLj128ELj2EN10test_utils4lessELj10EEvPKT_PS2_T2_,@function
_Z16sort_keys_kernelIiLj128ELj2EN10test_utils4lessELj10EEvPKT_PS2_T2_: ; @_Z16sort_keys_kernelIiLj128ELj2EN10test_utils4lessELj10EEvPKT_PS2_T2_
; %bb.0:
	s_load_b128 s[8:11], s[0:1], 0x0
	s_lshl_b32 s12, ttmp9, 8
	s_mov_b32 s13, 0
	v_lshlrev_b32_e32 v1, 2, v0
	s_lshl_b64 s[14:15], s[12:13], 2
	v_lshlrev_b32_e32 v46, 1, v0
	v_lshlrev_b32_e32 v5, 3, v0
	s_delay_alu instid0(VALU_DEP_2)
	v_and_b32_e32 v18, 0xe0, v46
	v_and_b32_e32 v50, 30, v46
	;; [unrolled: 1-line block ×5, first 2 shown]
	v_or_b32_e32 v20, 16, v18
	v_add_nc_u32_e32 v21, 32, v18
	v_or_b32_e32 v6, 4, v4
	v_add_nc_u32_e32 v7, 8, v4
	v_or_b32_e32 v13, 8, v11
	s_wait_kmcnt 0x0
	s_add_nc_u64 s[0:1], s[8:9], s[14:15]
	v_sub_nc_u32_e32 v29, v21, v20
	s_clause 0x1
	global_load_b32 v54, v1, s[0:1]
	global_load_b32 v55, v1, s[0:1] offset:512
	v_and_b32_e32 v1, 0xfc, v46
	v_add_nc_u32_e32 v14, 16, v11
	v_or_b32_e32 v27, 32, v25
	v_sub_nc_u32_e32 v30, v50, v29
	v_cmp_ge_i32_e64 s2, v50, v29
	v_or_b32_e32 v2, 2, v1
	v_add_nc_u32_e32 v3, 4, v1
	v_add_nc_u32_e32 v28, 64, v25
	v_and_b32_e32 v45, 2, v46
	v_cndmask_b32_e64 v29, 0, v30, s2
	v_and_b32_e32 v30, 0x80, v46
	v_sub_nc_u32_e32 v8, v3, v2
	v_and_b32_e32 v48, 6, v46
	v_sub_nc_u32_e32 v15, v7, v6
	v_and_b32_e32 v49, 14, v46
	v_or_b32_e32 v33, 64, v30
	v_add_nc_u32_e32 v34, 0x80, v30
	v_sub_nc_u32_e32 v22, v14, v13
	v_and_b32_e32 v51, 62, v46
	v_sub_nc_u32_e32 v35, v28, v27
	v_and_b32_e32 v52, 0x7e, v46
	v_sub_nc_u32_e32 v40, v34, v33
	v_sub_nc_u32_e32 v9, v45, v8
	;; [unrolled: 1-line block ×3, first 2 shown]
	v_cmp_ge_i32_e32 vcc_lo, v45, v8
	v_sub_nc_u32_e32 v16, v48, v15
	v_sub_nc_u32_e32 v17, v6, v4
	v_cmp_ge_i32_e64 s0, v48, v15
	v_sub_nc_u32_e32 v23, v49, v22
	v_sub_nc_u32_e32 v24, v13, v11
	v_cmp_ge_i32_e64 s1, v49, v22
	v_sub_nc_u32_e32 v31, v20, v18
	v_sub_nc_u32_e32 v36, v51, v35
	;; [unrolled: 1-line block ×3, first 2 shown]
	v_cmp_ge_i32_e64 s3, v51, v35
	v_sub_nc_u32_e32 v41, v52, v40
	v_sub_nc_u32_e32 v42, v33, v30
	v_cmp_ge_i32_e64 s4, v52, v40
	v_cndmask_b32_e32 v8, 0, v9, vcc_lo
	v_min_i32_e32 v9, v45, v10
	v_add_nc_u32_e32 v12, v2, v45
	v_cndmask_b32_e64 v15, 0, v16, s0
	v_min_i32_e32 v16, v48, v17
	v_add_nc_u32_e32 v19, v6, v48
	v_cndmask_b32_e64 v22, 0, v23, s1
	v_min_i32_e32 v23, v49, v24
	v_add_nc_u32_e32 v26, v13, v49
	v_min_i32_e32 v31, v50, v31
	s_wait_alu 0xf1ff
	v_cndmask_b32_e64 v35, 0, v36, s3
	v_min_i32_e32 v36, v51, v37
	v_add_nc_u32_e32 v37, v20, v50
	v_add_nc_u32_e32 v39, v27, v51
	v_cndmask_b32_e64 v40, 0, v41, s4
	v_min_i32_e32 v41, v52, v42
	v_subrev_nc_u32_e64 v42, 0x80, v46 clamp
	v_min_i32_e32 v43, 0x80, v46
	v_lshlrev_b32_e32 v47, 2, v45
	v_add_nc_u32_e32 v45, v33, v52
	v_lshlrev_b32_e32 v48, 2, v48
	v_lshlrev_b32_e32 v49, 2, v49
	;; [unrolled: 1-line block ×7, first 2 shown]
	v_cmp_lt_i32_e64 s0, v15, v16
	v_lshlrev_b32_e32 v24, 2, v11
	v_cmp_lt_i32_e64 s1, v22, v23
	v_lshlrev_b32_e32 v32, 2, v18
	;; [unrolled: 2-line block ×4, first 2 shown]
	v_cmp_lt_i32_e64 s4, v40, v41
	v_cmp_lt_i32_e64 s5, v42, v43
	v_add_nc_u32_e32 v46, 0x80, v46
	v_lshl_add_u32 v47, v2, 2, v47
	v_lshl_add_u32 v48, v6, 2, v48
	;; [unrolled: 1-line block ×6, first 2 shown]
	v_add_nc_u32_e32 v53, 0x200, v5
	v_cmp_lt_i32_e32 vcc_lo, v8, v9
	s_branch .LBB12_2
.LBB12_1:                               ;   in Loop: Header=BB12_2 Depth=1
	s_or_b32 exec_lo, exec_lo, s7
	v_cmp_le_i32_e64 s7, 0x80, v54
	s_wait_dscnt 0x0
	v_cmp_lt_i32_e64 s8, v60, v58
	v_cmp_gt_i32_e64 s9, 0x100, v55
	v_cndmask_b32_e64 v54, v56, v57, s6
	s_add_co_i32 s13, s13, 1
	s_or_b32 s7, s7, s8
	s_wait_alu 0xfffe
	s_and_b32 s6, s9, s7
	s_cmp_eq_u32 s13, 10
	s_wait_alu 0xfffe
	v_cndmask_b32_e64 v55, v58, v60, s6
	s_cbranch_scc1 .LBB12_58
.LBB12_2:                               ; =>This Loop Header: Depth=1
                                        ;     Child Loop BB12_4 Depth 2
                                        ;     Child Loop BB12_12 Depth 2
	;; [unrolled: 1-line block ×7, first 2 shown]
	s_wait_loadcnt 0x0
	s_delay_alu instid0(VALU_DEP_1)
	v_cmp_lt_i32_e64 s6, v55, v54
	s_barrier_signal -1
	s_barrier_wait -1
	global_inv scope:SCOPE_SE
	s_wait_alu 0xf1ff
	v_cndmask_b32_e64 v56, v55, v54, s6
	v_cndmask_b32_e64 v55, v54, v55, s6
	v_mov_b32_e32 v54, v8
	ds_store_2addr_b32 v5, v55, v56 offset1:1
	s_wait_loadcnt_dscnt 0x0
	s_barrier_signal -1
	s_barrier_wait -1
	global_inv scope:SCOPE_SE
	s_and_saveexec_b32 s7, vcc_lo
	s_cbranch_execz .LBB12_6
; %bb.3:                                ;   in Loop: Header=BB12_2 Depth=1
	v_dual_mov_b32 v54, v8 :: v_dual_mov_b32 v55, v9
	s_mov_b32 s8, 0
.LBB12_4:                               ;   Parent Loop BB12_2 Depth=1
                                        ; =>  This Inner Loop Header: Depth=2
	s_delay_alu instid0(VALU_DEP_1) | instskip(NEXT) | instid1(VALU_DEP_1)
	v_sub_nc_u32_e32 v56, v55, v54
	v_lshrrev_b32_e32 v56, 1, v56
	s_delay_alu instid0(VALU_DEP_1) | instskip(NEXT) | instid1(VALU_DEP_1)
	v_add_nc_u32_e32 v56, v56, v54
	v_not_b32_e32 v57, v56
	v_lshl_add_u32 v58, v56, 2, v10
	v_add_nc_u32_e32 v59, 1, v56
	s_delay_alu instid0(VALU_DEP_3)
	v_lshl_add_u32 v57, v57, 2, v47
	ds_load_b32 v58, v58
	ds_load_b32 v57, v57
	s_wait_dscnt 0x0
	v_cmp_lt_i32_e64 s6, v57, v58
	s_wait_alu 0xf1ff
	s_delay_alu instid0(VALU_DEP_1) | instskip(SKIP_1) | instid1(VALU_DEP_1)
	v_cndmask_b32_e64 v55, v55, v56, s6
	v_cndmask_b32_e64 v54, v59, v54, s6
	v_cmp_ge_i32_e64 s6, v54, v55
	s_or_b32 s8, s6, s8
	s_delay_alu instid0(SALU_CYCLE_1)
	s_and_not1_b32 exec_lo, exec_lo, s8
	s_cbranch_execnz .LBB12_4
; %bb.5:                                ;   in Loop: Header=BB12_2 Depth=1
	s_or_b32 exec_lo, exec_lo, s8
.LBB12_6:                               ;   in Loop: Header=BB12_2 Depth=1
	s_wait_alu 0xfffe
	s_or_b32 exec_lo, exec_lo, s7
	v_sub_nc_u32_e32 v57, v12, v54
	v_lshl_add_u32 v60, v54, 2, v10
	v_add_nc_u32_e32 v58, v54, v1
                                        ; implicit-def: $vgpr54
	s_delay_alu instid0(VALU_DEP_3) | instskip(SKIP_1) | instid1(VALU_DEP_3)
	v_lshlrev_b32_e32 v59, 2, v57
	v_cmp_gt_i32_e64 s8, v3, v57
	v_cmp_le_i32_e64 s6, v2, v58
	ds_load_b32 v55, v60
	ds_load_b32 v56, v59
	s_wait_dscnt 0x0
	v_cmp_lt_i32_e64 s7, v56, v55
	s_or_b32 s6, s6, s7
	s_wait_alu 0xfffe
	s_and_b32 s6, s8, s6
	s_wait_alu 0xfffe
	s_xor_b32 s7, s6, -1
	s_wait_alu 0xfffe
	s_and_saveexec_b32 s8, s7
	s_delay_alu instid0(SALU_CYCLE_1)
	s_xor_b32 s7, exec_lo, s8
; %bb.7:                                ;   in Loop: Header=BB12_2 Depth=1
	ds_load_b32 v54, v60 offset:4
                                        ; implicit-def: $vgpr59
; %bb.8:                                ;   in Loop: Header=BB12_2 Depth=1
	s_wait_alu 0xfffe
	s_or_saveexec_b32 s7, s7
	v_mov_b32_e32 v60, v56
	s_wait_alu 0xfffe
	s_xor_b32 exec_lo, exec_lo, s7
	s_cbranch_execz .LBB12_10
; %bb.9:                                ;   in Loop: Header=BB12_2 Depth=1
	ds_load_b32 v60, v59 offset:4
	s_wait_dscnt 0x1
	v_mov_b32_e32 v54, v55
.LBB12_10:                              ;   in Loop: Header=BB12_2 Depth=1
	s_or_b32 exec_lo, exec_lo, s7
	v_add_nc_u32_e32 v59, 1, v58
	v_add_nc_u32_e32 v61, 1, v57
	s_wait_dscnt 0x0
	v_cmp_lt_i32_e64 s7, v60, v54
	v_cndmask_b32_e64 v55, v55, v56, s6
	s_wait_loadcnt 0x0
	v_cndmask_b32_e64 v58, v59, v58, s6
	v_cndmask_b32_e64 v57, v57, v61, s6
	s_barrier_signal -1
	s_barrier_wait -1
	global_inv scope:SCOPE_SE
	v_cmp_ge_i32_e64 s8, v58, v2
	v_cmp_lt_i32_e64 s9, v57, v3
	s_or_b32 s6, s8, s7
	s_wait_alu 0xfffe
	s_and_b32 s6, s9, s6
	s_wait_alu 0xfffe
	v_cndmask_b32_e64 v56, v54, v60, s6
	v_mov_b32_e32 v54, v15
	ds_store_2addr_b32 v5, v55, v56 offset1:1
	s_wait_loadcnt_dscnt 0x0
	s_barrier_signal -1
	s_barrier_wait -1
	global_inv scope:SCOPE_SE
	s_and_saveexec_b32 s7, s0
	s_cbranch_execz .LBB12_14
; %bb.11:                               ;   in Loop: Header=BB12_2 Depth=1
	v_dual_mov_b32 v54, v15 :: v_dual_mov_b32 v55, v16
	s_mov_b32 s8, 0
.LBB12_12:                              ;   Parent Loop BB12_2 Depth=1
                                        ; =>  This Inner Loop Header: Depth=2
	s_delay_alu instid0(VALU_DEP_1) | instskip(NEXT) | instid1(VALU_DEP_1)
	v_sub_nc_u32_e32 v56, v55, v54
	v_lshrrev_b32_e32 v56, 1, v56
	s_delay_alu instid0(VALU_DEP_1) | instskip(NEXT) | instid1(VALU_DEP_1)
	v_add_nc_u32_e32 v56, v56, v54
	v_not_b32_e32 v57, v56
	v_lshl_add_u32 v58, v56, 2, v17
	v_add_nc_u32_e32 v59, 1, v56
	s_delay_alu instid0(VALU_DEP_3)
	v_lshl_add_u32 v57, v57, 2, v48
	ds_load_b32 v58, v58
	ds_load_b32 v57, v57
	s_wait_dscnt 0x0
	v_cmp_lt_i32_e64 s6, v57, v58
	s_wait_alu 0xf1ff
	s_delay_alu instid0(VALU_DEP_1) | instskip(SKIP_1) | instid1(VALU_DEP_1)
	v_cndmask_b32_e64 v55, v55, v56, s6
	v_cndmask_b32_e64 v54, v59, v54, s6
	v_cmp_ge_i32_e64 s6, v54, v55
	s_or_b32 s8, s6, s8
	s_delay_alu instid0(SALU_CYCLE_1)
	s_and_not1_b32 exec_lo, exec_lo, s8
	s_cbranch_execnz .LBB12_12
; %bb.13:                               ;   in Loop: Header=BB12_2 Depth=1
	s_or_b32 exec_lo, exec_lo, s8
.LBB12_14:                              ;   in Loop: Header=BB12_2 Depth=1
	s_wait_alu 0xfffe
	s_or_b32 exec_lo, exec_lo, s7
	v_sub_nc_u32_e32 v57, v19, v54
	v_lshl_add_u32 v60, v54, 2, v17
	v_add_nc_u32_e32 v58, v54, v4
                                        ; implicit-def: $vgpr54
	s_delay_alu instid0(VALU_DEP_3) | instskip(SKIP_1) | instid1(VALU_DEP_3)
	v_lshlrev_b32_e32 v59, 2, v57
	v_cmp_gt_i32_e64 s8, v7, v57
	v_cmp_le_i32_e64 s6, v6, v58
	ds_load_b32 v55, v60
	ds_load_b32 v56, v59
	s_wait_dscnt 0x0
	v_cmp_lt_i32_e64 s7, v56, v55
	s_or_b32 s6, s6, s7
	s_wait_alu 0xfffe
	s_and_b32 s6, s8, s6
	s_wait_alu 0xfffe
	s_xor_b32 s7, s6, -1
	s_wait_alu 0xfffe
	s_and_saveexec_b32 s8, s7
	s_delay_alu instid0(SALU_CYCLE_1)
	s_xor_b32 s7, exec_lo, s8
; %bb.15:                               ;   in Loop: Header=BB12_2 Depth=1
	ds_load_b32 v54, v60 offset:4
                                        ; implicit-def: $vgpr59
; %bb.16:                               ;   in Loop: Header=BB12_2 Depth=1
	s_wait_alu 0xfffe
	s_or_saveexec_b32 s7, s7
	v_mov_b32_e32 v60, v56
	s_wait_alu 0xfffe
	s_xor_b32 exec_lo, exec_lo, s7
	s_cbranch_execz .LBB12_18
; %bb.17:                               ;   in Loop: Header=BB12_2 Depth=1
	ds_load_b32 v60, v59 offset:4
	s_wait_dscnt 0x1
	v_mov_b32_e32 v54, v55
.LBB12_18:                              ;   in Loop: Header=BB12_2 Depth=1
	s_or_b32 exec_lo, exec_lo, s7
	v_add_nc_u32_e32 v59, 1, v58
	v_add_nc_u32_e32 v61, 1, v57
	s_wait_dscnt 0x0
	v_cmp_lt_i32_e64 s7, v60, v54
	v_cndmask_b32_e64 v55, v55, v56, s6
	s_wait_loadcnt 0x0
	v_cndmask_b32_e64 v58, v59, v58, s6
	v_cndmask_b32_e64 v57, v57, v61, s6
	s_barrier_signal -1
	s_barrier_wait -1
	global_inv scope:SCOPE_SE
	v_cmp_ge_i32_e64 s8, v58, v6
	v_cmp_lt_i32_e64 s9, v57, v7
	s_or_b32 s6, s8, s7
	s_wait_alu 0xfffe
	s_and_b32 s6, s9, s6
	s_wait_alu 0xfffe
	v_cndmask_b32_e64 v56, v54, v60, s6
	v_mov_b32_e32 v54, v22
	ds_store_2addr_b32 v5, v55, v56 offset1:1
	s_wait_loadcnt_dscnt 0x0
	s_barrier_signal -1
	s_barrier_wait -1
	global_inv scope:SCOPE_SE
	s_and_saveexec_b32 s7, s1
	s_cbranch_execz .LBB12_22
; %bb.19:                               ;   in Loop: Header=BB12_2 Depth=1
	v_dual_mov_b32 v54, v22 :: v_dual_mov_b32 v55, v23
	s_mov_b32 s8, 0
.LBB12_20:                              ;   Parent Loop BB12_2 Depth=1
                                        ; =>  This Inner Loop Header: Depth=2
	s_delay_alu instid0(VALU_DEP_1) | instskip(NEXT) | instid1(VALU_DEP_1)
	v_sub_nc_u32_e32 v56, v55, v54
	v_lshrrev_b32_e32 v56, 1, v56
	s_delay_alu instid0(VALU_DEP_1) | instskip(NEXT) | instid1(VALU_DEP_1)
	v_add_nc_u32_e32 v56, v56, v54
	v_not_b32_e32 v57, v56
	v_lshl_add_u32 v58, v56, 2, v24
	v_add_nc_u32_e32 v59, 1, v56
	s_delay_alu instid0(VALU_DEP_3)
	v_lshl_add_u32 v57, v57, 2, v49
	ds_load_b32 v58, v58
	ds_load_b32 v57, v57
	s_wait_dscnt 0x0
	v_cmp_lt_i32_e64 s6, v57, v58
	s_wait_alu 0xf1ff
	s_delay_alu instid0(VALU_DEP_1) | instskip(SKIP_1) | instid1(VALU_DEP_1)
	v_cndmask_b32_e64 v55, v55, v56, s6
	v_cndmask_b32_e64 v54, v59, v54, s6
	v_cmp_ge_i32_e64 s6, v54, v55
	s_or_b32 s8, s6, s8
	s_delay_alu instid0(SALU_CYCLE_1)
	s_and_not1_b32 exec_lo, exec_lo, s8
	s_cbranch_execnz .LBB12_20
; %bb.21:                               ;   in Loop: Header=BB12_2 Depth=1
	s_or_b32 exec_lo, exec_lo, s8
.LBB12_22:                              ;   in Loop: Header=BB12_2 Depth=1
	s_wait_alu 0xfffe
	s_or_b32 exec_lo, exec_lo, s7
	v_sub_nc_u32_e32 v57, v26, v54
	v_lshl_add_u32 v60, v54, 2, v24
	v_add_nc_u32_e32 v58, v54, v11
                                        ; implicit-def: $vgpr54
	s_delay_alu instid0(VALU_DEP_3) | instskip(SKIP_1) | instid1(VALU_DEP_3)
	v_lshlrev_b32_e32 v59, 2, v57
	v_cmp_gt_i32_e64 s8, v14, v57
	v_cmp_le_i32_e64 s6, v13, v58
	ds_load_b32 v55, v60
	ds_load_b32 v56, v59
	s_wait_dscnt 0x0
	v_cmp_lt_i32_e64 s7, v56, v55
	s_or_b32 s6, s6, s7
	s_wait_alu 0xfffe
	s_and_b32 s6, s8, s6
	s_wait_alu 0xfffe
	s_xor_b32 s7, s6, -1
	s_wait_alu 0xfffe
	s_and_saveexec_b32 s8, s7
	s_delay_alu instid0(SALU_CYCLE_1)
	s_xor_b32 s7, exec_lo, s8
; %bb.23:                               ;   in Loop: Header=BB12_2 Depth=1
	ds_load_b32 v54, v60 offset:4
                                        ; implicit-def: $vgpr59
; %bb.24:                               ;   in Loop: Header=BB12_2 Depth=1
	s_wait_alu 0xfffe
	s_or_saveexec_b32 s7, s7
	v_mov_b32_e32 v60, v56
	s_wait_alu 0xfffe
	s_xor_b32 exec_lo, exec_lo, s7
	s_cbranch_execz .LBB12_26
; %bb.25:                               ;   in Loop: Header=BB12_2 Depth=1
	ds_load_b32 v60, v59 offset:4
	s_wait_dscnt 0x1
	v_mov_b32_e32 v54, v55
.LBB12_26:                              ;   in Loop: Header=BB12_2 Depth=1
	s_or_b32 exec_lo, exec_lo, s7
	v_add_nc_u32_e32 v59, 1, v58
	v_add_nc_u32_e32 v61, 1, v57
	s_wait_dscnt 0x0
	v_cmp_lt_i32_e64 s7, v60, v54
	v_cndmask_b32_e64 v55, v55, v56, s6
	s_wait_loadcnt 0x0
	v_cndmask_b32_e64 v58, v59, v58, s6
	v_cndmask_b32_e64 v57, v57, v61, s6
	s_barrier_signal -1
	s_barrier_wait -1
	global_inv scope:SCOPE_SE
	v_cmp_ge_i32_e64 s8, v58, v13
	v_cmp_lt_i32_e64 s9, v57, v14
	s_or_b32 s6, s8, s7
	s_wait_alu 0xfffe
	s_and_b32 s6, s9, s6
	s_wait_alu 0xfffe
	v_cndmask_b32_e64 v56, v54, v60, s6
	v_mov_b32_e32 v54, v29
	ds_store_2addr_b32 v5, v55, v56 offset1:1
	s_wait_loadcnt_dscnt 0x0
	s_barrier_signal -1
	s_barrier_wait -1
	global_inv scope:SCOPE_SE
	s_and_saveexec_b32 s7, s2
	s_cbranch_execz .LBB12_30
; %bb.27:                               ;   in Loop: Header=BB12_2 Depth=1
	v_dual_mov_b32 v54, v29 :: v_dual_mov_b32 v55, v31
	s_mov_b32 s8, 0
.LBB12_28:                              ;   Parent Loop BB12_2 Depth=1
                                        ; =>  This Inner Loop Header: Depth=2
	s_delay_alu instid0(VALU_DEP_1) | instskip(NEXT) | instid1(VALU_DEP_1)
	v_sub_nc_u32_e32 v56, v55, v54
	v_lshrrev_b32_e32 v56, 1, v56
	s_delay_alu instid0(VALU_DEP_1) | instskip(NEXT) | instid1(VALU_DEP_1)
	v_add_nc_u32_e32 v56, v56, v54
	v_not_b32_e32 v57, v56
	v_lshl_add_u32 v58, v56, 2, v32
	v_add_nc_u32_e32 v59, 1, v56
	s_delay_alu instid0(VALU_DEP_3)
	v_lshl_add_u32 v57, v57, 2, v50
	ds_load_b32 v58, v58
	ds_load_b32 v57, v57
	s_wait_dscnt 0x0
	v_cmp_lt_i32_e64 s6, v57, v58
	s_wait_alu 0xf1ff
	s_delay_alu instid0(VALU_DEP_1) | instskip(SKIP_1) | instid1(VALU_DEP_1)
	v_cndmask_b32_e64 v55, v55, v56, s6
	v_cndmask_b32_e64 v54, v59, v54, s6
	v_cmp_ge_i32_e64 s6, v54, v55
	s_or_b32 s8, s6, s8
	s_delay_alu instid0(SALU_CYCLE_1)
	s_and_not1_b32 exec_lo, exec_lo, s8
	s_cbranch_execnz .LBB12_28
; %bb.29:                               ;   in Loop: Header=BB12_2 Depth=1
	s_or_b32 exec_lo, exec_lo, s8
.LBB12_30:                              ;   in Loop: Header=BB12_2 Depth=1
	s_wait_alu 0xfffe
	s_or_b32 exec_lo, exec_lo, s7
	v_sub_nc_u32_e32 v57, v37, v54
	v_lshl_add_u32 v60, v54, 2, v32
	v_add_nc_u32_e32 v58, v54, v18
                                        ; implicit-def: $vgpr54
	s_delay_alu instid0(VALU_DEP_3) | instskip(SKIP_1) | instid1(VALU_DEP_3)
	v_lshlrev_b32_e32 v59, 2, v57
	v_cmp_gt_i32_e64 s8, v21, v57
	v_cmp_le_i32_e64 s6, v20, v58
	ds_load_b32 v55, v60
	ds_load_b32 v56, v59
	s_wait_dscnt 0x0
	v_cmp_lt_i32_e64 s7, v56, v55
	s_or_b32 s6, s6, s7
	s_wait_alu 0xfffe
	s_and_b32 s6, s8, s6
	s_wait_alu 0xfffe
	s_xor_b32 s7, s6, -1
	s_wait_alu 0xfffe
	s_and_saveexec_b32 s8, s7
	s_delay_alu instid0(SALU_CYCLE_1)
	s_xor_b32 s7, exec_lo, s8
; %bb.31:                               ;   in Loop: Header=BB12_2 Depth=1
	ds_load_b32 v54, v60 offset:4
                                        ; implicit-def: $vgpr59
; %bb.32:                               ;   in Loop: Header=BB12_2 Depth=1
	s_wait_alu 0xfffe
	s_or_saveexec_b32 s7, s7
	v_mov_b32_e32 v60, v56
	s_wait_alu 0xfffe
	s_xor_b32 exec_lo, exec_lo, s7
	s_cbranch_execz .LBB12_34
; %bb.33:                               ;   in Loop: Header=BB12_2 Depth=1
	ds_load_b32 v60, v59 offset:4
	s_wait_dscnt 0x1
	v_mov_b32_e32 v54, v55
.LBB12_34:                              ;   in Loop: Header=BB12_2 Depth=1
	s_or_b32 exec_lo, exec_lo, s7
	v_add_nc_u32_e32 v59, 1, v58
	v_add_nc_u32_e32 v61, 1, v57
	s_wait_dscnt 0x0
	v_cmp_lt_i32_e64 s7, v60, v54
	v_cndmask_b32_e64 v55, v55, v56, s6
	s_wait_loadcnt 0x0
	v_cndmask_b32_e64 v58, v59, v58, s6
	v_cndmask_b32_e64 v57, v57, v61, s6
	s_barrier_signal -1
	s_barrier_wait -1
	global_inv scope:SCOPE_SE
	v_cmp_ge_i32_e64 s8, v58, v20
	v_cmp_lt_i32_e64 s9, v57, v21
	s_or_b32 s6, s8, s7
	s_wait_alu 0xfffe
	s_and_b32 s6, s9, s6
	s_wait_alu 0xfffe
	v_cndmask_b32_e64 v56, v54, v60, s6
	v_mov_b32_e32 v54, v35
	ds_store_2addr_b32 v5, v55, v56 offset1:1
	s_wait_loadcnt_dscnt 0x0
	s_barrier_signal -1
	s_barrier_wait -1
	global_inv scope:SCOPE_SE
	s_and_saveexec_b32 s7, s3
	s_cbranch_execz .LBB12_38
; %bb.35:                               ;   in Loop: Header=BB12_2 Depth=1
	v_dual_mov_b32 v54, v35 :: v_dual_mov_b32 v55, v36
	s_mov_b32 s8, 0
.LBB12_36:                              ;   Parent Loop BB12_2 Depth=1
                                        ; =>  This Inner Loop Header: Depth=2
	s_delay_alu instid0(VALU_DEP_1) | instskip(NEXT) | instid1(VALU_DEP_1)
	v_sub_nc_u32_e32 v56, v55, v54
	v_lshrrev_b32_e32 v56, 1, v56
	s_delay_alu instid0(VALU_DEP_1) | instskip(NEXT) | instid1(VALU_DEP_1)
	v_add_nc_u32_e32 v56, v56, v54
	v_not_b32_e32 v57, v56
	v_lshl_add_u32 v58, v56, 2, v38
	v_add_nc_u32_e32 v59, 1, v56
	s_delay_alu instid0(VALU_DEP_3)
	v_lshl_add_u32 v57, v57, 2, v51
	ds_load_b32 v58, v58
	ds_load_b32 v57, v57
	s_wait_dscnt 0x0
	v_cmp_lt_i32_e64 s6, v57, v58
	s_wait_alu 0xf1ff
	s_delay_alu instid0(VALU_DEP_1) | instskip(SKIP_1) | instid1(VALU_DEP_1)
	v_cndmask_b32_e64 v55, v55, v56, s6
	v_cndmask_b32_e64 v54, v59, v54, s6
	v_cmp_ge_i32_e64 s6, v54, v55
	s_or_b32 s8, s6, s8
	s_delay_alu instid0(SALU_CYCLE_1)
	s_and_not1_b32 exec_lo, exec_lo, s8
	s_cbranch_execnz .LBB12_36
; %bb.37:                               ;   in Loop: Header=BB12_2 Depth=1
	s_or_b32 exec_lo, exec_lo, s8
.LBB12_38:                              ;   in Loop: Header=BB12_2 Depth=1
	s_wait_alu 0xfffe
	s_or_b32 exec_lo, exec_lo, s7
	v_sub_nc_u32_e32 v57, v39, v54
	v_lshl_add_u32 v60, v54, 2, v38
	v_add_nc_u32_e32 v58, v54, v25
                                        ; implicit-def: $vgpr54
	s_delay_alu instid0(VALU_DEP_3) | instskip(SKIP_1) | instid1(VALU_DEP_3)
	v_lshlrev_b32_e32 v59, 2, v57
	v_cmp_gt_i32_e64 s8, v28, v57
	v_cmp_le_i32_e64 s6, v27, v58
	ds_load_b32 v55, v60
	ds_load_b32 v56, v59
	s_wait_dscnt 0x0
	v_cmp_lt_i32_e64 s7, v56, v55
	s_or_b32 s6, s6, s7
	s_wait_alu 0xfffe
	s_and_b32 s6, s8, s6
	s_wait_alu 0xfffe
	s_xor_b32 s7, s6, -1
	s_wait_alu 0xfffe
	s_and_saveexec_b32 s8, s7
	s_delay_alu instid0(SALU_CYCLE_1)
	s_xor_b32 s7, exec_lo, s8
; %bb.39:                               ;   in Loop: Header=BB12_2 Depth=1
	ds_load_b32 v54, v60 offset:4
                                        ; implicit-def: $vgpr59
; %bb.40:                               ;   in Loop: Header=BB12_2 Depth=1
	s_wait_alu 0xfffe
	s_or_saveexec_b32 s7, s7
	v_mov_b32_e32 v60, v56
	s_wait_alu 0xfffe
	s_xor_b32 exec_lo, exec_lo, s7
	s_cbranch_execz .LBB12_42
; %bb.41:                               ;   in Loop: Header=BB12_2 Depth=1
	ds_load_b32 v60, v59 offset:4
	s_wait_dscnt 0x1
	v_mov_b32_e32 v54, v55
.LBB12_42:                              ;   in Loop: Header=BB12_2 Depth=1
	s_or_b32 exec_lo, exec_lo, s7
	v_add_nc_u32_e32 v59, 1, v58
	v_add_nc_u32_e32 v61, 1, v57
	s_wait_dscnt 0x0
	v_cmp_lt_i32_e64 s7, v60, v54
	v_cndmask_b32_e64 v55, v55, v56, s6
	s_wait_loadcnt 0x0
	v_cndmask_b32_e64 v58, v59, v58, s6
	v_cndmask_b32_e64 v57, v57, v61, s6
	s_barrier_signal -1
	s_barrier_wait -1
	global_inv scope:SCOPE_SE
	v_cmp_ge_i32_e64 s8, v58, v27
	v_cmp_lt_i32_e64 s9, v57, v28
	s_or_b32 s6, s8, s7
	s_wait_alu 0xfffe
	s_and_b32 s6, s9, s6
	s_wait_alu 0xfffe
	v_cndmask_b32_e64 v56, v54, v60, s6
	v_mov_b32_e32 v54, v40
	ds_store_2addr_b32 v5, v55, v56 offset1:1
	s_wait_loadcnt_dscnt 0x0
	s_barrier_signal -1
	s_barrier_wait -1
	global_inv scope:SCOPE_SE
	s_and_saveexec_b32 s7, s4
	s_cbranch_execz .LBB12_46
; %bb.43:                               ;   in Loop: Header=BB12_2 Depth=1
	v_dual_mov_b32 v54, v40 :: v_dual_mov_b32 v55, v41
	s_mov_b32 s8, 0
.LBB12_44:                              ;   Parent Loop BB12_2 Depth=1
                                        ; =>  This Inner Loop Header: Depth=2
	s_delay_alu instid0(VALU_DEP_1) | instskip(NEXT) | instid1(VALU_DEP_1)
	v_sub_nc_u32_e32 v56, v55, v54
	v_lshrrev_b32_e32 v56, 1, v56
	s_delay_alu instid0(VALU_DEP_1) | instskip(NEXT) | instid1(VALU_DEP_1)
	v_add_nc_u32_e32 v56, v56, v54
	v_not_b32_e32 v57, v56
	v_lshl_add_u32 v58, v56, 2, v44
	v_add_nc_u32_e32 v59, 1, v56
	s_delay_alu instid0(VALU_DEP_3)
	v_lshl_add_u32 v57, v57, 2, v52
	ds_load_b32 v58, v58
	ds_load_b32 v57, v57
	s_wait_dscnt 0x0
	v_cmp_lt_i32_e64 s6, v57, v58
	s_wait_alu 0xf1ff
	s_delay_alu instid0(VALU_DEP_1) | instskip(SKIP_1) | instid1(VALU_DEP_1)
	v_cndmask_b32_e64 v55, v55, v56, s6
	v_cndmask_b32_e64 v54, v59, v54, s6
	v_cmp_ge_i32_e64 s6, v54, v55
	s_or_b32 s8, s6, s8
	s_delay_alu instid0(SALU_CYCLE_1)
	s_and_not1_b32 exec_lo, exec_lo, s8
	s_cbranch_execnz .LBB12_44
; %bb.45:                               ;   in Loop: Header=BB12_2 Depth=1
	s_or_b32 exec_lo, exec_lo, s8
.LBB12_46:                              ;   in Loop: Header=BB12_2 Depth=1
	s_wait_alu 0xfffe
	s_or_b32 exec_lo, exec_lo, s7
	v_sub_nc_u32_e32 v57, v45, v54
	v_lshl_add_u32 v60, v54, 2, v44
	v_add_nc_u32_e32 v58, v54, v30
                                        ; implicit-def: $vgpr54
	s_delay_alu instid0(VALU_DEP_3) | instskip(SKIP_1) | instid1(VALU_DEP_3)
	v_lshlrev_b32_e32 v59, 2, v57
	v_cmp_gt_i32_e64 s8, v34, v57
	v_cmp_le_i32_e64 s6, v33, v58
	ds_load_b32 v55, v60
	ds_load_b32 v56, v59
	s_wait_dscnt 0x0
	v_cmp_lt_i32_e64 s7, v56, v55
	s_or_b32 s6, s6, s7
	s_wait_alu 0xfffe
	s_and_b32 s6, s8, s6
	s_wait_alu 0xfffe
	s_xor_b32 s7, s6, -1
	s_wait_alu 0xfffe
	s_and_saveexec_b32 s8, s7
	s_delay_alu instid0(SALU_CYCLE_1)
	s_xor_b32 s7, exec_lo, s8
; %bb.47:                               ;   in Loop: Header=BB12_2 Depth=1
	ds_load_b32 v54, v60 offset:4
                                        ; implicit-def: $vgpr59
; %bb.48:                               ;   in Loop: Header=BB12_2 Depth=1
	s_wait_alu 0xfffe
	s_or_saveexec_b32 s7, s7
	v_mov_b32_e32 v60, v56
	s_wait_alu 0xfffe
	s_xor_b32 exec_lo, exec_lo, s7
	s_cbranch_execz .LBB12_50
; %bb.49:                               ;   in Loop: Header=BB12_2 Depth=1
	ds_load_b32 v60, v59 offset:4
	s_wait_dscnt 0x1
	v_mov_b32_e32 v54, v55
.LBB12_50:                              ;   in Loop: Header=BB12_2 Depth=1
	s_or_b32 exec_lo, exec_lo, s7
	v_add_nc_u32_e32 v59, 1, v58
	v_add_nc_u32_e32 v61, 1, v57
	s_wait_dscnt 0x0
	v_cmp_lt_i32_e64 s7, v60, v54
	v_cndmask_b32_e64 v55, v55, v56, s6
	s_wait_loadcnt 0x0
	v_cndmask_b32_e64 v58, v59, v58, s6
	v_cndmask_b32_e64 v57, v57, v61, s6
	s_barrier_signal -1
	s_barrier_wait -1
	global_inv scope:SCOPE_SE
	v_cmp_ge_i32_e64 s8, v58, v33
	v_cmp_lt_i32_e64 s9, v57, v34
	s_or_b32 s6, s8, s7
	s_wait_alu 0xfffe
	s_and_b32 s6, s9, s6
	s_wait_alu 0xfffe
	v_cndmask_b32_e64 v56, v54, v60, s6
	v_mov_b32_e32 v54, v42
	ds_store_2addr_b32 v5, v55, v56 offset1:1
	s_wait_loadcnt_dscnt 0x0
	s_barrier_signal -1
	s_barrier_wait -1
	global_inv scope:SCOPE_SE
	s_and_saveexec_b32 s7, s5
	s_cbranch_execz .LBB12_54
; %bb.51:                               ;   in Loop: Header=BB12_2 Depth=1
	v_dual_mov_b32 v54, v42 :: v_dual_mov_b32 v55, v43
	s_mov_b32 s8, 0
.LBB12_52:                              ;   Parent Loop BB12_2 Depth=1
                                        ; =>  This Inner Loop Header: Depth=2
	s_delay_alu instid0(VALU_DEP_1) | instskip(NEXT) | instid1(VALU_DEP_1)
	v_sub_nc_u32_e32 v56, v55, v54
	v_lshrrev_b32_e32 v56, 1, v56
	s_delay_alu instid0(VALU_DEP_1) | instskip(NEXT) | instid1(VALU_DEP_1)
	v_add_nc_u32_e32 v56, v56, v54
	v_not_b32_e32 v57, v56
	v_lshlrev_b32_e32 v58, 2, v56
	v_add_nc_u32_e32 v59, 1, v56
	s_delay_alu instid0(VALU_DEP_3)
	v_lshl_add_u32 v57, v57, 2, v53
	ds_load_b32 v58, v58
	ds_load_b32 v57, v57
	s_wait_dscnt 0x0
	v_cmp_lt_i32_e64 s6, v57, v58
	s_wait_alu 0xf1ff
	s_delay_alu instid0(VALU_DEP_1) | instskip(SKIP_1) | instid1(VALU_DEP_1)
	v_cndmask_b32_e64 v55, v55, v56, s6
	v_cndmask_b32_e64 v54, v59, v54, s6
	v_cmp_ge_i32_e64 s6, v54, v55
	s_or_b32 s8, s6, s8
	s_delay_alu instid0(SALU_CYCLE_1)
	s_and_not1_b32 exec_lo, exec_lo, s8
	s_cbranch_execnz .LBB12_52
; %bb.53:                               ;   in Loop: Header=BB12_2 Depth=1
	s_or_b32 exec_lo, exec_lo, s8
.LBB12_54:                              ;   in Loop: Header=BB12_2 Depth=1
	s_wait_alu 0xfffe
	s_or_b32 exec_lo, exec_lo, s7
	v_sub_nc_u32_e32 v55, v46, v54
	v_lshlrev_b32_e32 v60, 2, v54
	v_cmp_le_i32_e64 s6, 0x80, v54
                                        ; implicit-def: $vgpr58
	s_delay_alu instid0(VALU_DEP_3)
	v_lshlrev_b32_e32 v59, 2, v55
	v_cmp_gt_i32_e64 s8, 0x100, v55
	ds_load_b32 v56, v60
	ds_load_b32 v57, v59
	s_wait_dscnt 0x0
	v_cmp_lt_i32_e64 s7, v57, v56
	s_or_b32 s6, s6, s7
	s_wait_alu 0xfffe
	s_and_b32 s6, s8, s6
	s_wait_alu 0xfffe
	s_xor_b32 s7, s6, -1
	s_wait_alu 0xfffe
	s_and_saveexec_b32 s8, s7
	s_delay_alu instid0(SALU_CYCLE_1)
	s_xor_b32 s7, exec_lo, s8
; %bb.55:                               ;   in Loop: Header=BB12_2 Depth=1
	ds_load_b32 v58, v60 offset:4
	v_add_nc_u32_e32 v54, 1, v54
                                        ; implicit-def: $vgpr59
; %bb.56:                               ;   in Loop: Header=BB12_2 Depth=1
	s_wait_alu 0xfffe
	s_or_saveexec_b32 s7, s7
	v_mov_b32_e32 v60, v57
	s_wait_alu 0xfffe
	s_xor_b32 exec_lo, exec_lo, s7
	s_cbranch_execz .LBB12_1
; %bb.57:                               ;   in Loop: Header=BB12_2 Depth=1
	ds_load_b32 v60, v59 offset:4
	s_wait_dscnt 0x1
	v_dual_mov_b32 v58, v56 :: v_dual_add_nc_u32 v55, 1, v55
	s_branch .LBB12_1
.LBB12_58:
	v_lshlrev_b32_e32 v0, 2, v0
	s_add_nc_u64 s[0:1], s[10:11], s[14:15]
	s_clause 0x1
	global_store_b32 v0, v54, s[0:1]
	global_store_b32 v0, v55, s[0:1] offset:512
	s_endpgm
	.section	.rodata,"a",@progbits
	.p2align	6, 0x0
	.amdhsa_kernel _Z16sort_keys_kernelIiLj128ELj2EN10test_utils4lessELj10EEvPKT_PS2_T2_
		.amdhsa_group_segment_fixed_size 1028
		.amdhsa_private_segment_fixed_size 0
		.amdhsa_kernarg_size 20
		.amdhsa_user_sgpr_count 2
		.amdhsa_user_sgpr_dispatch_ptr 0
		.amdhsa_user_sgpr_queue_ptr 0
		.amdhsa_user_sgpr_kernarg_segment_ptr 1
		.amdhsa_user_sgpr_dispatch_id 0
		.amdhsa_user_sgpr_private_segment_size 0
		.amdhsa_wavefront_size32 1
		.amdhsa_uses_dynamic_stack 0
		.amdhsa_enable_private_segment 0
		.amdhsa_system_sgpr_workgroup_id_x 1
		.amdhsa_system_sgpr_workgroup_id_y 0
		.amdhsa_system_sgpr_workgroup_id_z 0
		.amdhsa_system_sgpr_workgroup_info 0
		.amdhsa_system_vgpr_workitem_id 0
		.amdhsa_next_free_vgpr 62
		.amdhsa_next_free_sgpr 16
		.amdhsa_reserve_vcc 1
		.amdhsa_float_round_mode_32 0
		.amdhsa_float_round_mode_16_64 0
		.amdhsa_float_denorm_mode_32 3
		.amdhsa_float_denorm_mode_16_64 3
		.amdhsa_fp16_overflow 0
		.amdhsa_workgroup_processor_mode 1
		.amdhsa_memory_ordered 1
		.amdhsa_forward_progress 1
		.amdhsa_inst_pref_size 31
		.amdhsa_round_robin_scheduling 0
		.amdhsa_exception_fp_ieee_invalid_op 0
		.amdhsa_exception_fp_denorm_src 0
		.amdhsa_exception_fp_ieee_div_zero 0
		.amdhsa_exception_fp_ieee_overflow 0
		.amdhsa_exception_fp_ieee_underflow 0
		.amdhsa_exception_fp_ieee_inexact 0
		.amdhsa_exception_int_div_zero 0
	.end_amdhsa_kernel
	.section	.text._Z16sort_keys_kernelIiLj128ELj2EN10test_utils4lessELj10EEvPKT_PS2_T2_,"axG",@progbits,_Z16sort_keys_kernelIiLj128ELj2EN10test_utils4lessELj10EEvPKT_PS2_T2_,comdat
.Lfunc_end12:
	.size	_Z16sort_keys_kernelIiLj128ELj2EN10test_utils4lessELj10EEvPKT_PS2_T2_, .Lfunc_end12-_Z16sort_keys_kernelIiLj128ELj2EN10test_utils4lessELj10EEvPKT_PS2_T2_
                                        ; -- End function
	.set _Z16sort_keys_kernelIiLj128ELj2EN10test_utils4lessELj10EEvPKT_PS2_T2_.num_vgpr, 62
	.set _Z16sort_keys_kernelIiLj128ELj2EN10test_utils4lessELj10EEvPKT_PS2_T2_.num_agpr, 0
	.set _Z16sort_keys_kernelIiLj128ELj2EN10test_utils4lessELj10EEvPKT_PS2_T2_.numbered_sgpr, 16
	.set _Z16sort_keys_kernelIiLj128ELj2EN10test_utils4lessELj10EEvPKT_PS2_T2_.num_named_barrier, 0
	.set _Z16sort_keys_kernelIiLj128ELj2EN10test_utils4lessELj10EEvPKT_PS2_T2_.private_seg_size, 0
	.set _Z16sort_keys_kernelIiLj128ELj2EN10test_utils4lessELj10EEvPKT_PS2_T2_.uses_vcc, 1
	.set _Z16sort_keys_kernelIiLj128ELj2EN10test_utils4lessELj10EEvPKT_PS2_T2_.uses_flat_scratch, 0
	.set _Z16sort_keys_kernelIiLj128ELj2EN10test_utils4lessELj10EEvPKT_PS2_T2_.has_dyn_sized_stack, 0
	.set _Z16sort_keys_kernelIiLj128ELj2EN10test_utils4lessELj10EEvPKT_PS2_T2_.has_recursion, 0
	.set _Z16sort_keys_kernelIiLj128ELj2EN10test_utils4lessELj10EEvPKT_PS2_T2_.has_indirect_call, 0
	.section	.AMDGPU.csdata,"",@progbits
; Kernel info:
; codeLenInByte = 3868
; TotalNumSgprs: 18
; NumVgprs: 62
; ScratchSize: 0
; MemoryBound: 0
; FloatMode: 240
; IeeeMode: 1
; LDSByteSize: 1028 bytes/workgroup (compile time only)
; SGPRBlocks: 0
; VGPRBlocks: 7
; NumSGPRsForWavesPerEU: 18
; NumVGPRsForWavesPerEU: 62
; Occupancy: 16
; WaveLimiterHint : 1
; COMPUTE_PGM_RSRC2:SCRATCH_EN: 0
; COMPUTE_PGM_RSRC2:USER_SGPR: 2
; COMPUTE_PGM_RSRC2:TRAP_HANDLER: 0
; COMPUTE_PGM_RSRC2:TGID_X_EN: 1
; COMPUTE_PGM_RSRC2:TGID_Y_EN: 0
; COMPUTE_PGM_RSRC2:TGID_Z_EN: 0
; COMPUTE_PGM_RSRC2:TIDIG_COMP_CNT: 0
	.section	.text._Z17sort_pairs_kernelIiLj128ELj2EN10test_utils4lessELj10EEvPKT_PS2_T2_,"axG",@progbits,_Z17sort_pairs_kernelIiLj128ELj2EN10test_utils4lessELj10EEvPKT_PS2_T2_,comdat
	.protected	_Z17sort_pairs_kernelIiLj128ELj2EN10test_utils4lessELj10EEvPKT_PS2_T2_ ; -- Begin function _Z17sort_pairs_kernelIiLj128ELj2EN10test_utils4lessELj10EEvPKT_PS2_T2_
	.globl	_Z17sort_pairs_kernelIiLj128ELj2EN10test_utils4lessELj10EEvPKT_PS2_T2_
	.p2align	8
	.type	_Z17sort_pairs_kernelIiLj128ELj2EN10test_utils4lessELj10EEvPKT_PS2_T2_,@function
_Z17sort_pairs_kernelIiLj128ELj2EN10test_utils4lessELj10EEvPKT_PS2_T2_: ; @_Z17sort_pairs_kernelIiLj128ELj2EN10test_utils4lessELj10EEvPKT_PS2_T2_
; %bb.0:
	s_load_b128 s[12:15], s[0:1], 0x0
	s_lshl_b32 s10, ttmp9, 8
	s_mov_b32 s11, 0
	v_lshlrev_b32_e32 v1, 2, v0
	s_lshl_b64 s[16:17], s[10:11], 2
	v_lshlrev_b32_e32 v10, 1, v0
	s_delay_alu instid0(VALU_DEP_1)
	v_and_b32_e32 v2, 0xfc, v10
	v_and_b32_e32 v3, 0xf8, v10
	;; [unrolled: 1-line block ×5, first 2 shown]
	v_or_b32_e32 v11, 2, v2
	v_add_nc_u32_e32 v12, 4, v2
	v_or_b32_e32 v14, 4, v3
	v_add_nc_u32_e32 v15, 8, v3
	v_and_b32_e32 v5, 0xe0, v10
	s_wait_kmcnt 0x0
	s_add_nc_u64 s[0:1], s[12:13], s[16:17]
	v_sub_nc_u32_e32 v53, v12, v11
	s_clause 0x1
	global_load_b32 v55, v1, s[0:1]
	global_load_b32 v54, v1, s[0:1] offset:512
	v_or_b32_e32 v17, 8, v4
	v_add_nc_u32_e32 v18, 16, v4
	v_sub_nc_u32_e32 v41, v11, v2
	v_sub_nc_u32_e32 v56, v15, v14
	;; [unrolled: 1-line block ×3, first 2 shown]
	v_cmp_ge_i32_e64 s0, v47, v53
	v_and_b32_e32 v49, 14, v10
	v_and_b32_e32 v6, 0xc0, v10
	v_or_b32_e32 v20, 16, v5
	v_add_nc_u32_e32 v21, 32, v5
	v_lshlrev_b32_e32 v35, 2, v47
	v_add_nc_u32_e32 v29, v11, v47
	v_sub_nc_u32_e32 v42, v14, v3
	v_sub_nc_u32_e32 v57, v18, v17
	v_min_i32_e32 v41, v47, v41
	v_sub_nc_u32_e32 v62, v48, v56
	v_cndmask_b32_e64 v47, 0, v61, s0
	v_cmp_ge_i32_e64 s0, v48, v56
	v_and_b32_e32 v50, 30, v10
	v_and_b32_e32 v7, 0x80, v10
	v_or_b32_e32 v23, 32, v6
	v_add_nc_u32_e32 v24, 64, v6
	v_lshlrev_b32_e32 v36, 2, v48
	v_add_nc_u32_e32 v30, v14, v48
	v_sub_nc_u32_e32 v43, v17, v4
	v_sub_nc_u32_e32 v58, v21, v20
	v_min_i32_e32 v42, v48, v42
	v_sub_nc_u32_e32 v63, v49, v57
	s_wait_alu 0xf1ff
	v_cndmask_b32_e64 v48, 0, v62, s0
	v_cmp_ge_i32_e64 s0, v49, v57
	v_and_b32_e32 v51, 62, v10
	v_or_b32_e32 v26, 64, v7
	v_add_nc_u32_e32 v27, 0x80, v7
	v_lshlrev_b32_e32 v37, 2, v49
	v_add_nc_u32_e32 v31, v17, v49
	v_sub_nc_u32_e32 v44, v20, v5
	v_sub_nc_u32_e32 v59, v24, v23
	v_min_i32_e32 v43, v49, v43
	v_sub_nc_u32_e32 v64, v50, v58
	s_wait_alu 0xf1ff
	v_cndmask_b32_e64 v49, 0, v63, s0
	v_cmp_ge_i32_e64 s0, v50, v58
	v_and_b32_e32 v52, 0x7e, v10
	v_lshlrev_b32_e32 v38, 2, v50
	v_add_nc_u32_e32 v32, v20, v50
	v_sub_nc_u32_e32 v45, v23, v6
	v_sub_nc_u32_e32 v60, v27, v26
	v_min_i32_e32 v44, v50, v44
	v_sub_nc_u32_e32 v65, v51, v59
	s_wait_alu 0xf1ff
	v_cndmask_b32_e64 v50, 0, v64, s0
	v_cmp_ge_i32_e64 s0, v51, v59
	v_lshlrev_b32_e32 v39, 2, v51
	v_add_nc_u32_e32 v33, v23, v51
	v_sub_nc_u32_e32 v46, v26, v7
	v_min_i32_e32 v45, v51, v45
	v_sub_nc_u32_e32 v66, v52, v60
	s_wait_alu 0xf1ff
	v_cndmask_b32_e64 v51, 0, v65, s0
	v_cmp_ge_i32_e64 s0, v52, v60
	v_lshlrev_b32_e32 v1, 3, v0
	v_lshlrev_b32_e32 v40, 2, v52
	v_add_nc_u32_e32 v34, v26, v52
	v_min_i32_e32 v46, v52, v46
	s_wait_alu 0xf1ff
	v_cndmask_b32_e64 v52, 0, v66, s0
	v_subrev_nc_u32_e64 v8, 0x80, v10 clamp
	v_min_i32_e32 v9, 0x80, v10
	v_add_nc_u32_e32 v10, 0x80, v10
	v_lshlrev_b32_e32 v13, 2, v2
	v_lshlrev_b32_e32 v16, 2, v3
	;; [unrolled: 1-line block ×6, first 2 shown]
	v_lshl_add_u32 v35, v11, 2, v35
	v_lshl_add_u32 v36, v14, 2, v36
	;; [unrolled: 1-line block ×6, first 2 shown]
	v_cmp_lt_i32_e64 s0, v47, v41
	v_cmp_lt_i32_e64 s1, v48, v42
	;; [unrolled: 1-line block ×6, first 2 shown]
	v_add_nc_u32_e32 v53, 0x200, v1
	v_cmp_lt_i32_e32 vcc_lo, v8, v9
	s_wait_loadcnt 0x1
	v_add_nc_u32_e32 v57, 1, v55
	s_wait_loadcnt 0x0
	v_add_nc_u32_e32 v56, 1, v54
	s_branch .LBB13_2
.LBB13_1:                               ;   in Loop: Header=BB13_2 Depth=1
	s_or_b32 exec_lo, exec_lo, s7
	s_delay_alu instid0(VALU_DEP_2)
	v_cmp_le_i32_e64 s7, 0x80, v60
	s_wait_dscnt 0x0
	v_cmp_lt_i32_e64 s8, v64, v61
	v_cmp_gt_i32_e64 s9, 0x100, v57
	s_wait_loadcnt 0x0
	s_barrier_signal -1
	s_barrier_wait -1
	s_or_b32 s7, s7, s8
	global_inv scope:SCOPE_SE
	s_wait_alu 0xfffe
	s_and_b32 s7, s9, s7
	ds_store_2addr_b32 v1, v55, v56 offset1:1
	s_wait_alu 0xfffe
	v_cndmask_b32_e64 v57, v60, v57, s7
	v_lshlrev_b32_e32 v55, 2, v62
	s_wait_loadcnt_dscnt 0x0
	s_barrier_signal -1
	s_barrier_wait -1
	v_lshlrev_b32_e32 v56, 2, v57
	global_inv scope:SCOPE_SE
	v_cndmask_b32_e64 v54, v61, v64, s7
	ds_load_b32 v57, v55
	ds_load_b32 v56, v56
	v_cndmask_b32_e64 v55, v58, v59, s6
	s_add_co_i32 s11, s11, 1
	s_delay_alu instid0(SALU_CYCLE_1)
	s_cmp_eq_u32 s11, 10
	s_cbranch_scc1 .LBB13_58
.LBB13_2:                               ; =>This Loop Header: Depth=1
                                        ;     Child Loop BB13_4 Depth 2
                                        ;     Child Loop BB13_12 Depth 2
	;; [unrolled: 1-line block ×7, first 2 shown]
	s_delay_alu instid0(VALU_DEP_1)
	v_cmp_lt_i32_e64 s6, v54, v55
	s_barrier_signal -1
	s_barrier_wait -1
	global_inv scope:SCOPE_SE
	s_wait_alu 0xf1ff
	v_cndmask_b32_e64 v58, v54, v55, s6
	v_cndmask_b32_e64 v55, v55, v54, s6
	v_mov_b32_e32 v54, v47
	ds_store_2addr_b32 v1, v55, v58 offset1:1
	s_wait_loadcnt_dscnt 0x0
	s_barrier_signal -1
	s_barrier_wait -1
	global_inv scope:SCOPE_SE
	s_and_saveexec_b32 s8, s0
	s_cbranch_execz .LBB13_6
; %bb.3:                                ;   in Loop: Header=BB13_2 Depth=1
	v_dual_mov_b32 v54, v47 :: v_dual_mov_b32 v55, v41
	s_mov_b32 s9, 0
.LBB13_4:                               ;   Parent Loop BB13_2 Depth=1
                                        ; =>  This Inner Loop Header: Depth=2
	s_delay_alu instid0(VALU_DEP_1) | instskip(NEXT) | instid1(VALU_DEP_1)
	v_sub_nc_u32_e32 v58, v55, v54
	v_lshrrev_b32_e32 v58, 1, v58
	s_delay_alu instid0(VALU_DEP_1) | instskip(NEXT) | instid1(VALU_DEP_1)
	v_add_nc_u32_e32 v58, v58, v54
	v_not_b32_e32 v59, v58
	v_lshl_add_u32 v60, v58, 2, v13
	v_add_nc_u32_e32 v61, 1, v58
	s_delay_alu instid0(VALU_DEP_3)
	v_lshl_add_u32 v59, v59, 2, v35
	ds_load_b32 v60, v60
	ds_load_b32 v59, v59
	s_wait_dscnt 0x0
	v_cmp_lt_i32_e64 s7, v59, v60
	s_wait_alu 0xf1ff
	s_delay_alu instid0(VALU_DEP_1) | instskip(SKIP_1) | instid1(VALU_DEP_1)
	v_cndmask_b32_e64 v55, v55, v58, s7
	v_cndmask_b32_e64 v54, v61, v54, s7
	v_cmp_ge_i32_e64 s7, v54, v55
	s_or_b32 s9, s7, s9
	s_delay_alu instid0(SALU_CYCLE_1)
	s_and_not1_b32 exec_lo, exec_lo, s9
	s_cbranch_execnz .LBB13_4
; %bb.5:                                ;   in Loop: Header=BB13_2 Depth=1
	s_or_b32 exec_lo, exec_lo, s9
.LBB13_6:                               ;   in Loop: Header=BB13_2 Depth=1
	s_delay_alu instid0(SALU_CYCLE_1) | instskip(SKIP_3) | instid1(VALU_DEP_3)
	s_or_b32 exec_lo, exec_lo, s8
	v_sub_nc_u32_e32 v55, v29, v54
	v_lshl_add_u32 v61, v54, 2, v13
	v_add_nc_u32_e32 v60, v54, v2
                                        ; implicit-def: $vgpr54
	v_lshlrev_b32_e32 v62, 2, v55
	v_cmp_gt_i32_e64 s9, v12, v55
	s_delay_alu instid0(VALU_DEP_3)
	v_cmp_le_i32_e64 s7, v11, v60
	ds_load_b32 v58, v61
	ds_load_b32 v59, v62
	s_wait_dscnt 0x0
	v_cmp_lt_i32_e64 s8, v59, v58
	s_or_b32 s7, s7, s8
	s_wait_alu 0xfffe
	s_and_b32 s7, s9, s7
	s_wait_alu 0xfffe
	s_xor_b32 s8, s7, -1
	s_delay_alu instid0(SALU_CYCLE_1) | instskip(NEXT) | instid1(SALU_CYCLE_1)
	s_and_saveexec_b32 s9, s8
	s_xor_b32 s8, exec_lo, s9
; %bb.7:                                ;   in Loop: Header=BB13_2 Depth=1
	ds_load_b32 v54, v61 offset:4
                                        ; implicit-def: $vgpr62
; %bb.8:                                ;   in Loop: Header=BB13_2 Depth=1
	s_or_saveexec_b32 s8, s8
	v_mov_b32_e32 v61, v59
	s_xor_b32 exec_lo, exec_lo, s8
	s_cbranch_execz .LBB13_10
; %bb.9:                                ;   in Loop: Header=BB13_2 Depth=1
	ds_load_b32 v61, v62 offset:4
	s_wait_dscnt 0x1
	v_mov_b32_e32 v54, v58
.LBB13_10:                              ;   in Loop: Header=BB13_2 Depth=1
	s_or_b32 exec_lo, exec_lo, s8
	v_add_nc_u32_e32 v62, 1, v60
	v_add_nc_u32_e32 v63, 1, v55
	s_wait_dscnt 0x0
	v_cmp_lt_i32_e64 s8, v61, v54
	s_wait_loadcnt 0x0
	s_barrier_signal -1
	v_cndmask_b32_e64 v62, v62, v60, s7
	v_cndmask_b32_e64 v63, v55, v63, s7
	;; [unrolled: 1-line block ×5, first 2 shown]
	v_cmp_ge_i32_e64 s9, v62, v11
	v_cmp_lt_i32_e64 s10, v63, v12
	v_lshlrev_b32_e32 v55, 2, v55
	s_barrier_wait -1
	global_inv scope:SCOPE_SE
	s_or_b32 s6, s9, s8
	ds_store_2addr_b32 v1, v56, v60 offset1:1
	s_wait_alu 0xfffe
	s_and_b32 s6, s10, s6
	s_wait_loadcnt_dscnt 0x0
	s_wait_alu 0xfffe
	v_cndmask_b32_e64 v57, v54, v61, s6
	v_cndmask_b32_e64 v54, v62, v63, s6
	s_barrier_signal -1
	s_barrier_wait -1
	global_inv scope:SCOPE_SE
	v_lshlrev_b32_e32 v56, 2, v54
	ds_load_b32 v54, v55
	ds_load_b32 v55, v56
	v_cndmask_b32_e64 v56, v58, v59, s7
	v_mov_b32_e32 v59, v48
	s_wait_loadcnt_dscnt 0x0
	s_barrier_signal -1
	s_barrier_wait -1
	global_inv scope:SCOPE_SE
	ds_store_2addr_b32 v1, v56, v57 offset1:1
	s_wait_loadcnt_dscnt 0x0
	s_barrier_signal -1
	s_barrier_wait -1
	global_inv scope:SCOPE_SE
	s_and_saveexec_b32 s7, s1
	s_cbranch_execz .LBB13_14
; %bb.11:                               ;   in Loop: Header=BB13_2 Depth=1
	v_dual_mov_b32 v59, v48 :: v_dual_mov_b32 v56, v42
	s_mov_b32 s8, 0
.LBB13_12:                              ;   Parent Loop BB13_2 Depth=1
                                        ; =>  This Inner Loop Header: Depth=2
	s_delay_alu instid0(VALU_DEP_1) | instskip(NEXT) | instid1(VALU_DEP_1)
	v_sub_nc_u32_e32 v57, v56, v59
	v_lshrrev_b32_e32 v57, 1, v57
	s_delay_alu instid0(VALU_DEP_1) | instskip(NEXT) | instid1(VALU_DEP_1)
	v_add_nc_u32_e32 v57, v57, v59
	v_not_b32_e32 v58, v57
	v_lshl_add_u32 v60, v57, 2, v16
	v_add_nc_u32_e32 v61, 1, v57
	s_delay_alu instid0(VALU_DEP_3)
	v_lshl_add_u32 v58, v58, 2, v36
	ds_load_b32 v60, v60
	ds_load_b32 v58, v58
	s_wait_dscnt 0x0
	v_cmp_lt_i32_e64 s6, v58, v60
	s_wait_alu 0xf1ff
	s_delay_alu instid0(VALU_DEP_1) | instskip(SKIP_1) | instid1(VALU_DEP_1)
	v_cndmask_b32_e64 v56, v56, v57, s6
	v_cndmask_b32_e64 v59, v61, v59, s6
	v_cmp_ge_i32_e64 s6, v59, v56
	s_or_b32 s8, s6, s8
	s_delay_alu instid0(SALU_CYCLE_1)
	s_and_not1_b32 exec_lo, exec_lo, s8
	s_cbranch_execnz .LBB13_12
; %bb.13:                               ;   in Loop: Header=BB13_2 Depth=1
	s_or_b32 exec_lo, exec_lo, s8
.LBB13_14:                              ;   in Loop: Header=BB13_2 Depth=1
	s_wait_alu 0xfffe
	s_or_b32 exec_lo, exec_lo, s7
	v_sub_nc_u32_e32 v58, v30, v59
	v_lshl_add_u32 v61, v59, 2, v16
	v_add_nc_u32_e32 v59, v59, v3
                                        ; implicit-def: $vgpr60
	s_delay_alu instid0(VALU_DEP_3) | instskip(SKIP_1) | instid1(VALU_DEP_3)
	v_lshlrev_b32_e32 v62, 2, v58
	v_cmp_gt_i32_e64 s8, v15, v58
	v_cmp_le_i32_e64 s6, v14, v59
	ds_load_b32 v56, v61
	ds_load_b32 v57, v62
	s_wait_dscnt 0x0
	v_cmp_lt_i32_e64 s7, v57, v56
	s_or_b32 s6, s6, s7
	s_wait_alu 0xfffe
	s_and_b32 s6, s8, s6
	s_wait_alu 0xfffe
	s_xor_b32 s7, s6, -1
	s_wait_alu 0xfffe
	s_and_saveexec_b32 s8, s7
	s_delay_alu instid0(SALU_CYCLE_1)
	s_xor_b32 s7, exec_lo, s8
; %bb.15:                               ;   in Loop: Header=BB13_2 Depth=1
	ds_load_b32 v60, v61 offset:4
                                        ; implicit-def: $vgpr62
; %bb.16:                               ;   in Loop: Header=BB13_2 Depth=1
	s_wait_alu 0xfffe
	s_or_saveexec_b32 s7, s7
	v_mov_b32_e32 v61, v57
	s_wait_alu 0xfffe
	s_xor_b32 exec_lo, exec_lo, s7
	s_cbranch_execz .LBB13_18
; %bb.17:                               ;   in Loop: Header=BB13_2 Depth=1
	ds_load_b32 v61, v62 offset:4
	s_wait_dscnt 0x1
	v_mov_b32_e32 v60, v56
.LBB13_18:                              ;   in Loop: Header=BB13_2 Depth=1
	s_or_b32 exec_lo, exec_lo, s7
	v_add_nc_u32_e32 v62, 1, v59
	v_add_nc_u32_e32 v63, 1, v58
	s_wait_dscnt 0x0
	v_cmp_lt_i32_e64 s7, v61, v60
	s_wait_loadcnt 0x0
	s_barrier_signal -1
	v_cndmask_b32_e64 v62, v62, v59, s6
	v_cndmask_b32_e64 v63, v58, v63, s6
	;; [unrolled: 1-line block ×3, first 2 shown]
	s_barrier_wait -1
	global_inv scope:SCOPE_SE
	v_cmp_ge_i32_e64 s8, v62, v14
	v_cmp_lt_i32_e64 s9, v63, v15
	ds_store_2addr_b32 v1, v54, v55 offset1:1
	v_lshlrev_b32_e32 v54, 2, v58
	s_wait_loadcnt_dscnt 0x0
	s_or_b32 s7, s8, s7
	s_barrier_signal -1
	s_wait_alu 0xfffe
	s_and_b32 s7, s9, s7
	s_barrier_wait -1
	s_wait_alu 0xfffe
	v_cndmask_b32_e64 v59, v60, v61, s7
	v_cndmask_b32_e64 v60, v62, v63, s7
	global_inv scope:SCOPE_SE
	v_cndmask_b32_e64 v56, v56, v57, s6
	v_lshlrev_b32_e32 v55, 2, v60
	ds_load_b32 v54, v54
	ds_load_b32 v55, v55
	s_wait_loadcnt_dscnt 0x0
	s_barrier_signal -1
	s_barrier_wait -1
	global_inv scope:SCOPE_SE
	ds_store_2addr_b32 v1, v56, v59 offset1:1
	v_mov_b32_e32 v59, v49
	s_wait_loadcnt_dscnt 0x0
	s_barrier_signal -1
	s_barrier_wait -1
	global_inv scope:SCOPE_SE
	s_and_saveexec_b32 s7, s2
	s_cbranch_execz .LBB13_22
; %bb.19:                               ;   in Loop: Header=BB13_2 Depth=1
	v_dual_mov_b32 v59, v49 :: v_dual_mov_b32 v56, v43
	s_mov_b32 s8, 0
.LBB13_20:                              ;   Parent Loop BB13_2 Depth=1
                                        ; =>  This Inner Loop Header: Depth=2
	s_delay_alu instid0(VALU_DEP_1) | instskip(NEXT) | instid1(VALU_DEP_1)
	v_sub_nc_u32_e32 v57, v56, v59
	v_lshrrev_b32_e32 v57, 1, v57
	s_delay_alu instid0(VALU_DEP_1) | instskip(NEXT) | instid1(VALU_DEP_1)
	v_add_nc_u32_e32 v57, v57, v59
	v_not_b32_e32 v58, v57
	v_lshl_add_u32 v60, v57, 2, v19
	v_add_nc_u32_e32 v61, 1, v57
	s_delay_alu instid0(VALU_DEP_3)
	v_lshl_add_u32 v58, v58, 2, v37
	ds_load_b32 v60, v60
	ds_load_b32 v58, v58
	s_wait_dscnt 0x0
	v_cmp_lt_i32_e64 s6, v58, v60
	s_wait_alu 0xf1ff
	s_delay_alu instid0(VALU_DEP_1) | instskip(SKIP_1) | instid1(VALU_DEP_1)
	v_cndmask_b32_e64 v56, v56, v57, s6
	v_cndmask_b32_e64 v59, v61, v59, s6
	v_cmp_ge_i32_e64 s6, v59, v56
	s_or_b32 s8, s6, s8
	s_delay_alu instid0(SALU_CYCLE_1)
	s_and_not1_b32 exec_lo, exec_lo, s8
	s_cbranch_execnz .LBB13_20
; %bb.21:                               ;   in Loop: Header=BB13_2 Depth=1
	s_or_b32 exec_lo, exec_lo, s8
.LBB13_22:                              ;   in Loop: Header=BB13_2 Depth=1
	s_wait_alu 0xfffe
	s_or_b32 exec_lo, exec_lo, s7
	v_sub_nc_u32_e32 v58, v31, v59
	v_lshl_add_u32 v61, v59, 2, v19
	v_add_nc_u32_e32 v59, v59, v4
                                        ; implicit-def: $vgpr60
	s_delay_alu instid0(VALU_DEP_3) | instskip(SKIP_1) | instid1(VALU_DEP_3)
	v_lshlrev_b32_e32 v62, 2, v58
	v_cmp_gt_i32_e64 s8, v18, v58
	v_cmp_le_i32_e64 s6, v17, v59
	ds_load_b32 v56, v61
	ds_load_b32 v57, v62
	s_wait_dscnt 0x0
	v_cmp_lt_i32_e64 s7, v57, v56
	s_or_b32 s6, s6, s7
	s_wait_alu 0xfffe
	s_and_b32 s6, s8, s6
	s_wait_alu 0xfffe
	s_xor_b32 s7, s6, -1
	s_wait_alu 0xfffe
	s_and_saveexec_b32 s8, s7
	s_delay_alu instid0(SALU_CYCLE_1)
	s_xor_b32 s7, exec_lo, s8
; %bb.23:                               ;   in Loop: Header=BB13_2 Depth=1
	ds_load_b32 v60, v61 offset:4
                                        ; implicit-def: $vgpr62
; %bb.24:                               ;   in Loop: Header=BB13_2 Depth=1
	s_wait_alu 0xfffe
	s_or_saveexec_b32 s7, s7
	v_mov_b32_e32 v61, v57
	s_wait_alu 0xfffe
	s_xor_b32 exec_lo, exec_lo, s7
	s_cbranch_execz .LBB13_26
; %bb.25:                               ;   in Loop: Header=BB13_2 Depth=1
	ds_load_b32 v61, v62 offset:4
	s_wait_dscnt 0x1
	v_mov_b32_e32 v60, v56
.LBB13_26:                              ;   in Loop: Header=BB13_2 Depth=1
	s_or_b32 exec_lo, exec_lo, s7
	v_add_nc_u32_e32 v62, 1, v59
	v_add_nc_u32_e32 v63, 1, v58
	s_wait_dscnt 0x0
	v_cmp_lt_i32_e64 s7, v61, v60
	s_wait_loadcnt 0x0
	s_barrier_signal -1
	v_cndmask_b32_e64 v62, v62, v59, s6
	v_cndmask_b32_e64 v63, v58, v63, s6
	;; [unrolled: 1-line block ×3, first 2 shown]
	s_barrier_wait -1
	global_inv scope:SCOPE_SE
	v_cmp_ge_i32_e64 s8, v62, v17
	v_cmp_lt_i32_e64 s9, v63, v18
	ds_store_2addr_b32 v1, v54, v55 offset1:1
	v_lshlrev_b32_e32 v54, 2, v58
	s_wait_loadcnt_dscnt 0x0
	s_or_b32 s7, s8, s7
	s_barrier_signal -1
	s_wait_alu 0xfffe
	s_and_b32 s7, s9, s7
	s_barrier_wait -1
	s_wait_alu 0xfffe
	v_cndmask_b32_e64 v59, v60, v61, s7
	v_cndmask_b32_e64 v60, v62, v63, s7
	global_inv scope:SCOPE_SE
	v_cndmask_b32_e64 v56, v56, v57, s6
	v_lshlrev_b32_e32 v55, 2, v60
	ds_load_b32 v54, v54
	ds_load_b32 v55, v55
	s_wait_loadcnt_dscnt 0x0
	s_barrier_signal -1
	s_barrier_wait -1
	global_inv scope:SCOPE_SE
	ds_store_2addr_b32 v1, v56, v59 offset1:1
	v_mov_b32_e32 v59, v50
	s_wait_loadcnt_dscnt 0x0
	s_barrier_signal -1
	s_barrier_wait -1
	global_inv scope:SCOPE_SE
	s_and_saveexec_b32 s7, s3
	s_cbranch_execz .LBB13_30
; %bb.27:                               ;   in Loop: Header=BB13_2 Depth=1
	v_dual_mov_b32 v59, v50 :: v_dual_mov_b32 v56, v44
	s_mov_b32 s8, 0
.LBB13_28:                              ;   Parent Loop BB13_2 Depth=1
                                        ; =>  This Inner Loop Header: Depth=2
	s_delay_alu instid0(VALU_DEP_1) | instskip(NEXT) | instid1(VALU_DEP_1)
	v_sub_nc_u32_e32 v57, v56, v59
	v_lshrrev_b32_e32 v57, 1, v57
	s_delay_alu instid0(VALU_DEP_1) | instskip(NEXT) | instid1(VALU_DEP_1)
	v_add_nc_u32_e32 v57, v57, v59
	v_not_b32_e32 v58, v57
	v_lshl_add_u32 v60, v57, 2, v22
	v_add_nc_u32_e32 v61, 1, v57
	s_delay_alu instid0(VALU_DEP_3)
	v_lshl_add_u32 v58, v58, 2, v38
	ds_load_b32 v60, v60
	ds_load_b32 v58, v58
	s_wait_dscnt 0x0
	v_cmp_lt_i32_e64 s6, v58, v60
	s_wait_alu 0xf1ff
	s_delay_alu instid0(VALU_DEP_1) | instskip(SKIP_1) | instid1(VALU_DEP_1)
	v_cndmask_b32_e64 v56, v56, v57, s6
	v_cndmask_b32_e64 v59, v61, v59, s6
	v_cmp_ge_i32_e64 s6, v59, v56
	s_or_b32 s8, s6, s8
	s_delay_alu instid0(SALU_CYCLE_1)
	s_and_not1_b32 exec_lo, exec_lo, s8
	s_cbranch_execnz .LBB13_28
; %bb.29:                               ;   in Loop: Header=BB13_2 Depth=1
	s_or_b32 exec_lo, exec_lo, s8
.LBB13_30:                              ;   in Loop: Header=BB13_2 Depth=1
	s_wait_alu 0xfffe
	s_or_b32 exec_lo, exec_lo, s7
	v_sub_nc_u32_e32 v58, v32, v59
	v_lshl_add_u32 v61, v59, 2, v22
	v_add_nc_u32_e32 v59, v59, v5
                                        ; implicit-def: $vgpr60
	s_delay_alu instid0(VALU_DEP_3) | instskip(SKIP_1) | instid1(VALU_DEP_3)
	v_lshlrev_b32_e32 v62, 2, v58
	v_cmp_gt_i32_e64 s8, v21, v58
	v_cmp_le_i32_e64 s6, v20, v59
	ds_load_b32 v56, v61
	ds_load_b32 v57, v62
	s_wait_dscnt 0x0
	v_cmp_lt_i32_e64 s7, v57, v56
	s_or_b32 s6, s6, s7
	s_wait_alu 0xfffe
	s_and_b32 s6, s8, s6
	s_wait_alu 0xfffe
	s_xor_b32 s7, s6, -1
	s_wait_alu 0xfffe
	s_and_saveexec_b32 s8, s7
	s_delay_alu instid0(SALU_CYCLE_1)
	s_xor_b32 s7, exec_lo, s8
; %bb.31:                               ;   in Loop: Header=BB13_2 Depth=1
	ds_load_b32 v60, v61 offset:4
                                        ; implicit-def: $vgpr62
; %bb.32:                               ;   in Loop: Header=BB13_2 Depth=1
	s_wait_alu 0xfffe
	s_or_saveexec_b32 s7, s7
	v_mov_b32_e32 v61, v57
	s_wait_alu 0xfffe
	s_xor_b32 exec_lo, exec_lo, s7
	s_cbranch_execz .LBB13_34
; %bb.33:                               ;   in Loop: Header=BB13_2 Depth=1
	ds_load_b32 v61, v62 offset:4
	s_wait_dscnt 0x1
	v_mov_b32_e32 v60, v56
.LBB13_34:                              ;   in Loop: Header=BB13_2 Depth=1
	s_or_b32 exec_lo, exec_lo, s7
	v_add_nc_u32_e32 v62, 1, v59
	v_add_nc_u32_e32 v63, 1, v58
	s_wait_dscnt 0x0
	v_cmp_lt_i32_e64 s7, v61, v60
	s_wait_loadcnt 0x0
	s_barrier_signal -1
	v_cndmask_b32_e64 v62, v62, v59, s6
	v_cndmask_b32_e64 v63, v58, v63, s6
	;; [unrolled: 1-line block ×3, first 2 shown]
	s_barrier_wait -1
	global_inv scope:SCOPE_SE
	v_cmp_ge_i32_e64 s8, v62, v20
	v_cmp_lt_i32_e64 s9, v63, v21
	ds_store_2addr_b32 v1, v54, v55 offset1:1
	v_lshlrev_b32_e32 v54, 2, v58
	s_wait_loadcnt_dscnt 0x0
	s_or_b32 s7, s8, s7
	s_barrier_signal -1
	s_wait_alu 0xfffe
	s_and_b32 s7, s9, s7
	s_barrier_wait -1
	s_wait_alu 0xfffe
	v_cndmask_b32_e64 v59, v60, v61, s7
	v_cndmask_b32_e64 v60, v62, v63, s7
	global_inv scope:SCOPE_SE
	v_cndmask_b32_e64 v56, v56, v57, s6
	v_lshlrev_b32_e32 v55, 2, v60
	ds_load_b32 v54, v54
	ds_load_b32 v55, v55
	s_wait_loadcnt_dscnt 0x0
	s_barrier_signal -1
	s_barrier_wait -1
	global_inv scope:SCOPE_SE
	ds_store_2addr_b32 v1, v56, v59 offset1:1
	v_mov_b32_e32 v59, v51
	s_wait_loadcnt_dscnt 0x0
	s_barrier_signal -1
	s_barrier_wait -1
	global_inv scope:SCOPE_SE
	s_and_saveexec_b32 s7, s4
	s_cbranch_execz .LBB13_38
; %bb.35:                               ;   in Loop: Header=BB13_2 Depth=1
	v_dual_mov_b32 v59, v51 :: v_dual_mov_b32 v56, v45
	s_mov_b32 s8, 0
.LBB13_36:                              ;   Parent Loop BB13_2 Depth=1
                                        ; =>  This Inner Loop Header: Depth=2
	s_delay_alu instid0(VALU_DEP_1) | instskip(NEXT) | instid1(VALU_DEP_1)
	v_sub_nc_u32_e32 v57, v56, v59
	v_lshrrev_b32_e32 v57, 1, v57
	s_delay_alu instid0(VALU_DEP_1) | instskip(NEXT) | instid1(VALU_DEP_1)
	v_add_nc_u32_e32 v57, v57, v59
	v_not_b32_e32 v58, v57
	v_lshl_add_u32 v60, v57, 2, v25
	v_add_nc_u32_e32 v61, 1, v57
	s_delay_alu instid0(VALU_DEP_3)
	v_lshl_add_u32 v58, v58, 2, v39
	ds_load_b32 v60, v60
	ds_load_b32 v58, v58
	s_wait_dscnt 0x0
	v_cmp_lt_i32_e64 s6, v58, v60
	s_wait_alu 0xf1ff
	s_delay_alu instid0(VALU_DEP_1) | instskip(SKIP_1) | instid1(VALU_DEP_1)
	v_cndmask_b32_e64 v56, v56, v57, s6
	v_cndmask_b32_e64 v59, v61, v59, s6
	v_cmp_ge_i32_e64 s6, v59, v56
	s_or_b32 s8, s6, s8
	s_delay_alu instid0(SALU_CYCLE_1)
	s_and_not1_b32 exec_lo, exec_lo, s8
	s_cbranch_execnz .LBB13_36
; %bb.37:                               ;   in Loop: Header=BB13_2 Depth=1
	s_or_b32 exec_lo, exec_lo, s8
.LBB13_38:                              ;   in Loop: Header=BB13_2 Depth=1
	s_wait_alu 0xfffe
	s_or_b32 exec_lo, exec_lo, s7
	v_sub_nc_u32_e32 v58, v33, v59
	v_lshl_add_u32 v61, v59, 2, v25
	v_add_nc_u32_e32 v59, v59, v6
                                        ; implicit-def: $vgpr60
	s_delay_alu instid0(VALU_DEP_3) | instskip(SKIP_1) | instid1(VALU_DEP_3)
	v_lshlrev_b32_e32 v62, 2, v58
	v_cmp_gt_i32_e64 s8, v24, v58
	v_cmp_le_i32_e64 s6, v23, v59
	ds_load_b32 v56, v61
	ds_load_b32 v57, v62
	s_wait_dscnt 0x0
	v_cmp_lt_i32_e64 s7, v57, v56
	s_or_b32 s6, s6, s7
	s_wait_alu 0xfffe
	s_and_b32 s6, s8, s6
	s_wait_alu 0xfffe
	s_xor_b32 s7, s6, -1
	s_wait_alu 0xfffe
	s_and_saveexec_b32 s8, s7
	s_delay_alu instid0(SALU_CYCLE_1)
	s_xor_b32 s7, exec_lo, s8
; %bb.39:                               ;   in Loop: Header=BB13_2 Depth=1
	ds_load_b32 v60, v61 offset:4
                                        ; implicit-def: $vgpr62
; %bb.40:                               ;   in Loop: Header=BB13_2 Depth=1
	s_wait_alu 0xfffe
	s_or_saveexec_b32 s7, s7
	v_mov_b32_e32 v61, v57
	s_wait_alu 0xfffe
	s_xor_b32 exec_lo, exec_lo, s7
	s_cbranch_execz .LBB13_42
; %bb.41:                               ;   in Loop: Header=BB13_2 Depth=1
	ds_load_b32 v61, v62 offset:4
	s_wait_dscnt 0x1
	v_mov_b32_e32 v60, v56
.LBB13_42:                              ;   in Loop: Header=BB13_2 Depth=1
	s_or_b32 exec_lo, exec_lo, s7
	v_add_nc_u32_e32 v62, 1, v59
	v_add_nc_u32_e32 v63, 1, v58
	s_wait_dscnt 0x0
	v_cmp_lt_i32_e64 s7, v61, v60
	s_wait_loadcnt 0x0
	s_barrier_signal -1
	v_cndmask_b32_e64 v62, v62, v59, s6
	v_cndmask_b32_e64 v63, v58, v63, s6
	;; [unrolled: 1-line block ×3, first 2 shown]
	s_barrier_wait -1
	global_inv scope:SCOPE_SE
	v_cmp_ge_i32_e64 s8, v62, v23
	v_cmp_lt_i32_e64 s9, v63, v24
	ds_store_2addr_b32 v1, v54, v55 offset1:1
	v_lshlrev_b32_e32 v54, 2, v58
	s_wait_loadcnt_dscnt 0x0
	s_or_b32 s7, s8, s7
	s_barrier_signal -1
	s_wait_alu 0xfffe
	s_and_b32 s7, s9, s7
	s_barrier_wait -1
	s_wait_alu 0xfffe
	v_cndmask_b32_e64 v59, v60, v61, s7
	v_cndmask_b32_e64 v60, v62, v63, s7
	global_inv scope:SCOPE_SE
	v_cndmask_b32_e64 v56, v56, v57, s6
	v_lshlrev_b32_e32 v55, 2, v60
	ds_load_b32 v54, v54
	ds_load_b32 v55, v55
	s_wait_loadcnt_dscnt 0x0
	s_barrier_signal -1
	s_barrier_wait -1
	global_inv scope:SCOPE_SE
	ds_store_2addr_b32 v1, v56, v59 offset1:1
	v_mov_b32_e32 v59, v52
	s_wait_loadcnt_dscnt 0x0
	s_barrier_signal -1
	s_barrier_wait -1
	global_inv scope:SCOPE_SE
	s_and_saveexec_b32 s7, s5
	s_cbranch_execz .LBB13_46
; %bb.43:                               ;   in Loop: Header=BB13_2 Depth=1
	v_dual_mov_b32 v59, v52 :: v_dual_mov_b32 v56, v46
	s_mov_b32 s8, 0
.LBB13_44:                              ;   Parent Loop BB13_2 Depth=1
                                        ; =>  This Inner Loop Header: Depth=2
	s_delay_alu instid0(VALU_DEP_1) | instskip(NEXT) | instid1(VALU_DEP_1)
	v_sub_nc_u32_e32 v57, v56, v59
	v_lshrrev_b32_e32 v57, 1, v57
	s_delay_alu instid0(VALU_DEP_1) | instskip(NEXT) | instid1(VALU_DEP_1)
	v_add_nc_u32_e32 v57, v57, v59
	v_not_b32_e32 v58, v57
	v_lshl_add_u32 v60, v57, 2, v28
	v_add_nc_u32_e32 v61, 1, v57
	s_delay_alu instid0(VALU_DEP_3)
	v_lshl_add_u32 v58, v58, 2, v40
	ds_load_b32 v60, v60
	ds_load_b32 v58, v58
	s_wait_dscnt 0x0
	v_cmp_lt_i32_e64 s6, v58, v60
	s_wait_alu 0xf1ff
	s_delay_alu instid0(VALU_DEP_1) | instskip(SKIP_1) | instid1(VALU_DEP_1)
	v_cndmask_b32_e64 v56, v56, v57, s6
	v_cndmask_b32_e64 v59, v61, v59, s6
	v_cmp_ge_i32_e64 s6, v59, v56
	s_or_b32 s8, s6, s8
	s_delay_alu instid0(SALU_CYCLE_1)
	s_and_not1_b32 exec_lo, exec_lo, s8
	s_cbranch_execnz .LBB13_44
; %bb.45:                               ;   in Loop: Header=BB13_2 Depth=1
	s_or_b32 exec_lo, exec_lo, s8
.LBB13_46:                              ;   in Loop: Header=BB13_2 Depth=1
	s_wait_alu 0xfffe
	s_or_b32 exec_lo, exec_lo, s7
	v_sub_nc_u32_e32 v56, v34, v59
	v_lshl_add_u32 v61, v59, 2, v28
	v_add_nc_u32_e32 v59, v59, v7
                                        ; implicit-def: $vgpr60
	s_delay_alu instid0(VALU_DEP_3) | instskip(SKIP_1) | instid1(VALU_DEP_3)
	v_lshlrev_b32_e32 v62, 2, v56
	v_cmp_gt_i32_e64 s8, v27, v56
	v_cmp_le_i32_e64 s6, v26, v59
	ds_load_b32 v57, v61
	ds_load_b32 v58, v62
	s_wait_dscnt 0x0
	v_cmp_lt_i32_e64 s7, v58, v57
	s_or_b32 s6, s6, s7
	s_wait_alu 0xfffe
	s_and_b32 s6, s8, s6
	s_wait_alu 0xfffe
	s_xor_b32 s7, s6, -1
	s_wait_alu 0xfffe
	s_and_saveexec_b32 s8, s7
	s_delay_alu instid0(SALU_CYCLE_1)
	s_xor_b32 s7, exec_lo, s8
; %bb.47:                               ;   in Loop: Header=BB13_2 Depth=1
	ds_load_b32 v60, v61 offset:4
                                        ; implicit-def: $vgpr62
; %bb.48:                               ;   in Loop: Header=BB13_2 Depth=1
	s_wait_alu 0xfffe
	s_or_saveexec_b32 s7, s7
	v_mov_b32_e32 v61, v58
	s_wait_alu 0xfffe
	s_xor_b32 exec_lo, exec_lo, s7
	s_cbranch_execz .LBB13_50
; %bb.49:                               ;   in Loop: Header=BB13_2 Depth=1
	ds_load_b32 v61, v62 offset:4
	s_wait_dscnt 0x1
	v_mov_b32_e32 v60, v57
.LBB13_50:                              ;   in Loop: Header=BB13_2 Depth=1
	s_or_b32 exec_lo, exec_lo, s7
	v_add_nc_u32_e32 v62, 1, v59
	v_add_nc_u32_e32 v63, 1, v56
	s_wait_dscnt 0x0
	v_cmp_lt_i32_e64 s7, v61, v60
	s_wait_loadcnt 0x0
	s_barrier_signal -1
	v_cndmask_b32_e64 v62, v62, v59, s6
	v_cndmask_b32_e64 v63, v56, v63, s6
	;; [unrolled: 1-line block ×3, first 2 shown]
	s_barrier_wait -1
	global_inv scope:SCOPE_SE
	v_cmp_ge_i32_e64 s8, v62, v26
	v_cmp_lt_i32_e64 s9, v63, v27
	ds_store_2addr_b32 v1, v54, v55 offset1:1
	v_lshlrev_b32_e32 v54, 2, v56
	s_wait_loadcnt_dscnt 0x0
	s_or_b32 s7, s8, s7
	s_barrier_signal -1
	s_wait_alu 0xfffe
	s_and_b32 s7, s9, s7
	s_barrier_wait -1
	s_wait_alu 0xfffe
	v_cndmask_b32_e64 v59, v60, v61, s7
	v_cndmask_b32_e64 v60, v62, v63, s7
	global_inv scope:SCOPE_SE
	v_lshlrev_b32_e32 v56, 2, v60
	ds_load_b32 v55, v54
	ds_load_b32 v56, v56
	v_cndmask_b32_e64 v54, v57, v58, s6
	s_wait_loadcnt_dscnt 0x0
	s_barrier_signal -1
	s_barrier_wait -1
	global_inv scope:SCOPE_SE
	ds_store_2addr_b32 v1, v54, v59 offset1:1
	v_mov_b32_e32 v54, v8
	s_wait_loadcnt_dscnt 0x0
	s_barrier_signal -1
	s_barrier_wait -1
	global_inv scope:SCOPE_SE
	s_and_saveexec_b32 s7, vcc_lo
	s_cbranch_execz .LBB13_54
; %bb.51:                               ;   in Loop: Header=BB13_2 Depth=1
	v_dual_mov_b32 v54, v8 :: v_dual_mov_b32 v57, v9
	s_mov_b32 s8, 0
.LBB13_52:                              ;   Parent Loop BB13_2 Depth=1
                                        ; =>  This Inner Loop Header: Depth=2
	s_delay_alu instid0(VALU_DEP_1) | instskip(NEXT) | instid1(VALU_DEP_1)
	v_sub_nc_u32_e32 v58, v57, v54
	v_lshrrev_b32_e32 v58, 1, v58
	s_delay_alu instid0(VALU_DEP_1) | instskip(NEXT) | instid1(VALU_DEP_1)
	v_add_nc_u32_e32 v58, v58, v54
	v_not_b32_e32 v59, v58
	v_lshlrev_b32_e32 v60, 2, v58
	v_add_nc_u32_e32 v61, 1, v58
	s_delay_alu instid0(VALU_DEP_3)
	v_lshl_add_u32 v59, v59, 2, v53
	ds_load_b32 v60, v60
	ds_load_b32 v59, v59
	s_wait_dscnt 0x0
	v_cmp_lt_i32_e64 s6, v59, v60
	s_wait_alu 0xf1ff
	s_delay_alu instid0(VALU_DEP_1) | instskip(SKIP_1) | instid1(VALU_DEP_1)
	v_cndmask_b32_e64 v57, v57, v58, s6
	v_cndmask_b32_e64 v54, v61, v54, s6
	v_cmp_ge_i32_e64 s6, v54, v57
	s_or_b32 s8, s6, s8
	s_delay_alu instid0(SALU_CYCLE_1)
	s_and_not1_b32 exec_lo, exec_lo, s8
	s_cbranch_execnz .LBB13_52
; %bb.53:                               ;   in Loop: Header=BB13_2 Depth=1
	s_or_b32 exec_lo, exec_lo, s8
.LBB13_54:                              ;   in Loop: Header=BB13_2 Depth=1
	s_wait_alu 0xfffe
	s_or_b32 exec_lo, exec_lo, s7
	v_sub_nc_u32_e32 v57, v10, v54
	v_lshlrev_b32_e32 v62, 2, v54
	v_cmp_le_i32_e64 s6, 0x80, v54
                                        ; implicit-def: $vgpr61
                                        ; implicit-def: $vgpr60
	s_delay_alu instid0(VALU_DEP_3)
	v_lshlrev_b32_e32 v63, 2, v57
	v_cmp_gt_i32_e64 s8, 0x100, v57
	ds_load_b32 v58, v62
	ds_load_b32 v59, v63
	s_wait_dscnt 0x0
	v_cmp_lt_i32_e64 s7, v59, v58
	s_or_b32 s6, s6, s7
	s_wait_alu 0xfffe
	s_and_b32 s6, s8, s6
	s_wait_alu 0xfffe
	s_xor_b32 s7, s6, -1
	s_wait_alu 0xfffe
	s_and_saveexec_b32 s8, s7
	s_delay_alu instid0(SALU_CYCLE_1)
	s_xor_b32 s7, exec_lo, s8
; %bb.55:                               ;   in Loop: Header=BB13_2 Depth=1
	ds_load_b32 v61, v62 offset:4
	v_add_nc_u32_e32 v60, 1, v54
                                        ; implicit-def: $vgpr63
; %bb.56:                               ;   in Loop: Header=BB13_2 Depth=1
	s_wait_alu 0xfffe
	s_or_saveexec_b32 s7, s7
	v_mov_b32_e32 v62, v54
	v_mov_b32_e32 v64, v59
	s_wait_alu 0xfffe
	s_xor_b32 exec_lo, exec_lo, s7
	s_cbranch_execz .LBB13_1
; %bb.57:                               ;   in Loop: Header=BB13_2 Depth=1
	ds_load_b32 v64, v63 offset:4
	s_wait_dscnt 0x1
	v_dual_mov_b32 v62, v57 :: v_dual_add_nc_u32 v61, 1, v57
	s_delay_alu instid0(VALU_DEP_1)
	v_dual_mov_b32 v60, v54 :: v_dual_mov_b32 v57, v61
	v_mov_b32_e32 v61, v58
	s_branch .LBB13_1
.LBB13_58:
	s_wait_dscnt 0x1
	v_add_nc_u32_e32 v1, v55, v57
	v_lshlrev_b32_e32 v0, 2, v0
	s_wait_dscnt 0x0
	v_add_nc_u32_e32 v2, v54, v56
	s_add_nc_u64 s[0:1], s[14:15], s[16:17]
	s_clause 0x1
	global_store_b32 v0, v1, s[0:1]
	global_store_b32 v0, v2, s[0:1] offset:512
	s_endpgm
	.section	.rodata,"a",@progbits
	.p2align	6, 0x0
	.amdhsa_kernel _Z17sort_pairs_kernelIiLj128ELj2EN10test_utils4lessELj10EEvPKT_PS2_T2_
		.amdhsa_group_segment_fixed_size 1028
		.amdhsa_private_segment_fixed_size 0
		.amdhsa_kernarg_size 20
		.amdhsa_user_sgpr_count 2
		.amdhsa_user_sgpr_dispatch_ptr 0
		.amdhsa_user_sgpr_queue_ptr 0
		.amdhsa_user_sgpr_kernarg_segment_ptr 1
		.amdhsa_user_sgpr_dispatch_id 0
		.amdhsa_user_sgpr_private_segment_size 0
		.amdhsa_wavefront_size32 1
		.amdhsa_uses_dynamic_stack 0
		.amdhsa_enable_private_segment 0
		.amdhsa_system_sgpr_workgroup_id_x 1
		.amdhsa_system_sgpr_workgroup_id_y 0
		.amdhsa_system_sgpr_workgroup_id_z 0
		.amdhsa_system_sgpr_workgroup_info 0
		.amdhsa_system_vgpr_workitem_id 0
		.amdhsa_next_free_vgpr 67
		.amdhsa_next_free_sgpr 18
		.amdhsa_reserve_vcc 1
		.amdhsa_float_round_mode_32 0
		.amdhsa_float_round_mode_16_64 0
		.amdhsa_float_denorm_mode_32 3
		.amdhsa_float_denorm_mode_16_64 3
		.amdhsa_fp16_overflow 0
		.amdhsa_workgroup_processor_mode 1
		.amdhsa_memory_ordered 1
		.amdhsa_forward_progress 1
		.amdhsa_inst_pref_size 37
		.amdhsa_round_robin_scheduling 0
		.amdhsa_exception_fp_ieee_invalid_op 0
		.amdhsa_exception_fp_denorm_src 0
		.amdhsa_exception_fp_ieee_div_zero 0
		.amdhsa_exception_fp_ieee_overflow 0
		.amdhsa_exception_fp_ieee_underflow 0
		.amdhsa_exception_fp_ieee_inexact 0
		.amdhsa_exception_int_div_zero 0
	.end_amdhsa_kernel
	.section	.text._Z17sort_pairs_kernelIiLj128ELj2EN10test_utils4lessELj10EEvPKT_PS2_T2_,"axG",@progbits,_Z17sort_pairs_kernelIiLj128ELj2EN10test_utils4lessELj10EEvPKT_PS2_T2_,comdat
.Lfunc_end13:
	.size	_Z17sort_pairs_kernelIiLj128ELj2EN10test_utils4lessELj10EEvPKT_PS2_T2_, .Lfunc_end13-_Z17sort_pairs_kernelIiLj128ELj2EN10test_utils4lessELj10EEvPKT_PS2_T2_
                                        ; -- End function
	.set _Z17sort_pairs_kernelIiLj128ELj2EN10test_utils4lessELj10EEvPKT_PS2_T2_.num_vgpr, 67
	.set _Z17sort_pairs_kernelIiLj128ELj2EN10test_utils4lessELj10EEvPKT_PS2_T2_.num_agpr, 0
	.set _Z17sort_pairs_kernelIiLj128ELj2EN10test_utils4lessELj10EEvPKT_PS2_T2_.numbered_sgpr, 18
	.set _Z17sort_pairs_kernelIiLj128ELj2EN10test_utils4lessELj10EEvPKT_PS2_T2_.num_named_barrier, 0
	.set _Z17sort_pairs_kernelIiLj128ELj2EN10test_utils4lessELj10EEvPKT_PS2_T2_.private_seg_size, 0
	.set _Z17sort_pairs_kernelIiLj128ELj2EN10test_utils4lessELj10EEvPKT_PS2_T2_.uses_vcc, 1
	.set _Z17sort_pairs_kernelIiLj128ELj2EN10test_utils4lessELj10EEvPKT_PS2_T2_.uses_flat_scratch, 0
	.set _Z17sort_pairs_kernelIiLj128ELj2EN10test_utils4lessELj10EEvPKT_PS2_T2_.has_dyn_sized_stack, 0
	.set _Z17sort_pairs_kernelIiLj128ELj2EN10test_utils4lessELj10EEvPKT_PS2_T2_.has_recursion, 0
	.set _Z17sort_pairs_kernelIiLj128ELj2EN10test_utils4lessELj10EEvPKT_PS2_T2_.has_indirect_call, 0
	.section	.AMDGPU.csdata,"",@progbits
; Kernel info:
; codeLenInByte = 4616
; TotalNumSgprs: 20
; NumVgprs: 67
; ScratchSize: 0
; MemoryBound: 0
; FloatMode: 240
; IeeeMode: 1
; LDSByteSize: 1028 bytes/workgroup (compile time only)
; SGPRBlocks: 0
; VGPRBlocks: 8
; NumSGPRsForWavesPerEU: 20
; NumVGPRsForWavesPerEU: 67
; Occupancy: 16
; WaveLimiterHint : 1
; COMPUTE_PGM_RSRC2:SCRATCH_EN: 0
; COMPUTE_PGM_RSRC2:USER_SGPR: 2
; COMPUTE_PGM_RSRC2:TRAP_HANDLER: 0
; COMPUTE_PGM_RSRC2:TGID_X_EN: 1
; COMPUTE_PGM_RSRC2:TGID_Y_EN: 0
; COMPUTE_PGM_RSRC2:TGID_Z_EN: 0
; COMPUTE_PGM_RSRC2:TIDIG_COMP_CNT: 0
	.section	.text._Z16sort_keys_kernelIiLj128ELj3EN10test_utils4lessELj10EEvPKT_PS2_T2_,"axG",@progbits,_Z16sort_keys_kernelIiLj128ELj3EN10test_utils4lessELj10EEvPKT_PS2_T2_,comdat
	.protected	_Z16sort_keys_kernelIiLj128ELj3EN10test_utils4lessELj10EEvPKT_PS2_T2_ ; -- Begin function _Z16sort_keys_kernelIiLj128ELj3EN10test_utils4lessELj10EEvPKT_PS2_T2_
	.globl	_Z16sort_keys_kernelIiLj128ELj3EN10test_utils4lessELj10EEvPKT_PS2_T2_
	.p2align	8
	.type	_Z16sort_keys_kernelIiLj128ELj3EN10test_utils4lessELj10EEvPKT_PS2_T2_,@function
_Z16sort_keys_kernelIiLj128ELj3EN10test_utils4lessELj10EEvPKT_PS2_T2_: ; @_Z16sort_keys_kernelIiLj128ELj3EN10test_utils4lessELj10EEvPKT_PS2_T2_
; %bb.0:
	s_load_b128 s[12:15], s[0:1], 0x0
	s_mul_i32 s10, ttmp9, 0x180
	s_mov_b32 s11, 0
	v_lshlrev_b32_e32 v1, 2, v0
	s_lshl_b64 s[16:17], s[10:11], 2
	v_and_b32_e32 v4, 1, v0
	v_and_b32_e32 v5, 0x7c, v0
	;; [unrolled: 1-line block ×5, first 2 shown]
	v_cmp_eq_u32_e32 vcc_lo, 1, v4
	v_mul_u32_u24_e32 v10, 3, v5
	v_mul_u32_u24_e32 v49, 3, v58
	;; [unrolled: 1-line block ×3, first 2 shown]
	v_and_b32_e32 v18, 0x70, v0
	v_cndmask_b32_e64 v56, 0, 3, vcc_lo
	v_min_u32_e32 v57, 0x17a, v10
	v_min_u32_e32 v8, 0x174, v10
	;; [unrolled: 1-line block ×4, first 2 shown]
	s_wait_kmcnt 0x0
	s_add_nc_u64 s[0:1], s[12:13], s[16:17]
	v_mul_u32_u24_e32 v50, 3, v60
	s_clause 0x2
	global_load_b32 v62, v1, s[0:1]
	global_load_b32 v63, v1, s[0:1] offset:512
	global_load_b32 v61, v1, s[0:1] offset:1024
	v_and_b32_e32 v1, 0x7e, v0
	v_add_nc_u32_e32 v8, 12, v8
	v_add_nc_u32_e32 v15, 24, v15
	v_mul_u32_u24_e32 v24, 3, v18
	v_and_b32_e32 v65, 15, v0
	v_mul_u32_u24_e32 v3, 3, v1
	v_and_b32_e32 v25, 0x60, v0
	v_and_b32_e32 v32, 64, v0
	v_min_u32_e32 v64, 0x168, v24
	v_min_u32_e32 v22, 0x150, v24
	;; [unrolled: 1-line block ×4, first 2 shown]
	v_mul_u32_u24_e32 v51, 3, v65
	v_mul_u32_u24_e32 v31, 3, v25
	v_add_nc_u32_e32 v22, 48, v22
	v_add_nc_u32_e32 v1, 3, v55
	v_add_nc_u32_e32 v2, 6, v2
	v_mul_u32_u24_e32 v36, 3, v32
	v_min_u32_e32 v66, 0x150, v31
	v_min_u32_e32 v29, 0x120, v31
	v_and_b32_e32 v67, 31, v0
	v_sub_nc_u32_e32 v6, v2, v1
	v_min_u32_e32 v68, 0x120, v36
	v_min_u32_e32 v33, 0xc0, v36
	v_add_nc_u32_e32 v29, 0x60, v29
	v_and_b32_e32 v69, 63, v0
	v_sub_nc_u32_e32 v7, v56, v6
	v_cmp_ge_i32_e32 vcc_lo, v56, v6
	v_add_nc_u32_e32 v32, 0x60, v68
	v_add_nc_u32_e32 v33, 0xc0, v33
	v_min_u32_e32 v10, 0x180, v10
	v_min_u32_e32 v17, 0x180, v17
	s_wait_alu 0xfffd
	v_dual_cndmask_b32 v6, 0, v7 :: v_dual_add_nc_u32 v7, 6, v57
	v_min_u32_e32 v24, 0x180, v24
	v_mul_u32_u24_e32 v52, 3, v67
	v_min_u32_e32 v31, 0x180, v31
	v_mul_u32_u24_e32 v53, 3, v69
	v_sub_nc_u32_e32 v13, v8, v7
	v_sub_nc_u32_e32 v41, v33, v32
	v_min_u32_e32 v36, 0x180, v36
	v_min_u32_e32 v3, 0x180, v3
	v_sub_nc_u32_e32 v16, v7, v10
	v_sub_nc_u32_e32 v14, v49, v13
	v_cmp_ge_i32_e64 s0, v49, v13
	v_sub_nc_u32_e32 v42, v53, v41
	v_sub_nc_u32_e32 v43, v32, v36
	v_mul_u32_u24_e32 v39, 3, v0
	v_cmp_ge_i32_e64 s4, v53, v41
	v_cndmask_b32_e64 v13, 0, v14, s0
	v_add_nc_u32_e32 v14, 12, v59
	v_sub_nc_u32_e32 v9, v1, v3
	v_min_i32_e32 v16, v49, v16
	v_cndmask_b32_e64 v41, 0, v42, s4
	v_min_i32_e32 v42, v53, v43
	v_sub_nc_u32_e32 v20, v15, v14
	v_sub_nc_u32_e32 v23, v14, v17
	v_subrev_nc_u32_e64 v43, 0xc0, v39 clamp
	v_min_i32_e32 v44, 0xc0, v39
	v_lshlrev_b32_e32 v48, 2, v56
	v_sub_nc_u32_e32 v21, v50, v20
	v_cmp_ge_i32_e64 s1, v50, v20
	v_min_i32_e32 v23, v50, v23
	v_lshlrev_b32_e32 v49, 2, v49
	v_lshlrev_b32_e32 v50, 2, v50
	;; [unrolled: 1-line block ×3, first 2 shown]
	s_wait_alu 0xf1ff
	v_cndmask_b32_e64 v20, 0, v21, s1
	v_add_nc_u32_e32 v21, 24, v64
	v_mul_u32_u24_e32 v4, 12, v0
	v_lshlrev_b32_e32 v5, 2, v3
	v_min_i32_e32 v9, v56, v9
	v_add_nc_u32_e32 v11, v1, v56
	v_sub_nc_u32_e32 v27, v22, v21
	v_sub_nc_u32_e32 v30, v21, v24
	v_lshlrev_b32_e32 v12, 2, v10
	v_cmp_lt_i32_e64 s0, v13, v16
	v_mad_u32_u24 v18, v58, 3, v7
	v_sub_nc_u32_e32 v28, v51, v27
	v_cmp_ge_i32_e64 s2, v51, v27
	v_min_i32_e32 v30, v51, v30
	v_lshlrev_b32_e32 v51, 2, v51
	v_lshlrev_b32_e32 v19, 2, v17
	v_cmp_lt_i32_e64 s1, v20, v23
	v_cndmask_b32_e64 v27, 0, v28, s2
	v_add_nc_u32_e32 v28, 48, v66
	v_mad_u32_u24 v25, v60, 3, v14
	v_lshlrev_b32_e32 v26, 2, v24
	v_lshlrev_b32_e32 v38, 2, v31
	v_cmp_lt_i32_e64 s2, v27, v30
	v_sub_nc_u32_e32 v34, v29, v28
	v_sub_nc_u32_e32 v35, v28, v31
	v_mad_u32_u24 v40, v67, 3, v28
	v_lshlrev_b32_e32 v45, 2, v36
	v_cmp_lt_i32_e64 s4, v41, v42
	v_sub_nc_u32_e32 v37, v52, v34
	v_cmp_ge_i32_e64 s3, v52, v34
	v_min_i32_e32 v35, v52, v35
	v_lshlrev_b32_e32 v52, 2, v52
	v_mad_u32_u24 v46, v69, 3, v32
	v_cmp_lt_i32_e64 s5, v43, v44
	s_wait_alu 0xf1ff
	v_cndmask_b32_e64 v34, 0, v37, s3
	v_mad_u32_u24 v37, v65, 3, v21
	v_mad_u32_u24 v47, v0, 3, 0xc0
	v_lshl_add_u32 v48, v55, 2, v48
	v_lshl_add_u32 v49, v57, 2, v49
	v_cmp_lt_i32_e64 s3, v34, v35
	v_lshl_add_u32 v50, v59, 2, v50
	v_lshl_add_u32 v51, v64, 2, v51
	;; [unrolled: 1-line block ×4, first 2 shown]
	v_lshlrev_b32_e32 v54, 2, v39
	v_add_nc_u32_e32 v55, v55, v56
	v_mad_u32_u24 v56, v58, 3, v57
	v_mad_u32_u24 v57, v60, 3, v59
	;; [unrolled: 1-line block ×5, first 2 shown]
	v_cmp_lt_i32_e32 vcc_lo, v6, v9
	s_branch .LBB14_2
.LBB14_1:                               ;   in Loop: Header=BB14_2 Depth=1
	s_or_b32 exec_lo, exec_lo, s8
	v_cmp_le_i32_e64 s8, 0xc0, v68
	s_wait_dscnt 0x0
	v_cmp_lt_i32_e64 s9, v69, v66
	v_cmp_gt_i32_e64 s10, 0x180, v63
	v_cndmask_b32_e64 v62, v61, v62, s6
	v_cndmask_b32_e64 v63, v64, v65, s7
	s_add_co_i32 s11, s11, 1
	s_or_b32 s6, s8, s9
	s_wait_alu 0xfffe
	s_and_b32 s6, s10, s6
	s_cmp_eq_u32 s11, 10
	s_wait_alu 0xfffe
	v_cndmask_b32_e64 v61, v66, v69, s6
	s_cbranch_scc1 .LBB14_86
.LBB14_2:                               ; =>This Loop Header: Depth=1
                                        ;     Child Loop BB14_4 Depth 2
                                        ;     Child Loop BB14_16 Depth 2
	;; [unrolled: 1-line block ×7, first 2 shown]
	s_wait_loadcnt 0x1
	v_cmp_lt_i32_e64 s6, v63, v62
	v_max_i32_e32 v64, v63, v62
	v_min_i32_e32 v66, v63, v62
	s_wait_loadcnt 0x0
	s_barrier_signal -1
	s_wait_alu 0xf1ff
	v_cndmask_b32_e64 v65, v62, v63, s6
	v_cndmask_b32_e64 v62, v63, v62, s6
	v_cmp_lt_i32_e64 s6, v61, v64
	v_min_i32_e32 v63, v61, v64
	v_cmp_lt_i32_e64 s7, v61, v66
	s_barrier_wait -1
	global_inv scope:SCOPE_SE
	s_wait_alu 0xf1ff
	v_cndmask_b32_e64 v67, v61, v64, s6
	v_cndmask_b32_e64 v61, v62, v61, s6
	;; [unrolled: 1-line block ×3, first 2 shown]
	v_mov_b32_e32 v63, v6
	s_delay_alu instid0(VALU_DEP_3)
	v_cndmask_b32_e64 v61, v61, v66, s7
	ds_store_2addr_b32 v4, v62, v61 offset1:1
	ds_store_b32 v4, v67 offset:8
	s_wait_loadcnt_dscnt 0x0
	s_barrier_signal -1
	s_barrier_wait -1
	global_inv scope:SCOPE_SE
	s_and_saveexec_b32 s7, vcc_lo
	s_cbranch_execz .LBB14_6
; %bb.3:                                ;   in Loop: Header=BB14_2 Depth=1
	v_mov_b32_e32 v63, v6
	v_mov_b32_e32 v61, v9
	s_mov_b32 s8, 0
.LBB14_4:                               ;   Parent Loop BB14_2 Depth=1
                                        ; =>  This Inner Loop Header: Depth=2
	s_delay_alu instid0(VALU_DEP_1) | instskip(NEXT) | instid1(VALU_DEP_1)
	v_sub_nc_u32_e32 v62, v61, v63
	v_lshrrev_b32_e32 v62, 1, v62
	s_delay_alu instid0(VALU_DEP_1) | instskip(NEXT) | instid1(VALU_DEP_1)
	v_add_nc_u32_e32 v62, v62, v63
	v_not_b32_e32 v64, v62
	v_lshl_add_u32 v65, v62, 2, v5
	v_add_nc_u32_e32 v66, 1, v62
	s_delay_alu instid0(VALU_DEP_3)
	v_lshl_add_u32 v64, v64, 2, v48
	ds_load_b32 v65, v65
	ds_load_b32 v64, v64 offset:12
	s_wait_dscnt 0x0
	v_cmp_lt_i32_e64 s6, v64, v65
	s_wait_alu 0xf1ff
	s_delay_alu instid0(VALU_DEP_1) | instskip(SKIP_1) | instid1(VALU_DEP_1)
	v_cndmask_b32_e64 v61, v61, v62, s6
	v_cndmask_b32_e64 v63, v66, v63, s6
	v_cmp_ge_i32_e64 s6, v63, v61
	s_or_b32 s8, s6, s8
	s_delay_alu instid0(SALU_CYCLE_1)
	s_and_not1_b32 exec_lo, exec_lo, s8
	s_cbranch_execnz .LBB14_4
; %bb.5:                                ;   in Loop: Header=BB14_2 Depth=1
	s_or_b32 exec_lo, exec_lo, s8
.LBB14_6:                               ;   in Loop: Header=BB14_2 Depth=1
	s_wait_alu 0xfffe
	s_or_b32 exec_lo, exec_lo, s7
	v_sub_nc_u32_e32 v61, v55, v63
	v_lshl_add_u32 v64, v63, 2, v5
	v_add_nc_u32_e32 v65, v63, v3
	v_sub_nc_u32_e32 v66, v11, v63
                                        ; implicit-def: $vgpr63
	s_delay_alu instid0(VALU_DEP_4)
	v_lshlrev_b32_e32 v67, 2, v61
	ds_load_b32 v61, v64
	ds_load_b32 v62, v67 offset:12
	v_cmp_le_i32_e64 s6, v1, v65
	v_cmp_gt_i32_e64 s8, v2, v66
	s_wait_dscnt 0x0
	v_cmp_lt_i32_e64 s7, v62, v61
	s_or_b32 s6, s6, s7
	s_wait_alu 0xfffe
	s_and_b32 s6, s8, s6
	s_wait_alu 0xfffe
	s_xor_b32 s7, s6, -1
	s_wait_alu 0xfffe
	s_and_saveexec_b32 s8, s7
	s_delay_alu instid0(SALU_CYCLE_1)
	s_xor_b32 s7, exec_lo, s8
; %bb.7:                                ;   in Loop: Header=BB14_2 Depth=1
	ds_load_b32 v63, v64 offset:4
                                        ; implicit-def: $vgpr67
; %bb.8:                                ;   in Loop: Header=BB14_2 Depth=1
	s_wait_alu 0xfffe
	s_or_saveexec_b32 s7, s7
	v_mov_b32_e32 v64, v62
	s_wait_alu 0xfffe
	s_xor_b32 exec_lo, exec_lo, s7
	s_cbranch_execz .LBB14_10
; %bb.9:                                ;   in Loop: Header=BB14_2 Depth=1
	ds_load_b32 v64, v67 offset:16
	s_wait_dscnt 0x1
	v_mov_b32_e32 v63, v61
.LBB14_10:                              ;   in Loop: Header=BB14_2 Depth=1
	s_or_b32 exec_lo, exec_lo, s7
	v_add_nc_u32_e32 v67, 1, v65
	v_add_nc_u32_e32 v68, 1, v66
	s_wait_dscnt 0x0
	v_cmp_lt_i32_e64 s8, v64, v63
	s_delay_alu instid0(VALU_DEP_3) | instskip(NEXT) | instid1(VALU_DEP_3)
	v_cndmask_b32_e64 v67, v67, v65, s6
	v_cndmask_b32_e64 v66, v66, v68, s6
                                        ; implicit-def: $vgpr65
	s_delay_alu instid0(VALU_DEP_2) | instskip(NEXT) | instid1(VALU_DEP_2)
	v_cmp_ge_i32_e64 s7, v67, v1
	v_cmp_lt_i32_e64 s9, v66, v2
	s_or_b32 s7, s7, s8
	s_wait_alu 0xfffe
	s_and_b32 s7, s9, s7
	s_wait_alu 0xfffe
	s_xor_b32 s8, s7, -1
	s_delay_alu instid0(SALU_CYCLE_1) | instskip(NEXT) | instid1(SALU_CYCLE_1)
	s_and_saveexec_b32 s9, s8
	s_xor_b32 s8, exec_lo, s9
; %bb.11:                               ;   in Loop: Header=BB14_2 Depth=1
	v_lshlrev_b32_e32 v65, 2, v67
	ds_load_b32 v65, v65 offset:4
; %bb.12:                               ;   in Loop: Header=BB14_2 Depth=1
	s_or_saveexec_b32 s8, s8
	v_mov_b32_e32 v68, v64
	s_xor_b32 exec_lo, exec_lo, s8
	s_cbranch_execz .LBB14_14
; %bb.13:                               ;   in Loop: Header=BB14_2 Depth=1
	s_wait_dscnt 0x0
	v_lshlrev_b32_e32 v65, 2, v66
	ds_load_b32 v68, v65 offset:4
	v_mov_b32_e32 v65, v63
.LBB14_14:                              ;   in Loop: Header=BB14_2 Depth=1
	s_or_b32 exec_lo, exec_lo, s8
	v_add_nc_u32_e32 v69, 1, v67
	v_add_nc_u32_e32 v70, 1, v66
	v_cndmask_b32_e64 v64, v63, v64, s7
	v_mov_b32_e32 v63, v13
	s_wait_dscnt 0x0
	v_cmp_lt_i32_e64 s8, v68, v65
	v_cndmask_b32_e64 v67, v69, v67, s7
	v_cndmask_b32_e64 v66, v66, v70, s7
	;; [unrolled: 1-line block ×3, first 2 shown]
	s_wait_loadcnt 0x0
	s_barrier_signal -1
	v_cmp_ge_i32_e64 s9, v67, v1
	v_cmp_lt_i32_e64 s7, v66, v2
	s_barrier_wait -1
	global_inv scope:SCOPE_SE
	s_or_b32 s6, s9, s8
	s_wait_alu 0xfffe
	s_and_b32 s6, s7, s6
	s_wait_alu 0xfffe
	v_cndmask_b32_e64 v62, v65, v68, s6
	ds_store_2addr_b32 v4, v61, v64 offset1:1
	ds_store_b32 v4, v62 offset:8
	s_wait_loadcnt_dscnt 0x0
	s_barrier_signal -1
	s_barrier_wait -1
	global_inv scope:SCOPE_SE
	s_and_saveexec_b32 s7, s0
	s_cbranch_execz .LBB14_18
; %bb.15:                               ;   in Loop: Header=BB14_2 Depth=1
	v_mov_b32_e32 v63, v13
	v_mov_b32_e32 v61, v16
	s_mov_b32 s8, 0
.LBB14_16:                              ;   Parent Loop BB14_2 Depth=1
                                        ; =>  This Inner Loop Header: Depth=2
	s_delay_alu instid0(VALU_DEP_1) | instskip(NEXT) | instid1(VALU_DEP_1)
	v_sub_nc_u32_e32 v62, v61, v63
	v_lshrrev_b32_e32 v62, 1, v62
	s_delay_alu instid0(VALU_DEP_1) | instskip(NEXT) | instid1(VALU_DEP_1)
	v_add_nc_u32_e32 v62, v62, v63
	v_not_b32_e32 v64, v62
	v_lshl_add_u32 v65, v62, 2, v12
	v_add_nc_u32_e32 v66, 1, v62
	s_delay_alu instid0(VALU_DEP_3)
	v_lshl_add_u32 v64, v64, 2, v49
	ds_load_b32 v65, v65
	ds_load_b32 v64, v64 offset:24
	s_wait_dscnt 0x0
	v_cmp_lt_i32_e64 s6, v64, v65
	s_wait_alu 0xf1ff
	s_delay_alu instid0(VALU_DEP_1) | instskip(SKIP_1) | instid1(VALU_DEP_1)
	v_cndmask_b32_e64 v61, v61, v62, s6
	v_cndmask_b32_e64 v63, v66, v63, s6
	v_cmp_ge_i32_e64 s6, v63, v61
	s_or_b32 s8, s6, s8
	s_delay_alu instid0(SALU_CYCLE_1)
	s_and_not1_b32 exec_lo, exec_lo, s8
	s_cbranch_execnz .LBB14_16
; %bb.17:                               ;   in Loop: Header=BB14_2 Depth=1
	s_or_b32 exec_lo, exec_lo, s8
.LBB14_18:                              ;   in Loop: Header=BB14_2 Depth=1
	s_wait_alu 0xfffe
	s_or_b32 exec_lo, exec_lo, s7
	v_sub_nc_u32_e32 v61, v56, v63
	v_lshl_add_u32 v64, v63, 2, v12
	v_add_nc_u32_e32 v65, v63, v10
	v_sub_nc_u32_e32 v66, v18, v63
                                        ; implicit-def: $vgpr63
	s_delay_alu instid0(VALU_DEP_4)
	v_lshlrev_b32_e32 v67, 2, v61
	ds_load_b32 v61, v64
	ds_load_b32 v62, v67 offset:24
	v_cmp_le_i32_e64 s6, v7, v65
	v_cmp_gt_i32_e64 s8, v8, v66
	s_wait_dscnt 0x0
	v_cmp_lt_i32_e64 s7, v62, v61
	s_or_b32 s6, s6, s7
	s_wait_alu 0xfffe
	s_and_b32 s6, s8, s6
	s_wait_alu 0xfffe
	s_xor_b32 s7, s6, -1
	s_wait_alu 0xfffe
	s_and_saveexec_b32 s8, s7
	s_delay_alu instid0(SALU_CYCLE_1)
	s_xor_b32 s7, exec_lo, s8
; %bb.19:                               ;   in Loop: Header=BB14_2 Depth=1
	ds_load_b32 v63, v64 offset:4
                                        ; implicit-def: $vgpr67
; %bb.20:                               ;   in Loop: Header=BB14_2 Depth=1
	s_wait_alu 0xfffe
	s_or_saveexec_b32 s7, s7
	v_mov_b32_e32 v64, v62
	s_wait_alu 0xfffe
	s_xor_b32 exec_lo, exec_lo, s7
	s_cbranch_execz .LBB14_22
; %bb.21:                               ;   in Loop: Header=BB14_2 Depth=1
	ds_load_b32 v64, v67 offset:28
	s_wait_dscnt 0x1
	v_mov_b32_e32 v63, v61
.LBB14_22:                              ;   in Loop: Header=BB14_2 Depth=1
	s_or_b32 exec_lo, exec_lo, s7
	v_add_nc_u32_e32 v67, 1, v65
	v_add_nc_u32_e32 v68, 1, v66
	s_wait_dscnt 0x0
	v_cmp_lt_i32_e64 s8, v64, v63
	s_delay_alu instid0(VALU_DEP_3) | instskip(NEXT) | instid1(VALU_DEP_3)
	v_cndmask_b32_e64 v67, v67, v65, s6
	v_cndmask_b32_e64 v66, v66, v68, s6
                                        ; implicit-def: $vgpr65
	s_delay_alu instid0(VALU_DEP_2) | instskip(NEXT) | instid1(VALU_DEP_2)
	v_cmp_ge_i32_e64 s7, v67, v7
	v_cmp_lt_i32_e64 s9, v66, v8
	s_or_b32 s7, s7, s8
	s_wait_alu 0xfffe
	s_and_b32 s7, s9, s7
	s_wait_alu 0xfffe
	s_xor_b32 s8, s7, -1
	s_delay_alu instid0(SALU_CYCLE_1) | instskip(NEXT) | instid1(SALU_CYCLE_1)
	s_and_saveexec_b32 s9, s8
	s_xor_b32 s8, exec_lo, s9
; %bb.23:                               ;   in Loop: Header=BB14_2 Depth=1
	v_lshlrev_b32_e32 v65, 2, v67
	ds_load_b32 v65, v65 offset:4
; %bb.24:                               ;   in Loop: Header=BB14_2 Depth=1
	s_or_saveexec_b32 s8, s8
	v_mov_b32_e32 v68, v64
	s_xor_b32 exec_lo, exec_lo, s8
	s_cbranch_execz .LBB14_26
; %bb.25:                               ;   in Loop: Header=BB14_2 Depth=1
	s_wait_dscnt 0x0
	v_lshlrev_b32_e32 v65, 2, v66
	ds_load_b32 v68, v65 offset:4
	v_mov_b32_e32 v65, v63
.LBB14_26:                              ;   in Loop: Header=BB14_2 Depth=1
	s_or_b32 exec_lo, exec_lo, s8
	v_add_nc_u32_e32 v69, 1, v67
	v_add_nc_u32_e32 v70, 1, v66
	v_cndmask_b32_e64 v64, v63, v64, s7
	v_mov_b32_e32 v63, v20
	s_wait_dscnt 0x0
	v_cmp_lt_i32_e64 s8, v68, v65
	v_cndmask_b32_e64 v67, v69, v67, s7
	v_cndmask_b32_e64 v66, v66, v70, s7
	;; [unrolled: 1-line block ×3, first 2 shown]
	s_wait_loadcnt 0x0
	s_barrier_signal -1
	v_cmp_ge_i32_e64 s9, v67, v7
	v_cmp_lt_i32_e64 s7, v66, v8
	s_barrier_wait -1
	global_inv scope:SCOPE_SE
	s_or_b32 s6, s9, s8
	s_wait_alu 0xfffe
	s_and_b32 s6, s7, s6
	s_wait_alu 0xfffe
	v_cndmask_b32_e64 v62, v65, v68, s6
	ds_store_2addr_b32 v4, v61, v64 offset1:1
	ds_store_b32 v4, v62 offset:8
	s_wait_loadcnt_dscnt 0x0
	s_barrier_signal -1
	s_barrier_wait -1
	global_inv scope:SCOPE_SE
	s_and_saveexec_b32 s7, s1
	s_cbranch_execz .LBB14_30
; %bb.27:                               ;   in Loop: Header=BB14_2 Depth=1
	v_mov_b32_e32 v63, v20
	v_mov_b32_e32 v61, v23
	s_mov_b32 s8, 0
.LBB14_28:                              ;   Parent Loop BB14_2 Depth=1
                                        ; =>  This Inner Loop Header: Depth=2
	s_delay_alu instid0(VALU_DEP_1) | instskip(NEXT) | instid1(VALU_DEP_1)
	v_sub_nc_u32_e32 v62, v61, v63
	v_lshrrev_b32_e32 v62, 1, v62
	s_delay_alu instid0(VALU_DEP_1) | instskip(NEXT) | instid1(VALU_DEP_1)
	v_add_nc_u32_e32 v62, v62, v63
	v_not_b32_e32 v64, v62
	v_lshl_add_u32 v65, v62, 2, v19
	v_add_nc_u32_e32 v66, 1, v62
	s_delay_alu instid0(VALU_DEP_3)
	v_lshl_add_u32 v64, v64, 2, v50
	ds_load_b32 v65, v65
	ds_load_b32 v64, v64 offset:48
	s_wait_dscnt 0x0
	v_cmp_lt_i32_e64 s6, v64, v65
	s_wait_alu 0xf1ff
	s_delay_alu instid0(VALU_DEP_1) | instskip(SKIP_1) | instid1(VALU_DEP_1)
	v_cndmask_b32_e64 v61, v61, v62, s6
	v_cndmask_b32_e64 v63, v66, v63, s6
	v_cmp_ge_i32_e64 s6, v63, v61
	s_or_b32 s8, s6, s8
	s_delay_alu instid0(SALU_CYCLE_1)
	s_and_not1_b32 exec_lo, exec_lo, s8
	s_cbranch_execnz .LBB14_28
; %bb.29:                               ;   in Loop: Header=BB14_2 Depth=1
	s_or_b32 exec_lo, exec_lo, s8
.LBB14_30:                              ;   in Loop: Header=BB14_2 Depth=1
	s_wait_alu 0xfffe
	s_or_b32 exec_lo, exec_lo, s7
	v_sub_nc_u32_e32 v61, v57, v63
	v_lshl_add_u32 v64, v63, 2, v19
	v_add_nc_u32_e32 v65, v63, v17
	v_sub_nc_u32_e32 v66, v25, v63
                                        ; implicit-def: $vgpr63
	s_delay_alu instid0(VALU_DEP_4)
	v_lshlrev_b32_e32 v67, 2, v61
	ds_load_b32 v61, v64
	ds_load_b32 v62, v67 offset:48
	v_cmp_le_i32_e64 s6, v14, v65
	v_cmp_gt_i32_e64 s8, v15, v66
	s_wait_dscnt 0x0
	v_cmp_lt_i32_e64 s7, v62, v61
	s_or_b32 s6, s6, s7
	s_wait_alu 0xfffe
	s_and_b32 s6, s8, s6
	s_wait_alu 0xfffe
	s_xor_b32 s7, s6, -1
	s_wait_alu 0xfffe
	s_and_saveexec_b32 s8, s7
	s_delay_alu instid0(SALU_CYCLE_1)
	s_xor_b32 s7, exec_lo, s8
; %bb.31:                               ;   in Loop: Header=BB14_2 Depth=1
	ds_load_b32 v63, v64 offset:4
                                        ; implicit-def: $vgpr67
; %bb.32:                               ;   in Loop: Header=BB14_2 Depth=1
	s_wait_alu 0xfffe
	s_or_saveexec_b32 s7, s7
	v_mov_b32_e32 v64, v62
	s_wait_alu 0xfffe
	s_xor_b32 exec_lo, exec_lo, s7
	s_cbranch_execz .LBB14_34
; %bb.33:                               ;   in Loop: Header=BB14_2 Depth=1
	ds_load_b32 v64, v67 offset:52
	s_wait_dscnt 0x1
	v_mov_b32_e32 v63, v61
.LBB14_34:                              ;   in Loop: Header=BB14_2 Depth=1
	s_or_b32 exec_lo, exec_lo, s7
	v_add_nc_u32_e32 v67, 1, v65
	v_add_nc_u32_e32 v68, 1, v66
	s_wait_dscnt 0x0
	v_cmp_lt_i32_e64 s8, v64, v63
	s_delay_alu instid0(VALU_DEP_3) | instskip(NEXT) | instid1(VALU_DEP_3)
	v_cndmask_b32_e64 v67, v67, v65, s6
	v_cndmask_b32_e64 v66, v66, v68, s6
                                        ; implicit-def: $vgpr65
	s_delay_alu instid0(VALU_DEP_2) | instskip(NEXT) | instid1(VALU_DEP_2)
	v_cmp_ge_i32_e64 s7, v67, v14
	v_cmp_lt_i32_e64 s9, v66, v15
	s_or_b32 s7, s7, s8
	s_wait_alu 0xfffe
	s_and_b32 s7, s9, s7
	s_wait_alu 0xfffe
	s_xor_b32 s8, s7, -1
	s_delay_alu instid0(SALU_CYCLE_1) | instskip(NEXT) | instid1(SALU_CYCLE_1)
	s_and_saveexec_b32 s9, s8
	s_xor_b32 s8, exec_lo, s9
; %bb.35:                               ;   in Loop: Header=BB14_2 Depth=1
	v_lshlrev_b32_e32 v65, 2, v67
	ds_load_b32 v65, v65 offset:4
; %bb.36:                               ;   in Loop: Header=BB14_2 Depth=1
	s_or_saveexec_b32 s8, s8
	v_mov_b32_e32 v68, v64
	s_xor_b32 exec_lo, exec_lo, s8
	s_cbranch_execz .LBB14_38
; %bb.37:                               ;   in Loop: Header=BB14_2 Depth=1
	s_wait_dscnt 0x0
	v_lshlrev_b32_e32 v65, 2, v66
	ds_load_b32 v68, v65 offset:4
	v_mov_b32_e32 v65, v63
.LBB14_38:                              ;   in Loop: Header=BB14_2 Depth=1
	s_or_b32 exec_lo, exec_lo, s8
	v_add_nc_u32_e32 v69, 1, v67
	v_add_nc_u32_e32 v70, 1, v66
	v_cndmask_b32_e64 v64, v63, v64, s7
	v_mov_b32_e32 v63, v27
	s_wait_dscnt 0x0
	v_cmp_lt_i32_e64 s8, v68, v65
	v_cndmask_b32_e64 v67, v69, v67, s7
	v_cndmask_b32_e64 v66, v66, v70, s7
	;; [unrolled: 1-line block ×3, first 2 shown]
	s_wait_loadcnt 0x0
	s_barrier_signal -1
	v_cmp_ge_i32_e64 s9, v67, v14
	v_cmp_lt_i32_e64 s7, v66, v15
	s_barrier_wait -1
	global_inv scope:SCOPE_SE
	s_or_b32 s6, s9, s8
	s_wait_alu 0xfffe
	s_and_b32 s6, s7, s6
	s_wait_alu 0xfffe
	v_cndmask_b32_e64 v62, v65, v68, s6
	ds_store_2addr_b32 v4, v61, v64 offset1:1
	ds_store_b32 v4, v62 offset:8
	s_wait_loadcnt_dscnt 0x0
	s_barrier_signal -1
	s_barrier_wait -1
	global_inv scope:SCOPE_SE
	s_and_saveexec_b32 s7, s2
	s_cbranch_execz .LBB14_42
; %bb.39:                               ;   in Loop: Header=BB14_2 Depth=1
	v_mov_b32_e32 v63, v27
	v_mov_b32_e32 v61, v30
	s_mov_b32 s8, 0
.LBB14_40:                              ;   Parent Loop BB14_2 Depth=1
                                        ; =>  This Inner Loop Header: Depth=2
	s_delay_alu instid0(VALU_DEP_1) | instskip(NEXT) | instid1(VALU_DEP_1)
	v_sub_nc_u32_e32 v62, v61, v63
	v_lshrrev_b32_e32 v62, 1, v62
	s_delay_alu instid0(VALU_DEP_1) | instskip(NEXT) | instid1(VALU_DEP_1)
	v_add_nc_u32_e32 v62, v62, v63
	v_not_b32_e32 v64, v62
	v_lshl_add_u32 v65, v62, 2, v26
	v_add_nc_u32_e32 v66, 1, v62
	s_delay_alu instid0(VALU_DEP_3)
	v_lshl_add_u32 v64, v64, 2, v51
	ds_load_b32 v65, v65
	ds_load_b32 v64, v64 offset:96
	s_wait_dscnt 0x0
	v_cmp_lt_i32_e64 s6, v64, v65
	s_wait_alu 0xf1ff
	s_delay_alu instid0(VALU_DEP_1) | instskip(SKIP_1) | instid1(VALU_DEP_1)
	v_cndmask_b32_e64 v61, v61, v62, s6
	v_cndmask_b32_e64 v63, v66, v63, s6
	v_cmp_ge_i32_e64 s6, v63, v61
	s_or_b32 s8, s6, s8
	s_delay_alu instid0(SALU_CYCLE_1)
	s_and_not1_b32 exec_lo, exec_lo, s8
	s_cbranch_execnz .LBB14_40
; %bb.41:                               ;   in Loop: Header=BB14_2 Depth=1
	s_or_b32 exec_lo, exec_lo, s8
.LBB14_42:                              ;   in Loop: Header=BB14_2 Depth=1
	s_wait_alu 0xfffe
	s_or_b32 exec_lo, exec_lo, s7
	v_sub_nc_u32_e32 v61, v58, v63
	v_lshl_add_u32 v64, v63, 2, v26
	v_add_nc_u32_e32 v65, v63, v24
	v_sub_nc_u32_e32 v66, v37, v63
                                        ; implicit-def: $vgpr63
	s_delay_alu instid0(VALU_DEP_4)
	v_lshlrev_b32_e32 v67, 2, v61
	ds_load_b32 v61, v64
	ds_load_b32 v62, v67 offset:96
	v_cmp_le_i32_e64 s6, v21, v65
	v_cmp_gt_i32_e64 s8, v22, v66
	s_wait_dscnt 0x0
	v_cmp_lt_i32_e64 s7, v62, v61
	s_or_b32 s6, s6, s7
	s_wait_alu 0xfffe
	s_and_b32 s6, s8, s6
	s_wait_alu 0xfffe
	s_xor_b32 s7, s6, -1
	s_wait_alu 0xfffe
	s_and_saveexec_b32 s8, s7
	s_delay_alu instid0(SALU_CYCLE_1)
	s_xor_b32 s7, exec_lo, s8
; %bb.43:                               ;   in Loop: Header=BB14_2 Depth=1
	ds_load_b32 v63, v64 offset:4
                                        ; implicit-def: $vgpr67
; %bb.44:                               ;   in Loop: Header=BB14_2 Depth=1
	s_wait_alu 0xfffe
	s_or_saveexec_b32 s7, s7
	v_mov_b32_e32 v64, v62
	s_wait_alu 0xfffe
	s_xor_b32 exec_lo, exec_lo, s7
	s_cbranch_execz .LBB14_46
; %bb.45:                               ;   in Loop: Header=BB14_2 Depth=1
	ds_load_b32 v64, v67 offset:100
	s_wait_dscnt 0x1
	v_mov_b32_e32 v63, v61
.LBB14_46:                              ;   in Loop: Header=BB14_2 Depth=1
	s_or_b32 exec_lo, exec_lo, s7
	v_add_nc_u32_e32 v67, 1, v65
	v_add_nc_u32_e32 v68, 1, v66
	s_wait_dscnt 0x0
	v_cmp_lt_i32_e64 s8, v64, v63
	s_delay_alu instid0(VALU_DEP_3) | instskip(NEXT) | instid1(VALU_DEP_3)
	v_cndmask_b32_e64 v67, v67, v65, s6
	v_cndmask_b32_e64 v66, v66, v68, s6
                                        ; implicit-def: $vgpr65
	s_delay_alu instid0(VALU_DEP_2) | instskip(NEXT) | instid1(VALU_DEP_2)
	v_cmp_ge_i32_e64 s7, v67, v21
	v_cmp_lt_i32_e64 s9, v66, v22
	s_or_b32 s7, s7, s8
	s_wait_alu 0xfffe
	s_and_b32 s7, s9, s7
	s_wait_alu 0xfffe
	s_xor_b32 s8, s7, -1
	s_delay_alu instid0(SALU_CYCLE_1) | instskip(NEXT) | instid1(SALU_CYCLE_1)
	s_and_saveexec_b32 s9, s8
	s_xor_b32 s8, exec_lo, s9
; %bb.47:                               ;   in Loop: Header=BB14_2 Depth=1
	v_lshlrev_b32_e32 v65, 2, v67
	ds_load_b32 v65, v65 offset:4
; %bb.48:                               ;   in Loop: Header=BB14_2 Depth=1
	s_or_saveexec_b32 s8, s8
	v_mov_b32_e32 v68, v64
	s_xor_b32 exec_lo, exec_lo, s8
	s_cbranch_execz .LBB14_50
; %bb.49:                               ;   in Loop: Header=BB14_2 Depth=1
	s_wait_dscnt 0x0
	v_lshlrev_b32_e32 v65, 2, v66
	ds_load_b32 v68, v65 offset:4
	v_mov_b32_e32 v65, v63
.LBB14_50:                              ;   in Loop: Header=BB14_2 Depth=1
	s_or_b32 exec_lo, exec_lo, s8
	v_add_nc_u32_e32 v69, 1, v67
	v_add_nc_u32_e32 v70, 1, v66
	v_cndmask_b32_e64 v64, v63, v64, s7
	v_mov_b32_e32 v63, v34
	s_wait_dscnt 0x0
	v_cmp_lt_i32_e64 s8, v68, v65
	v_cndmask_b32_e64 v67, v69, v67, s7
	v_cndmask_b32_e64 v66, v66, v70, s7
	;; [unrolled: 1-line block ×3, first 2 shown]
	s_wait_loadcnt 0x0
	s_barrier_signal -1
	v_cmp_ge_i32_e64 s9, v67, v21
	v_cmp_lt_i32_e64 s7, v66, v22
	s_barrier_wait -1
	global_inv scope:SCOPE_SE
	s_or_b32 s6, s9, s8
	s_wait_alu 0xfffe
	s_and_b32 s6, s7, s6
	s_wait_alu 0xfffe
	v_cndmask_b32_e64 v62, v65, v68, s6
	ds_store_2addr_b32 v4, v61, v64 offset1:1
	ds_store_b32 v4, v62 offset:8
	s_wait_loadcnt_dscnt 0x0
	s_barrier_signal -1
	s_barrier_wait -1
	global_inv scope:SCOPE_SE
	s_and_saveexec_b32 s7, s3
	s_cbranch_execz .LBB14_54
; %bb.51:                               ;   in Loop: Header=BB14_2 Depth=1
	v_mov_b32_e32 v63, v34
	v_mov_b32_e32 v61, v35
	s_mov_b32 s8, 0
.LBB14_52:                              ;   Parent Loop BB14_2 Depth=1
                                        ; =>  This Inner Loop Header: Depth=2
	s_delay_alu instid0(VALU_DEP_1) | instskip(NEXT) | instid1(VALU_DEP_1)
	v_sub_nc_u32_e32 v62, v61, v63
	v_lshrrev_b32_e32 v62, 1, v62
	s_delay_alu instid0(VALU_DEP_1) | instskip(NEXT) | instid1(VALU_DEP_1)
	v_add_nc_u32_e32 v62, v62, v63
	v_not_b32_e32 v64, v62
	v_lshl_add_u32 v65, v62, 2, v38
	v_add_nc_u32_e32 v66, 1, v62
	s_delay_alu instid0(VALU_DEP_3)
	v_lshl_add_u32 v64, v64, 2, v52
	ds_load_b32 v65, v65
	ds_load_b32 v64, v64 offset:192
	s_wait_dscnt 0x0
	v_cmp_lt_i32_e64 s6, v64, v65
	s_wait_alu 0xf1ff
	s_delay_alu instid0(VALU_DEP_1) | instskip(SKIP_1) | instid1(VALU_DEP_1)
	v_cndmask_b32_e64 v61, v61, v62, s6
	v_cndmask_b32_e64 v63, v66, v63, s6
	v_cmp_ge_i32_e64 s6, v63, v61
	s_or_b32 s8, s6, s8
	s_delay_alu instid0(SALU_CYCLE_1)
	s_and_not1_b32 exec_lo, exec_lo, s8
	s_cbranch_execnz .LBB14_52
; %bb.53:                               ;   in Loop: Header=BB14_2 Depth=1
	s_or_b32 exec_lo, exec_lo, s8
.LBB14_54:                              ;   in Loop: Header=BB14_2 Depth=1
	s_wait_alu 0xfffe
	s_or_b32 exec_lo, exec_lo, s7
	v_sub_nc_u32_e32 v61, v59, v63
	v_lshl_add_u32 v64, v63, 2, v38
	v_add_nc_u32_e32 v65, v63, v31
	v_sub_nc_u32_e32 v66, v40, v63
                                        ; implicit-def: $vgpr63
	s_delay_alu instid0(VALU_DEP_4)
	v_lshlrev_b32_e32 v67, 2, v61
	ds_load_b32 v61, v64
	ds_load_b32 v62, v67 offset:192
	v_cmp_le_i32_e64 s6, v28, v65
	v_cmp_gt_i32_e64 s8, v29, v66
	s_wait_dscnt 0x0
	v_cmp_lt_i32_e64 s7, v62, v61
	s_or_b32 s6, s6, s7
	s_wait_alu 0xfffe
	s_and_b32 s6, s8, s6
	s_wait_alu 0xfffe
	s_xor_b32 s7, s6, -1
	s_wait_alu 0xfffe
	s_and_saveexec_b32 s8, s7
	s_delay_alu instid0(SALU_CYCLE_1)
	s_xor_b32 s7, exec_lo, s8
; %bb.55:                               ;   in Loop: Header=BB14_2 Depth=1
	ds_load_b32 v63, v64 offset:4
                                        ; implicit-def: $vgpr67
; %bb.56:                               ;   in Loop: Header=BB14_2 Depth=1
	s_wait_alu 0xfffe
	s_or_saveexec_b32 s7, s7
	v_mov_b32_e32 v64, v62
	s_wait_alu 0xfffe
	s_xor_b32 exec_lo, exec_lo, s7
	s_cbranch_execz .LBB14_58
; %bb.57:                               ;   in Loop: Header=BB14_2 Depth=1
	ds_load_b32 v64, v67 offset:196
	s_wait_dscnt 0x1
	v_mov_b32_e32 v63, v61
.LBB14_58:                              ;   in Loop: Header=BB14_2 Depth=1
	s_or_b32 exec_lo, exec_lo, s7
	v_add_nc_u32_e32 v67, 1, v65
	v_add_nc_u32_e32 v68, 1, v66
	s_wait_dscnt 0x0
	v_cmp_lt_i32_e64 s8, v64, v63
	s_delay_alu instid0(VALU_DEP_3) | instskip(NEXT) | instid1(VALU_DEP_3)
	v_cndmask_b32_e64 v67, v67, v65, s6
	v_cndmask_b32_e64 v66, v66, v68, s6
                                        ; implicit-def: $vgpr65
	s_delay_alu instid0(VALU_DEP_2) | instskip(NEXT) | instid1(VALU_DEP_2)
	v_cmp_ge_i32_e64 s7, v67, v28
	v_cmp_lt_i32_e64 s9, v66, v29
	s_or_b32 s7, s7, s8
	s_wait_alu 0xfffe
	s_and_b32 s7, s9, s7
	s_wait_alu 0xfffe
	s_xor_b32 s8, s7, -1
	s_delay_alu instid0(SALU_CYCLE_1) | instskip(NEXT) | instid1(SALU_CYCLE_1)
	s_and_saveexec_b32 s9, s8
	s_xor_b32 s8, exec_lo, s9
; %bb.59:                               ;   in Loop: Header=BB14_2 Depth=1
	v_lshlrev_b32_e32 v65, 2, v67
	ds_load_b32 v65, v65 offset:4
; %bb.60:                               ;   in Loop: Header=BB14_2 Depth=1
	s_or_saveexec_b32 s8, s8
	v_mov_b32_e32 v68, v64
	s_xor_b32 exec_lo, exec_lo, s8
	s_cbranch_execz .LBB14_62
; %bb.61:                               ;   in Loop: Header=BB14_2 Depth=1
	s_wait_dscnt 0x0
	v_lshlrev_b32_e32 v65, 2, v66
	ds_load_b32 v68, v65 offset:4
	v_mov_b32_e32 v65, v63
.LBB14_62:                              ;   in Loop: Header=BB14_2 Depth=1
	s_or_b32 exec_lo, exec_lo, s8
	v_add_nc_u32_e32 v69, 1, v67
	v_add_nc_u32_e32 v70, 1, v66
	v_cndmask_b32_e64 v64, v63, v64, s7
	v_mov_b32_e32 v63, v41
	s_wait_dscnt 0x0
	v_cmp_lt_i32_e64 s8, v68, v65
	v_cndmask_b32_e64 v67, v69, v67, s7
	v_cndmask_b32_e64 v66, v66, v70, s7
	;; [unrolled: 1-line block ×3, first 2 shown]
	s_wait_loadcnt 0x0
	s_barrier_signal -1
	v_cmp_ge_i32_e64 s9, v67, v28
	v_cmp_lt_i32_e64 s7, v66, v29
	s_barrier_wait -1
	global_inv scope:SCOPE_SE
	s_or_b32 s6, s9, s8
	s_wait_alu 0xfffe
	s_and_b32 s6, s7, s6
	s_wait_alu 0xfffe
	v_cndmask_b32_e64 v62, v65, v68, s6
	ds_store_2addr_b32 v4, v61, v64 offset1:1
	ds_store_b32 v4, v62 offset:8
	s_wait_loadcnt_dscnt 0x0
	s_barrier_signal -1
	s_barrier_wait -1
	global_inv scope:SCOPE_SE
	s_and_saveexec_b32 s7, s4
	s_cbranch_execz .LBB14_66
; %bb.63:                               ;   in Loop: Header=BB14_2 Depth=1
	v_mov_b32_e32 v63, v41
	v_mov_b32_e32 v61, v42
	s_mov_b32 s8, 0
.LBB14_64:                              ;   Parent Loop BB14_2 Depth=1
                                        ; =>  This Inner Loop Header: Depth=2
	s_delay_alu instid0(VALU_DEP_1) | instskip(NEXT) | instid1(VALU_DEP_1)
	v_sub_nc_u32_e32 v62, v61, v63
	v_lshrrev_b32_e32 v62, 1, v62
	s_delay_alu instid0(VALU_DEP_1) | instskip(NEXT) | instid1(VALU_DEP_1)
	v_add_nc_u32_e32 v62, v62, v63
	v_not_b32_e32 v64, v62
	v_lshl_add_u32 v65, v62, 2, v45
	v_add_nc_u32_e32 v66, 1, v62
	s_delay_alu instid0(VALU_DEP_3)
	v_lshl_add_u32 v64, v64, 2, v53
	ds_load_b32 v65, v65
	ds_load_b32 v64, v64 offset:384
	s_wait_dscnt 0x0
	v_cmp_lt_i32_e64 s6, v64, v65
	s_wait_alu 0xf1ff
	s_delay_alu instid0(VALU_DEP_1) | instskip(SKIP_1) | instid1(VALU_DEP_1)
	v_cndmask_b32_e64 v61, v61, v62, s6
	v_cndmask_b32_e64 v63, v66, v63, s6
	v_cmp_ge_i32_e64 s6, v63, v61
	s_or_b32 s8, s6, s8
	s_delay_alu instid0(SALU_CYCLE_1)
	s_and_not1_b32 exec_lo, exec_lo, s8
	s_cbranch_execnz .LBB14_64
; %bb.65:                               ;   in Loop: Header=BB14_2 Depth=1
	s_or_b32 exec_lo, exec_lo, s8
.LBB14_66:                              ;   in Loop: Header=BB14_2 Depth=1
	s_wait_alu 0xfffe
	s_or_b32 exec_lo, exec_lo, s7
	v_sub_nc_u32_e32 v61, v60, v63
	v_lshl_add_u32 v64, v63, 2, v45
	v_add_nc_u32_e32 v65, v63, v36
	v_sub_nc_u32_e32 v66, v46, v63
                                        ; implicit-def: $vgpr63
	s_delay_alu instid0(VALU_DEP_4)
	v_lshlrev_b32_e32 v67, 2, v61
	ds_load_b32 v61, v64
	ds_load_b32 v62, v67 offset:384
	v_cmp_le_i32_e64 s6, v32, v65
	v_cmp_gt_i32_e64 s8, v33, v66
	s_wait_dscnt 0x0
	v_cmp_lt_i32_e64 s7, v62, v61
	s_or_b32 s6, s6, s7
	s_wait_alu 0xfffe
	s_and_b32 s6, s8, s6
	s_wait_alu 0xfffe
	s_xor_b32 s7, s6, -1
	s_wait_alu 0xfffe
	s_and_saveexec_b32 s8, s7
	s_delay_alu instid0(SALU_CYCLE_1)
	s_xor_b32 s7, exec_lo, s8
; %bb.67:                               ;   in Loop: Header=BB14_2 Depth=1
	ds_load_b32 v63, v64 offset:4
                                        ; implicit-def: $vgpr67
; %bb.68:                               ;   in Loop: Header=BB14_2 Depth=1
	s_wait_alu 0xfffe
	s_or_saveexec_b32 s7, s7
	v_mov_b32_e32 v64, v62
	s_wait_alu 0xfffe
	s_xor_b32 exec_lo, exec_lo, s7
	s_cbranch_execz .LBB14_70
; %bb.69:                               ;   in Loop: Header=BB14_2 Depth=1
	ds_load_b32 v64, v67 offset:388
	s_wait_dscnt 0x1
	v_mov_b32_e32 v63, v61
.LBB14_70:                              ;   in Loop: Header=BB14_2 Depth=1
	s_or_b32 exec_lo, exec_lo, s7
	v_add_nc_u32_e32 v67, 1, v65
	v_add_nc_u32_e32 v68, 1, v66
	s_wait_dscnt 0x0
	v_cmp_lt_i32_e64 s8, v64, v63
	s_delay_alu instid0(VALU_DEP_3) | instskip(NEXT) | instid1(VALU_DEP_3)
	v_cndmask_b32_e64 v67, v67, v65, s6
	v_cndmask_b32_e64 v66, v66, v68, s6
                                        ; implicit-def: $vgpr65
	s_delay_alu instid0(VALU_DEP_2) | instskip(NEXT) | instid1(VALU_DEP_2)
	v_cmp_ge_i32_e64 s7, v67, v32
	v_cmp_lt_i32_e64 s9, v66, v33
	s_or_b32 s7, s7, s8
	s_wait_alu 0xfffe
	s_and_b32 s7, s9, s7
	s_wait_alu 0xfffe
	s_xor_b32 s8, s7, -1
	s_delay_alu instid0(SALU_CYCLE_1) | instskip(NEXT) | instid1(SALU_CYCLE_1)
	s_and_saveexec_b32 s9, s8
	s_xor_b32 s8, exec_lo, s9
; %bb.71:                               ;   in Loop: Header=BB14_2 Depth=1
	v_lshlrev_b32_e32 v65, 2, v67
	ds_load_b32 v65, v65 offset:4
; %bb.72:                               ;   in Loop: Header=BB14_2 Depth=1
	s_or_saveexec_b32 s8, s8
	v_mov_b32_e32 v68, v64
	s_xor_b32 exec_lo, exec_lo, s8
	s_cbranch_execz .LBB14_74
; %bb.73:                               ;   in Loop: Header=BB14_2 Depth=1
	s_wait_dscnt 0x0
	v_lshlrev_b32_e32 v65, 2, v66
	ds_load_b32 v68, v65 offset:4
	v_mov_b32_e32 v65, v63
.LBB14_74:                              ;   in Loop: Header=BB14_2 Depth=1
	s_or_b32 exec_lo, exec_lo, s8
	v_add_nc_u32_e32 v69, 1, v67
	v_add_nc_u32_e32 v70, 1, v66
	v_cndmask_b32_e64 v64, v63, v64, s7
	v_mov_b32_e32 v63, v43
	s_wait_dscnt 0x0
	v_cmp_lt_i32_e64 s8, v68, v65
	v_cndmask_b32_e64 v67, v69, v67, s7
	v_cndmask_b32_e64 v66, v66, v70, s7
	;; [unrolled: 1-line block ×3, first 2 shown]
	s_wait_loadcnt 0x0
	s_barrier_signal -1
	v_cmp_ge_i32_e64 s9, v67, v32
	v_cmp_lt_i32_e64 s7, v66, v33
	s_barrier_wait -1
	global_inv scope:SCOPE_SE
	s_or_b32 s6, s9, s8
	s_wait_alu 0xfffe
	s_and_b32 s6, s7, s6
	s_wait_alu 0xfffe
	v_cndmask_b32_e64 v62, v65, v68, s6
	ds_store_2addr_b32 v4, v61, v64 offset1:1
	ds_store_b32 v4, v62 offset:8
	s_wait_loadcnt_dscnt 0x0
	s_barrier_signal -1
	s_barrier_wait -1
	global_inv scope:SCOPE_SE
	s_and_saveexec_b32 s7, s5
	s_cbranch_execz .LBB14_78
; %bb.75:                               ;   in Loop: Header=BB14_2 Depth=1
	v_mov_b32_e32 v63, v43
	v_mov_b32_e32 v61, v44
	s_mov_b32 s8, 0
.LBB14_76:                              ;   Parent Loop BB14_2 Depth=1
                                        ; =>  This Inner Loop Header: Depth=2
	s_delay_alu instid0(VALU_DEP_1) | instskip(NEXT) | instid1(VALU_DEP_1)
	v_sub_nc_u32_e32 v62, v61, v63
	v_lshrrev_b32_e32 v62, 1, v62
	s_delay_alu instid0(VALU_DEP_1) | instskip(NEXT) | instid1(VALU_DEP_1)
	v_add_nc_u32_e32 v62, v62, v63
	v_not_b32_e32 v64, v62
	v_lshlrev_b32_e32 v65, 2, v62
	v_add_nc_u32_e32 v66, 1, v62
	s_delay_alu instid0(VALU_DEP_3)
	v_lshl_add_u32 v64, v64, 2, v54
	ds_load_b32 v65, v65
	ds_load_b32 v64, v64 offset:768
	s_wait_dscnt 0x0
	v_cmp_lt_i32_e64 s6, v64, v65
	s_wait_alu 0xf1ff
	s_delay_alu instid0(VALU_DEP_1) | instskip(SKIP_1) | instid1(VALU_DEP_1)
	v_cndmask_b32_e64 v61, v61, v62, s6
	v_cndmask_b32_e64 v63, v66, v63, s6
	v_cmp_ge_i32_e64 s6, v63, v61
	s_or_b32 s8, s6, s8
	s_delay_alu instid0(SALU_CYCLE_1)
	s_and_not1_b32 exec_lo, exec_lo, s8
	s_cbranch_execnz .LBB14_76
; %bb.77:                               ;   in Loop: Header=BB14_2 Depth=1
	s_or_b32 exec_lo, exec_lo, s8
.LBB14_78:                              ;   in Loop: Header=BB14_2 Depth=1
	s_wait_alu 0xfffe
	s_or_b32 exec_lo, exec_lo, s7
	v_sub_nc_u32_e32 v61, v39, v63
	v_lshlrev_b32_e32 v65, 2, v63
	v_sub_nc_u32_e32 v66, v47, v63
	v_cmp_le_i32_e64 s6, 0xc0, v63
                                        ; implicit-def: $vgpr64
	s_delay_alu instid0(VALU_DEP_4)
	v_lshlrev_b32_e32 v67, 2, v61
	ds_load_b32 v61, v65
	ds_load_b32 v62, v67 offset:768
	v_cmp_gt_i32_e64 s8, 0x180, v66
	s_wait_dscnt 0x0
	v_cmp_lt_i32_e64 s7, v62, v61
	s_or_b32 s6, s6, s7
	s_wait_alu 0xfffe
	s_and_b32 s6, s8, s6
	s_wait_alu 0xfffe
	s_xor_b32 s7, s6, -1
	s_wait_alu 0xfffe
	s_and_saveexec_b32 s8, s7
	s_delay_alu instid0(SALU_CYCLE_1)
	s_xor_b32 s7, exec_lo, s8
; %bb.79:                               ;   in Loop: Header=BB14_2 Depth=1
	ds_load_b32 v64, v65 offset:4
                                        ; implicit-def: $vgpr67
; %bb.80:                               ;   in Loop: Header=BB14_2 Depth=1
	s_wait_alu 0xfffe
	s_or_saveexec_b32 s7, s7
	v_mov_b32_e32 v65, v62
	s_wait_alu 0xfffe
	s_xor_b32 exec_lo, exec_lo, s7
	s_cbranch_execz .LBB14_82
; %bb.81:                               ;   in Loop: Header=BB14_2 Depth=1
	ds_load_b32 v65, v67 offset:772
	s_wait_dscnt 0x1
	v_mov_b32_e32 v64, v61
.LBB14_82:                              ;   in Loop: Header=BB14_2 Depth=1
	s_or_b32 exec_lo, exec_lo, s7
	v_add_nc_u32_e32 v67, 1, v63
	v_add_nc_u32_e32 v68, 1, v66
	s_wait_dscnt 0x0
	v_cmp_lt_i32_e64 s8, v65, v64
	s_delay_alu instid0(VALU_DEP_3) | instskip(NEXT) | instid1(VALU_DEP_3)
	v_cndmask_b32_e64 v67, v67, v63, s6
	v_cndmask_b32_e64 v63, v66, v68, s6
                                        ; implicit-def: $vgpr66
                                        ; implicit-def: $vgpr68
	s_delay_alu instid0(VALU_DEP_2) | instskip(NEXT) | instid1(VALU_DEP_2)
	v_cmp_le_i32_e64 s7, 0xc0, v67
	v_cmp_gt_i32_e64 s9, 0x180, v63
	s_or_b32 s7, s7, s8
	s_wait_alu 0xfffe
	s_and_b32 s7, s9, s7
	s_wait_alu 0xfffe
	s_xor_b32 s8, s7, -1
	s_delay_alu instid0(SALU_CYCLE_1) | instskip(NEXT) | instid1(SALU_CYCLE_1)
	s_and_saveexec_b32 s9, s8
	s_xor_b32 s8, exec_lo, s9
; %bb.83:                               ;   in Loop: Header=BB14_2 Depth=1
	v_lshlrev_b32_e32 v66, 2, v67
	v_add_nc_u32_e32 v68, 1, v67
                                        ; implicit-def: $vgpr67
	ds_load_b32 v66, v66 offset:4
; %bb.84:                               ;   in Loop: Header=BB14_2 Depth=1
	s_or_saveexec_b32 s8, s8
	v_mov_b32_e32 v69, v65
	s_xor_b32 exec_lo, exec_lo, s8
	s_cbranch_execz .LBB14_1
; %bb.85:                               ;   in Loop: Header=BB14_2 Depth=1
	s_wait_dscnt 0x0
	v_lshlrev_b32_e32 v66, 2, v63
	v_dual_mov_b32 v68, v67 :: v_dual_add_nc_u32 v63, 1, v63
	ds_load_b32 v69, v66 offset:4
	v_mov_b32_e32 v66, v64
	s_branch .LBB14_1
.LBB14_86:
	v_lshlrev_b32_e32 v0, 2, v0
	s_add_nc_u64 s[0:1], s[14:15], s[16:17]
	s_clause 0x2
	global_store_b32 v0, v62, s[0:1]
	global_store_b32 v0, v63, s[0:1] offset:512
	global_store_b32 v0, v61, s[0:1] offset:1024
	s_endpgm
	.section	.rodata,"a",@progbits
	.p2align	6, 0x0
	.amdhsa_kernel _Z16sort_keys_kernelIiLj128ELj3EN10test_utils4lessELj10EEvPKT_PS2_T2_
		.amdhsa_group_segment_fixed_size 1540
		.amdhsa_private_segment_fixed_size 0
		.amdhsa_kernarg_size 20
		.amdhsa_user_sgpr_count 2
		.amdhsa_user_sgpr_dispatch_ptr 0
		.amdhsa_user_sgpr_queue_ptr 0
		.amdhsa_user_sgpr_kernarg_segment_ptr 1
		.amdhsa_user_sgpr_dispatch_id 0
		.amdhsa_user_sgpr_private_segment_size 0
		.amdhsa_wavefront_size32 1
		.amdhsa_uses_dynamic_stack 0
		.amdhsa_enable_private_segment 0
		.amdhsa_system_sgpr_workgroup_id_x 1
		.amdhsa_system_sgpr_workgroup_id_y 0
		.amdhsa_system_sgpr_workgroup_id_z 0
		.amdhsa_system_sgpr_workgroup_info 0
		.amdhsa_system_vgpr_workitem_id 0
		.amdhsa_next_free_vgpr 71
		.amdhsa_next_free_sgpr 18
		.amdhsa_reserve_vcc 1
		.amdhsa_float_round_mode_32 0
		.amdhsa_float_round_mode_16_64 0
		.amdhsa_float_denorm_mode_32 3
		.amdhsa_float_denorm_mode_16_64 3
		.amdhsa_fp16_overflow 0
		.amdhsa_workgroup_processor_mode 1
		.amdhsa_memory_ordered 1
		.amdhsa_forward_progress 1
		.amdhsa_inst_pref_size 43
		.amdhsa_round_robin_scheduling 0
		.amdhsa_exception_fp_ieee_invalid_op 0
		.amdhsa_exception_fp_denorm_src 0
		.amdhsa_exception_fp_ieee_div_zero 0
		.amdhsa_exception_fp_ieee_overflow 0
		.amdhsa_exception_fp_ieee_underflow 0
		.amdhsa_exception_fp_ieee_inexact 0
		.amdhsa_exception_int_div_zero 0
	.end_amdhsa_kernel
	.section	.text._Z16sort_keys_kernelIiLj128ELj3EN10test_utils4lessELj10EEvPKT_PS2_T2_,"axG",@progbits,_Z16sort_keys_kernelIiLj128ELj3EN10test_utils4lessELj10EEvPKT_PS2_T2_,comdat
.Lfunc_end14:
	.size	_Z16sort_keys_kernelIiLj128ELj3EN10test_utils4lessELj10EEvPKT_PS2_T2_, .Lfunc_end14-_Z16sort_keys_kernelIiLj128ELj3EN10test_utils4lessELj10EEvPKT_PS2_T2_
                                        ; -- End function
	.set _Z16sort_keys_kernelIiLj128ELj3EN10test_utils4lessELj10EEvPKT_PS2_T2_.num_vgpr, 71
	.set _Z16sort_keys_kernelIiLj128ELj3EN10test_utils4lessELj10EEvPKT_PS2_T2_.num_agpr, 0
	.set _Z16sort_keys_kernelIiLj128ELj3EN10test_utils4lessELj10EEvPKT_PS2_T2_.numbered_sgpr, 18
	.set _Z16sort_keys_kernelIiLj128ELj3EN10test_utils4lessELj10EEvPKT_PS2_T2_.num_named_barrier, 0
	.set _Z16sort_keys_kernelIiLj128ELj3EN10test_utils4lessELj10EEvPKT_PS2_T2_.private_seg_size, 0
	.set _Z16sort_keys_kernelIiLj128ELj3EN10test_utils4lessELj10EEvPKT_PS2_T2_.uses_vcc, 1
	.set _Z16sort_keys_kernelIiLj128ELj3EN10test_utils4lessELj10EEvPKT_PS2_T2_.uses_flat_scratch, 0
	.set _Z16sort_keys_kernelIiLj128ELj3EN10test_utils4lessELj10EEvPKT_PS2_T2_.has_dyn_sized_stack, 0
	.set _Z16sort_keys_kernelIiLj128ELj3EN10test_utils4lessELj10EEvPKT_PS2_T2_.has_recursion, 0
	.set _Z16sort_keys_kernelIiLj128ELj3EN10test_utils4lessELj10EEvPKT_PS2_T2_.has_indirect_call, 0
	.section	.AMDGPU.csdata,"",@progbits
; Kernel info:
; codeLenInByte = 5392
; TotalNumSgprs: 20
; NumVgprs: 71
; ScratchSize: 0
; MemoryBound: 0
; FloatMode: 240
; IeeeMode: 1
; LDSByteSize: 1540 bytes/workgroup (compile time only)
; SGPRBlocks: 0
; VGPRBlocks: 8
; NumSGPRsForWavesPerEU: 20
; NumVGPRsForWavesPerEU: 71
; Occupancy: 16
; WaveLimiterHint : 1
; COMPUTE_PGM_RSRC2:SCRATCH_EN: 0
; COMPUTE_PGM_RSRC2:USER_SGPR: 2
; COMPUTE_PGM_RSRC2:TRAP_HANDLER: 0
; COMPUTE_PGM_RSRC2:TGID_X_EN: 1
; COMPUTE_PGM_RSRC2:TGID_Y_EN: 0
; COMPUTE_PGM_RSRC2:TGID_Z_EN: 0
; COMPUTE_PGM_RSRC2:TIDIG_COMP_CNT: 0
	.section	.text._Z17sort_pairs_kernelIiLj128ELj3EN10test_utils4lessELj10EEvPKT_PS2_T2_,"axG",@progbits,_Z17sort_pairs_kernelIiLj128ELj3EN10test_utils4lessELj10EEvPKT_PS2_T2_,comdat
	.protected	_Z17sort_pairs_kernelIiLj128ELj3EN10test_utils4lessELj10EEvPKT_PS2_T2_ ; -- Begin function _Z17sort_pairs_kernelIiLj128ELj3EN10test_utils4lessELj10EEvPKT_PS2_T2_
	.globl	_Z17sort_pairs_kernelIiLj128ELj3EN10test_utils4lessELj10EEvPKT_PS2_T2_
	.p2align	8
	.type	_Z17sort_pairs_kernelIiLj128ELj3EN10test_utils4lessELj10EEvPKT_PS2_T2_,@function
_Z17sort_pairs_kernelIiLj128ELj3EN10test_utils4lessELj10EEvPKT_PS2_T2_: ; @_Z17sort_pairs_kernelIiLj128ELj3EN10test_utils4lessELj10EEvPKT_PS2_T2_
; %bb.0:
	s_load_b128 s[12:15], s[0:1], 0x0
	s_mul_i32 s18, ttmp9, 0x180
	s_mov_b32 s19, 0
	v_lshlrev_b32_e32 v1, 2, v0
	s_lshl_b64 s[16:17], s[18:19], 2
	v_and_b32_e32 v4, 0x7e, v0
	v_and_b32_e32 v6, 0x7c, v0
	;; [unrolled: 1-line block ×5, first 2 shown]
	v_mul_u32_u24_e32 v11, 3, v4
	v_and_b32_e32 v9, 0x60, v0
	v_and_b32_e32 v10, 64, v0
	v_mul_u32_u24_e32 v12, 3, v6
	v_mul_u32_u24_e32 v13, 3, v7
	;; [unrolled: 1-line block ×3, first 2 shown]
	v_min_u32_e32 v37, 0x17d, v11
	v_min_u32_e32 v17, 0x17a, v11
	v_cmp_eq_u32_e32 vcc_lo, 1, v5
	v_mul_u32_u24_e32 v15, 3, v9
	s_wait_kmcnt 0x0
	s_add_nc_u64 s[0:1], s[12:13], s[16:17]
	v_mul_u32_u24_e32 v16, 3, v10
	s_clause 0x2
	global_load_b32 v63, v1, s[0:1]
	global_load_b32 v62, v1, s[0:1] offset:512
	global_load_b32 v61, v1, s[0:1] offset:1024
	v_min_u32_e32 v38, 0x17a, v12
	v_min_u32_e32 v18, 0x174, v12
	;; [unrolled: 1-line block ×8, first 2 shown]
	v_add_nc_u32_e32 v13, 3, v37
	v_add_nc_u32_e32 v14, 6, v17
	v_and_b32_e32 v43, 3, v0
	v_cndmask_b32_e64 v54, 0, 3, vcc_lo
	v_min_u32_e32 v7, 0x180, v11
	v_min_u32_e32 v8, 0x180, v12
	;; [unrolled: 1-line block ×5, first 2 shown]
	v_add_nc_u32_e32 v16, 6, v38
	v_add_nc_u32_e32 v17, 12, v18
	v_sub_nc_u32_e32 v64, v14, v13
	v_and_b32_e32 v44, 7, v0
	v_mul_u32_u24_e32 v55, 3, v43
	v_lshlrev_b32_e32 v31, 2, v54
	v_add_nc_u32_e32 v19, 12, v39
	v_add_nc_u32_e32 v20, 24, v20
	v_sub_nc_u32_e32 v48, v13, v7
	v_sub_nc_u32_e32 v65, v17, v16
	;; [unrolled: 1-line block ×3, first 2 shown]
	v_cmp_ge_i32_e64 s0, v54, v64
	v_and_b32_e32 v45, 15, v0
	v_mul_u32_u24_e32 v56, 3, v44
	v_min_u32_e32 v41, 0x150, v15
	v_min_u32_e32 v26, 0x120, v15
	v_add_nc_u32_e32 v22, 24, v40
	v_add_nc_u32_e32 v23, 48, v23
	v_lshl_add_u32 v31, v37, 2, v31
	v_add_nc_u32_e32 v37, v37, v54
	v_add_nc_u32_e32 v42, v13, v54
	v_sub_nc_u32_e32 v49, v16, v8
	v_sub_nc_u32_e32 v66, v20, v19
	v_min_i32_e32 v48, v54, v48
	v_sub_nc_u32_e32 v72, v55, v65
	v_cndmask_b32_e64 v54, 0, v71, s0
	v_cmp_ge_i32_e64 s0, v55, v65
	v_and_b32_e32 v46, 31, v0
	v_mul_u32_u24_e32 v57, 3, v45
	v_lshlrev_b32_e32 v32, 2, v55
	v_add_nc_u32_e32 v25, 48, v41
	v_add_nc_u32_e32 v26, 0x60, v26
	v_sub_nc_u32_e32 v50, v19, v9
	v_sub_nc_u32_e32 v68, v23, v22
	v_min_i32_e32 v49, v55, v49
	v_sub_nc_u32_e32 v73, v56, v66
	s_wait_alu 0xf1ff
	v_cndmask_b32_e64 v55, 0, v72, s0
	v_cmp_ge_i32_e64 s0, v56, v66
	v_and_b32_e32 v60, 63, v0
	v_mul_u32_u24_e32 v58, 3, v46
	v_min_u32_e32 v11, 0x180, v15
	v_lshlrev_b32_e32 v33, 2, v56
	v_add_nc_u32_e32 v28, 0x60, v67
	v_add_nc_u32_e32 v29, 0xc0, v29
	v_sub_nc_u32_e32 v51, v22, v10
	v_sub_nc_u32_e32 v69, v26, v25
	v_min_i32_e32 v50, v56, v50
	v_sub_nc_u32_e32 v74, v57, v68
	s_wait_alu 0xf1ff
	v_cndmask_b32_e64 v56, 0, v73, s0
	v_cmp_ge_i32_e64 s0, v57, v68
	v_mul_u32_u24_e32 v59, 3, v60
	v_lshlrev_b32_e32 v34, 2, v57
	v_sub_nc_u32_e32 v52, v25, v11
	v_sub_nc_u32_e32 v70, v29, v28
	v_min_i32_e32 v51, v57, v51
	v_sub_nc_u32_e32 v75, v58, v69
	s_wait_alu 0xf1ff
	v_cndmask_b32_e64 v57, 0, v74, s0
	v_cmp_ge_i32_e64 s0, v58, v69
	v_lshlrev_b32_e32 v35, 2, v58
	v_sub_nc_u32_e32 v53, v28, v12
	v_min_i32_e32 v52, v58, v52
	v_sub_nc_u32_e32 v76, v59, v70
	s_wait_alu 0xf1ff
	v_cndmask_b32_e64 v58, 0, v75, s0
	v_cmp_ge_i32_e64 s0, v59, v70
	v_mul_u32_u24_e32 v2, 3, v0
	v_lshlrev_b32_e32 v36, 2, v59
	v_min_i32_e32 v53, v59, v53
	v_mul_u32_u24_e32 v1, 12, v0
	s_wait_alu 0xf1ff
	v_cndmask_b32_e64 v59, 0, v76, s0
	v_mad_u32_u24 v3, v0, 3, 0xc0
	v_subrev_nc_u32_e64 v4, 0xc0, v2 clamp
	v_min_i32_e32 v5, 0xc0, v2
	v_lshlrev_b32_e32 v6, 2, v2
	v_lshlrev_b32_e32 v15, 2, v7
	;; [unrolled: 1-line block ×7, first 2 shown]
	v_lshl_add_u32 v32, v38, 2, v32
	v_lshl_add_u32 v33, v39, 2, v33
	v_lshl_add_u32 v34, v40, 2, v34
	v_lshl_add_u32 v35, v41, 2, v35
	v_lshl_add_u32 v36, v67, 2, v36
	v_mad_u32_u24 v38, v43, 3, v38
	v_mad_u32_u24 v39, v44, 3, v39
	;; [unrolled: 1-line block ×9, first 2 shown]
	v_cmp_lt_i32_e64 s0, v54, v48
	v_cmp_lt_i32_e64 s1, v55, v49
	;; [unrolled: 1-line block ×6, first 2 shown]
	v_mad_u32_u24 v60, v60, 3, v67
	v_cmp_lt_i32_e32 vcc_lo, v4, v5
	s_wait_loadcnt 0x2
	v_add_nc_u32_e32 v66, 1, v63
	s_wait_loadcnt 0x1
	v_add_nc_u32_e32 v65, 1, v62
	s_wait_loadcnt 0x0
	v_add_nc_u32_e32 v64, 1, v61
	s_branch .LBB15_2
.LBB15_1:                               ;   in Loop: Header=BB15_2 Depth=1
	s_or_b32 exec_lo, exec_lo, s8
	s_delay_alu instid0(VALU_DEP_1)
	v_cmp_le_i32_e64 s8, 0xc0, v71
	s_wait_dscnt 0x0
	v_cmp_lt_i32_e64 s9, v75, v72
	v_cmp_gt_i32_e64 s10, 0x180, v66
	v_cndmask_b32_e64 v65, v61, v65, s6
	s_wait_loadcnt 0x0
	s_barrier_signal -1
	s_or_b32 s8, s8, s9
	s_barrier_wait -1
	s_wait_alu 0xfffe
	s_and_b32 s8, s10, s8
	global_inv scope:SCOPE_SE
	s_wait_alu 0xfffe
	v_cndmask_b32_e64 v66, v71, v66, s8
	ds_store_2addr_b32 v1, v62, v63 offset1:1
	ds_store_b32 v1, v64 offset:8
	v_lshlrev_b32_e32 v62, 2, v65
	v_lshlrev_b32_e32 v63, 2, v73
	s_wait_loadcnt_dscnt 0x0
	v_lshlrev_b32_e32 v64, 2, v66
	s_barrier_signal -1
	s_barrier_wait -1
	global_inv scope:SCOPE_SE
	ds_load_b32 v66, v62
	ds_load_b32 v65, v63
	;; [unrolled: 1-line block ×3, first 2 shown]
	v_cndmask_b32_e64 v61, v72, v75, s8
	v_cndmask_b32_e64 v63, v67, v68, s6
	;; [unrolled: 1-line block ×3, first 2 shown]
	s_add_co_i32 s19, s19, 1
	s_delay_alu instid0(SALU_CYCLE_1)
	s_cmp_eq_u32 s19, 10
	s_cbranch_scc1 .LBB15_86
.LBB15_2:                               ; =>This Loop Header: Depth=1
                                        ;     Child Loop BB15_4 Depth 2
                                        ;     Child Loop BB15_16 Depth 2
	;; [unrolled: 1-line block ×7, first 2 shown]
	s_delay_alu instid0(VALU_DEP_1)
	v_cmp_lt_i32_e64 s8, v62, v63
	v_max_i32_e32 v67, v62, v63
	s_barrier_signal -1
	s_barrier_wait -1
	s_wait_alu 0xf1ff
	v_cndmask_b32_e64 v68, v63, v62, s8
	v_cndmask_b32_e64 v62, v62, v63, s8
	v_cmp_lt_i32_e64 s6, v61, v67
	v_min_i32_e32 v63, v61, v67
	global_inv scope:SCOPE_SE
	s_wait_alu 0xf1ff
	v_cndmask_b32_e64 v67, v61, v67, s6
	v_cndmask_b32_e64 v61, v62, v61, s6
	v_cmp_lt_i32_e64 s7, v63, v68
	v_mov_b32_e32 v62, v54
	s_wait_alu 0xf1ff
	s_delay_alu instid0(VALU_DEP_2)
	v_cndmask_b32_e64 v61, v61, v68, s7
	v_cndmask_b32_e64 v63, v68, v63, s7
	ds_store_2addr_b32 v1, v63, v61 offset1:1
	ds_store_b32 v1, v67 offset:8
	s_wait_loadcnt_dscnt 0x0
	s_barrier_signal -1
	s_barrier_wait -1
	global_inv scope:SCOPE_SE
	s_and_saveexec_b32 s10, s0
	s_cbranch_execz .LBB15_6
; %bb.3:                                ;   in Loop: Header=BB15_2 Depth=1
	v_dual_mov_b32 v62, v54 :: v_dual_mov_b32 v61, v48
	s_mov_b32 s11, 0
.LBB15_4:                               ;   Parent Loop BB15_2 Depth=1
                                        ; =>  This Inner Loop Header: Depth=2
	s_delay_alu instid0(VALU_DEP_1) | instskip(NEXT) | instid1(VALU_DEP_1)
	v_sub_nc_u32_e32 v63, v61, v62
	v_lshrrev_b32_e32 v63, 1, v63
	s_delay_alu instid0(VALU_DEP_1) | instskip(NEXT) | instid1(VALU_DEP_1)
	v_add_nc_u32_e32 v63, v63, v62
	v_not_b32_e32 v67, v63
	v_lshl_add_u32 v68, v63, 2, v15
	v_add_nc_u32_e32 v69, 1, v63
	s_delay_alu instid0(VALU_DEP_3)
	v_lshl_add_u32 v67, v67, 2, v31
	ds_load_b32 v68, v68
	ds_load_b32 v67, v67 offset:12
	s_wait_dscnt 0x0
	v_cmp_lt_i32_e64 s9, v67, v68
	s_wait_alu 0xf1ff
	s_delay_alu instid0(VALU_DEP_1) | instskip(SKIP_1) | instid1(VALU_DEP_1)
	v_cndmask_b32_e64 v61, v61, v63, s9
	v_cndmask_b32_e64 v62, v69, v62, s9
	v_cmp_ge_i32_e64 s9, v62, v61
	s_wait_alu 0xfffe
	s_or_b32 s11, s9, s11
	s_wait_alu 0xfffe
	s_and_not1_b32 exec_lo, exec_lo, s11
	s_cbranch_execnz .LBB15_4
; %bb.5:                                ;   in Loop: Header=BB15_2 Depth=1
	s_or_b32 exec_lo, exec_lo, s11
.LBB15_6:                               ;   in Loop: Header=BB15_2 Depth=1
	s_wait_alu 0xfffe
	s_or_b32 exec_lo, exec_lo, s10
	v_sub_nc_u32_e32 v61, v37, v62
	v_lshl_add_u32 v70, v62, 2, v15
                                        ; implicit-def: $vgpr69
	s_delay_alu instid0(VALU_DEP_2)
	v_lshlrev_b32_e32 v63, 2, v61
	v_add_nc_u32_e32 v61, v62, v7
	v_sub_nc_u32_e32 v62, v42, v62
	ds_load_b32 v67, v70
	ds_load_b32 v68, v63 offset:12
	v_cmp_le_i32_e64 s9, v13, v61
	v_cmp_gt_i32_e64 s11, v14, v62
	s_wait_dscnt 0x0
	v_cmp_lt_i32_e64 s10, v68, v67
	s_or_b32 s9, s9, s10
	s_wait_alu 0xfffe
	s_and_b32 s9, s11, s9
	s_wait_alu 0xfffe
	s_xor_b32 s10, s9, -1
	s_wait_alu 0xfffe
	s_and_saveexec_b32 s11, s10
	s_wait_alu 0xfffe
	s_xor_b32 s10, exec_lo, s11
; %bb.7:                                ;   in Loop: Header=BB15_2 Depth=1
	ds_load_b32 v69, v70 offset:4
                                        ; implicit-def: $vgpr63
; %bb.8:                                ;   in Loop: Header=BB15_2 Depth=1
	s_wait_alu 0xfffe
	s_or_saveexec_b32 s10, s10
	v_mov_b32_e32 v70, v68
	s_wait_alu 0xfffe
	s_xor_b32 exec_lo, exec_lo, s10
	s_cbranch_execz .LBB15_10
; %bb.9:                                ;   in Loop: Header=BB15_2 Depth=1
	ds_load_b32 v70, v63 offset:16
	s_wait_dscnt 0x1
	v_mov_b32_e32 v69, v67
.LBB15_10:                              ;   in Loop: Header=BB15_2 Depth=1
	s_or_b32 exec_lo, exec_lo, s10
	v_add_nc_u32_e32 v63, 1, v61
	v_add_nc_u32_e32 v71, 1, v62
	s_wait_dscnt 0x0
	v_cmp_lt_i32_e64 s11, v70, v69
	s_delay_alu instid0(VALU_DEP_3) | instskip(NEXT) | instid1(VALU_DEP_3)
	v_cndmask_b32_e64 v72, v63, v61, s9
	v_cndmask_b32_e64 v71, v62, v71, s9
                                        ; implicit-def: $vgpr63
	s_delay_alu instid0(VALU_DEP_2) | instskip(NEXT) | instid1(VALU_DEP_2)
	v_cmp_ge_i32_e64 s10, v72, v13
	v_cmp_lt_i32_e64 s12, v71, v14
	s_or_b32 s10, s10, s11
	s_wait_alu 0xfffe
	s_and_b32 s10, s12, s10
	s_wait_alu 0xfffe
	s_xor_b32 s11, s10, -1
	s_wait_alu 0xfffe
	s_and_saveexec_b32 s12, s11
	s_delay_alu instid0(SALU_CYCLE_1)
	s_xor_b32 s11, exec_lo, s12
; %bb.11:                               ;   in Loop: Header=BB15_2 Depth=1
	v_lshlrev_b32_e32 v63, 2, v72
	ds_load_b32 v63, v63 offset:4
; %bb.12:                               ;   in Loop: Header=BB15_2 Depth=1
	s_wait_alu 0xfffe
	s_or_saveexec_b32 s11, s11
	v_mov_b32_e32 v73, v70
	s_wait_alu 0xfffe
	s_xor_b32 exec_lo, exec_lo, s11
	s_cbranch_execz .LBB15_14
; %bb.13:                               ;   in Loop: Header=BB15_2 Depth=1
	s_wait_dscnt 0x0
	v_lshlrev_b32_e32 v63, 2, v71
	ds_load_b32 v73, v63 offset:4
	v_mov_b32_e32 v63, v69
.LBB15_14:                              ;   in Loop: Header=BB15_2 Depth=1
	s_or_b32 exec_lo, exec_lo, s11
	v_add_nc_u32_e32 v74, 1, v72
	v_add_nc_u32_e32 v75, 1, v71
	v_cndmask_b32_e64 v76, v72, v71, s10
	v_cndmask_b32_e64 v61, v61, v62, s9
	;; [unrolled: 1-line block ×6, first 2 shown]
	s_wait_dscnt 0x0
	v_cmp_lt_i32_e64 s8, v73, v63
	v_cndmask_b32_e64 v71, v62, v64, s6
	v_cmp_ge_i32_e64 s11, v72, v13
	v_cndmask_b32_e64 v62, v64, v62, s6
	v_cmp_lt_i32_e64 s12, v66, v14
	v_lshlrev_b32_e32 v61, 2, v61
	v_cndmask_b32_e64 v64, v71, v65, s7
	s_or_b32 s6, s11, s8
	v_cndmask_b32_e64 v65, v65, v71, s7
	s_wait_alu 0xfffe
	s_and_b32 s6, s12, s6
	s_wait_loadcnt 0x0
	s_wait_alu 0xfffe
	v_cndmask_b32_e64 v71, v63, v73, s6
	v_cndmask_b32_e64 v63, v72, v66, s6
	s_barrier_signal -1
	s_barrier_wait -1
	global_inv scope:SCOPE_SE
	ds_store_2addr_b32 v1, v65, v64 offset1:1
	ds_store_b32 v1, v62 offset:8
	v_lshlrev_b32_e32 v62, 2, v76
	v_lshlrev_b32_e32 v63, 2, v63
	s_wait_loadcnt_dscnt 0x0
	s_barrier_signal -1
	s_barrier_wait -1
	global_inv scope:SCOPE_SE
	ds_load_b32 v61, v61
	ds_load_b32 v62, v62
	;; [unrolled: 1-line block ×3, first 2 shown]
	v_cndmask_b32_e64 v64, v69, v70, s10
	v_cndmask_b32_e64 v65, v67, v68, s9
	v_mov_b32_e32 v66, v55
	s_wait_loadcnt_dscnt 0x0
	s_barrier_signal -1
	s_barrier_wait -1
	global_inv scope:SCOPE_SE
	ds_store_2addr_b32 v1, v65, v64 offset1:1
	ds_store_b32 v1, v71 offset:8
	s_wait_loadcnt_dscnt 0x0
	s_barrier_signal -1
	s_barrier_wait -1
	global_inv scope:SCOPE_SE
	s_and_saveexec_b32 s7, s1
	s_cbranch_execz .LBB15_18
; %bb.15:                               ;   in Loop: Header=BB15_2 Depth=1
	v_mov_b32_e32 v66, v55
	v_mov_b32_e32 v64, v49
	s_mov_b32 s8, 0
.LBB15_16:                              ;   Parent Loop BB15_2 Depth=1
                                        ; =>  This Inner Loop Header: Depth=2
	s_delay_alu instid0(VALU_DEP_1) | instskip(NEXT) | instid1(VALU_DEP_1)
	v_sub_nc_u32_e32 v65, v64, v66
	v_lshrrev_b32_e32 v65, 1, v65
	s_delay_alu instid0(VALU_DEP_1) | instskip(NEXT) | instid1(VALU_DEP_1)
	v_add_nc_u32_e32 v65, v65, v66
	v_not_b32_e32 v67, v65
	v_lshl_add_u32 v68, v65, 2, v18
	v_add_nc_u32_e32 v69, 1, v65
	s_delay_alu instid0(VALU_DEP_3)
	v_lshl_add_u32 v67, v67, 2, v32
	ds_load_b32 v68, v68
	ds_load_b32 v67, v67 offset:24
	s_wait_dscnt 0x0
	v_cmp_lt_i32_e64 s6, v67, v68
	s_wait_alu 0xf1ff
	s_delay_alu instid0(VALU_DEP_1) | instskip(SKIP_1) | instid1(VALU_DEP_1)
	v_cndmask_b32_e64 v64, v64, v65, s6
	v_cndmask_b32_e64 v66, v69, v66, s6
	v_cmp_ge_i32_e64 s6, v66, v64
	s_wait_alu 0xfffe
	s_or_b32 s8, s6, s8
	s_wait_alu 0xfffe
	s_and_not1_b32 exec_lo, exec_lo, s8
	s_cbranch_execnz .LBB15_16
; %bb.17:                               ;   in Loop: Header=BB15_2 Depth=1
	s_or_b32 exec_lo, exec_lo, s8
.LBB15_18:                              ;   in Loop: Header=BB15_2 Depth=1
	s_wait_alu 0xfffe
	s_or_b32 exec_lo, exec_lo, s7
	v_sub_nc_u32_e32 v64, v38, v66
	v_lshl_add_u32 v67, v66, 2, v18
	v_add_nc_u32_e32 v68, v66, v8
	v_sub_nc_u32_e32 v69, v43, v66
                                        ; implicit-def: $vgpr66
	s_delay_alu instid0(VALU_DEP_4)
	v_lshlrev_b32_e32 v70, 2, v64
	ds_load_b32 v64, v67
	ds_load_b32 v65, v70 offset:24
	v_cmp_le_i32_e64 s6, v16, v68
	v_cmp_gt_i32_e64 s8, v17, v69
	s_wait_dscnt 0x0
	v_cmp_lt_i32_e64 s7, v65, v64
	s_or_b32 s6, s6, s7
	s_wait_alu 0xfffe
	s_and_b32 s6, s8, s6
	s_wait_alu 0xfffe
	s_xor_b32 s7, s6, -1
	s_wait_alu 0xfffe
	s_and_saveexec_b32 s8, s7
	s_wait_alu 0xfffe
	s_xor_b32 s7, exec_lo, s8
; %bb.19:                               ;   in Loop: Header=BB15_2 Depth=1
	ds_load_b32 v66, v67 offset:4
                                        ; implicit-def: $vgpr70
; %bb.20:                               ;   in Loop: Header=BB15_2 Depth=1
	s_wait_alu 0xfffe
	s_or_saveexec_b32 s7, s7
	v_mov_b32_e32 v67, v65
	s_wait_alu 0xfffe
	s_xor_b32 exec_lo, exec_lo, s7
	s_cbranch_execz .LBB15_22
; %bb.21:                               ;   in Loop: Header=BB15_2 Depth=1
	ds_load_b32 v67, v70 offset:28
	s_wait_dscnt 0x1
	v_mov_b32_e32 v66, v64
.LBB15_22:                              ;   in Loop: Header=BB15_2 Depth=1
	s_or_b32 exec_lo, exec_lo, s7
	v_add_nc_u32_e32 v70, 1, v68
	v_add_nc_u32_e32 v71, 1, v69
	s_wait_dscnt 0x0
	v_cmp_lt_i32_e64 s8, v67, v66
	s_delay_alu instid0(VALU_DEP_3) | instskip(NEXT) | instid1(VALU_DEP_3)
	v_cndmask_b32_e64 v72, v70, v68, s6
	v_cndmask_b32_e64 v71, v69, v71, s6
                                        ; implicit-def: $vgpr70
	s_delay_alu instid0(VALU_DEP_2) | instskip(NEXT) | instid1(VALU_DEP_2)
	v_cmp_ge_i32_e64 s7, v72, v16
	v_cmp_lt_i32_e64 s9, v71, v17
	s_or_b32 s7, s7, s8
	s_wait_alu 0xfffe
	s_and_b32 s7, s9, s7
	s_wait_alu 0xfffe
	s_xor_b32 s8, s7, -1
	s_wait_alu 0xfffe
	s_and_saveexec_b32 s9, s8
	s_wait_alu 0xfffe
	s_xor_b32 s8, exec_lo, s9
; %bb.23:                               ;   in Loop: Header=BB15_2 Depth=1
	v_lshlrev_b32_e32 v70, 2, v72
	ds_load_b32 v70, v70 offset:4
; %bb.24:                               ;   in Loop: Header=BB15_2 Depth=1
	s_wait_alu 0xfffe
	s_or_saveexec_b32 s8, s8
	v_mov_b32_e32 v73, v67
	s_wait_alu 0xfffe
	s_xor_b32 exec_lo, exec_lo, s8
	s_cbranch_execz .LBB15_26
; %bb.25:                               ;   in Loop: Header=BB15_2 Depth=1
	s_wait_dscnt 0x0
	v_lshlrev_b32_e32 v70, 2, v71
	ds_load_b32 v73, v70 offset:4
	v_mov_b32_e32 v70, v66
.LBB15_26:                              ;   in Loop: Header=BB15_2 Depth=1
	s_or_b32 exec_lo, exec_lo, s8
	v_add_nc_u32_e32 v74, 1, v72
	v_add_nc_u32_e32 v75, 1, v71
	s_wait_dscnt 0x0
	v_cmp_lt_i32_e64 s8, v73, v70
	v_cndmask_b32_e64 v68, v68, v69, s6
	s_wait_loadcnt 0x0
	v_cndmask_b32_e64 v74, v74, v72, s7
	v_cndmask_b32_e64 v72, v72, v71, s7
	;; [unrolled: 1-line block ×3, first 2 shown]
	s_barrier_signal -1
	s_barrier_wait -1
	v_cmp_ge_i32_e64 s9, v74, v16
	global_inv scope:SCOPE_SE
	v_cmp_lt_i32_e64 s10, v71, v17
	ds_store_2addr_b32 v1, v61, v62 offset1:1
	ds_store_b32 v1, v63 offset:8
	v_lshlrev_b32_e32 v61, 2, v68
	s_or_b32 s8, s9, s8
	v_lshlrev_b32_e32 v62, 2, v72
	s_wait_alu 0xfffe
	s_and_b32 s8, s10, s8
	s_wait_loadcnt_dscnt 0x0
	s_wait_alu 0xfffe
	v_cndmask_b32_e64 v69, v70, v73, s8
	v_cndmask_b32_e64 v70, v74, v71, s8
	s_barrier_signal -1
	s_barrier_wait -1
	global_inv scope:SCOPE_SE
	v_cndmask_b32_e64 v66, v66, v67, s7
	v_lshlrev_b32_e32 v63, 2, v70
	v_cndmask_b32_e64 v64, v64, v65, s6
	ds_load_b32 v61, v61
	ds_load_b32 v62, v62
	;; [unrolled: 1-line block ×3, first 2 shown]
	s_wait_loadcnt_dscnt 0x0
	s_barrier_signal -1
	s_barrier_wait -1
	global_inv scope:SCOPE_SE
	ds_store_2addr_b32 v1, v64, v66 offset1:1
	ds_store_b32 v1, v69 offset:8
	v_mov_b32_e32 v66, v56
	s_wait_loadcnt_dscnt 0x0
	s_barrier_signal -1
	s_barrier_wait -1
	global_inv scope:SCOPE_SE
	s_and_saveexec_b32 s7, s2
	s_cbranch_execz .LBB15_30
; %bb.27:                               ;   in Loop: Header=BB15_2 Depth=1
	v_mov_b32_e32 v66, v56
	v_mov_b32_e32 v64, v50
	s_mov_b32 s8, 0
.LBB15_28:                              ;   Parent Loop BB15_2 Depth=1
                                        ; =>  This Inner Loop Header: Depth=2
	s_delay_alu instid0(VALU_DEP_1) | instskip(NEXT) | instid1(VALU_DEP_1)
	v_sub_nc_u32_e32 v65, v64, v66
	v_lshrrev_b32_e32 v65, 1, v65
	s_delay_alu instid0(VALU_DEP_1) | instskip(NEXT) | instid1(VALU_DEP_1)
	v_add_nc_u32_e32 v65, v65, v66
	v_not_b32_e32 v67, v65
	v_lshl_add_u32 v68, v65, 2, v21
	v_add_nc_u32_e32 v69, 1, v65
	s_delay_alu instid0(VALU_DEP_3)
	v_lshl_add_u32 v67, v67, 2, v33
	ds_load_b32 v68, v68
	ds_load_b32 v67, v67 offset:48
	s_wait_dscnt 0x0
	v_cmp_lt_i32_e64 s6, v67, v68
	s_wait_alu 0xf1ff
	s_delay_alu instid0(VALU_DEP_1) | instskip(SKIP_1) | instid1(VALU_DEP_1)
	v_cndmask_b32_e64 v64, v64, v65, s6
	v_cndmask_b32_e64 v66, v69, v66, s6
	v_cmp_ge_i32_e64 s6, v66, v64
	s_wait_alu 0xfffe
	s_or_b32 s8, s6, s8
	s_wait_alu 0xfffe
	s_and_not1_b32 exec_lo, exec_lo, s8
	s_cbranch_execnz .LBB15_28
; %bb.29:                               ;   in Loop: Header=BB15_2 Depth=1
	s_or_b32 exec_lo, exec_lo, s8
.LBB15_30:                              ;   in Loop: Header=BB15_2 Depth=1
	s_wait_alu 0xfffe
	s_or_b32 exec_lo, exec_lo, s7
	v_sub_nc_u32_e32 v64, v39, v66
	v_lshl_add_u32 v67, v66, 2, v21
	v_add_nc_u32_e32 v68, v66, v9
	v_sub_nc_u32_e32 v69, v44, v66
                                        ; implicit-def: $vgpr66
	s_delay_alu instid0(VALU_DEP_4)
	v_lshlrev_b32_e32 v70, 2, v64
	ds_load_b32 v64, v67
	ds_load_b32 v65, v70 offset:48
	v_cmp_le_i32_e64 s6, v19, v68
	v_cmp_gt_i32_e64 s8, v20, v69
	s_wait_dscnt 0x0
	v_cmp_lt_i32_e64 s7, v65, v64
	s_or_b32 s6, s6, s7
	s_wait_alu 0xfffe
	s_and_b32 s6, s8, s6
	s_wait_alu 0xfffe
	s_xor_b32 s7, s6, -1
	s_wait_alu 0xfffe
	s_and_saveexec_b32 s8, s7
	s_wait_alu 0xfffe
	s_xor_b32 s7, exec_lo, s8
; %bb.31:                               ;   in Loop: Header=BB15_2 Depth=1
	ds_load_b32 v66, v67 offset:4
                                        ; implicit-def: $vgpr70
; %bb.32:                               ;   in Loop: Header=BB15_2 Depth=1
	s_wait_alu 0xfffe
	s_or_saveexec_b32 s7, s7
	v_mov_b32_e32 v67, v65
	s_wait_alu 0xfffe
	s_xor_b32 exec_lo, exec_lo, s7
	s_cbranch_execz .LBB15_34
; %bb.33:                               ;   in Loop: Header=BB15_2 Depth=1
	ds_load_b32 v67, v70 offset:52
	s_wait_dscnt 0x1
	v_mov_b32_e32 v66, v64
.LBB15_34:                              ;   in Loop: Header=BB15_2 Depth=1
	s_or_b32 exec_lo, exec_lo, s7
	v_add_nc_u32_e32 v70, 1, v68
	v_add_nc_u32_e32 v71, 1, v69
	s_wait_dscnt 0x0
	v_cmp_lt_i32_e64 s8, v67, v66
	s_delay_alu instid0(VALU_DEP_3) | instskip(NEXT) | instid1(VALU_DEP_3)
	v_cndmask_b32_e64 v72, v70, v68, s6
	v_cndmask_b32_e64 v71, v69, v71, s6
                                        ; implicit-def: $vgpr70
	s_delay_alu instid0(VALU_DEP_2) | instskip(NEXT) | instid1(VALU_DEP_2)
	v_cmp_ge_i32_e64 s7, v72, v19
	v_cmp_lt_i32_e64 s9, v71, v20
	s_or_b32 s7, s7, s8
	s_wait_alu 0xfffe
	s_and_b32 s7, s9, s7
	s_wait_alu 0xfffe
	s_xor_b32 s8, s7, -1
	s_wait_alu 0xfffe
	s_and_saveexec_b32 s9, s8
	s_wait_alu 0xfffe
	s_xor_b32 s8, exec_lo, s9
; %bb.35:                               ;   in Loop: Header=BB15_2 Depth=1
	v_lshlrev_b32_e32 v70, 2, v72
	ds_load_b32 v70, v70 offset:4
; %bb.36:                               ;   in Loop: Header=BB15_2 Depth=1
	s_wait_alu 0xfffe
	s_or_saveexec_b32 s8, s8
	v_mov_b32_e32 v73, v67
	s_wait_alu 0xfffe
	s_xor_b32 exec_lo, exec_lo, s8
	s_cbranch_execz .LBB15_38
; %bb.37:                               ;   in Loop: Header=BB15_2 Depth=1
	s_wait_dscnt 0x0
	v_lshlrev_b32_e32 v70, 2, v71
	ds_load_b32 v73, v70 offset:4
	v_mov_b32_e32 v70, v66
.LBB15_38:                              ;   in Loop: Header=BB15_2 Depth=1
	s_or_b32 exec_lo, exec_lo, s8
	v_add_nc_u32_e32 v74, 1, v72
	v_add_nc_u32_e32 v75, 1, v71
	s_wait_dscnt 0x0
	v_cmp_lt_i32_e64 s8, v73, v70
	v_cndmask_b32_e64 v68, v68, v69, s6
	s_wait_loadcnt 0x0
	v_cndmask_b32_e64 v74, v74, v72, s7
	v_cndmask_b32_e64 v72, v72, v71, s7
	;; [unrolled: 1-line block ×3, first 2 shown]
	s_barrier_signal -1
	s_barrier_wait -1
	v_cmp_ge_i32_e64 s9, v74, v19
	global_inv scope:SCOPE_SE
	v_cmp_lt_i32_e64 s10, v71, v20
	ds_store_2addr_b32 v1, v61, v62 offset1:1
	ds_store_b32 v1, v63 offset:8
	v_lshlrev_b32_e32 v61, 2, v68
	s_or_b32 s8, s9, s8
	v_lshlrev_b32_e32 v62, 2, v72
	s_wait_alu 0xfffe
	s_and_b32 s8, s10, s8
	s_wait_loadcnt_dscnt 0x0
	s_wait_alu 0xfffe
	v_cndmask_b32_e64 v69, v70, v73, s8
	v_cndmask_b32_e64 v70, v74, v71, s8
	s_barrier_signal -1
	s_barrier_wait -1
	global_inv scope:SCOPE_SE
	v_cndmask_b32_e64 v66, v66, v67, s7
	v_lshlrev_b32_e32 v63, 2, v70
	v_cndmask_b32_e64 v64, v64, v65, s6
	ds_load_b32 v61, v61
	ds_load_b32 v62, v62
	;; [unrolled: 1-line block ×3, first 2 shown]
	s_wait_loadcnt_dscnt 0x0
	s_barrier_signal -1
	s_barrier_wait -1
	global_inv scope:SCOPE_SE
	ds_store_2addr_b32 v1, v64, v66 offset1:1
	ds_store_b32 v1, v69 offset:8
	v_mov_b32_e32 v66, v57
	s_wait_loadcnt_dscnt 0x0
	s_barrier_signal -1
	s_barrier_wait -1
	global_inv scope:SCOPE_SE
	s_and_saveexec_b32 s7, s3
	s_cbranch_execz .LBB15_42
; %bb.39:                               ;   in Loop: Header=BB15_2 Depth=1
	v_mov_b32_e32 v66, v57
	v_mov_b32_e32 v64, v51
	s_mov_b32 s8, 0
.LBB15_40:                              ;   Parent Loop BB15_2 Depth=1
                                        ; =>  This Inner Loop Header: Depth=2
	s_delay_alu instid0(VALU_DEP_1) | instskip(NEXT) | instid1(VALU_DEP_1)
	v_sub_nc_u32_e32 v65, v64, v66
	v_lshrrev_b32_e32 v65, 1, v65
	s_delay_alu instid0(VALU_DEP_1) | instskip(NEXT) | instid1(VALU_DEP_1)
	v_add_nc_u32_e32 v65, v65, v66
	v_not_b32_e32 v67, v65
	v_lshl_add_u32 v68, v65, 2, v24
	v_add_nc_u32_e32 v69, 1, v65
	s_delay_alu instid0(VALU_DEP_3)
	v_lshl_add_u32 v67, v67, 2, v34
	ds_load_b32 v68, v68
	ds_load_b32 v67, v67 offset:96
	s_wait_dscnt 0x0
	v_cmp_lt_i32_e64 s6, v67, v68
	s_wait_alu 0xf1ff
	s_delay_alu instid0(VALU_DEP_1) | instskip(SKIP_1) | instid1(VALU_DEP_1)
	v_cndmask_b32_e64 v64, v64, v65, s6
	v_cndmask_b32_e64 v66, v69, v66, s6
	v_cmp_ge_i32_e64 s6, v66, v64
	s_wait_alu 0xfffe
	s_or_b32 s8, s6, s8
	s_wait_alu 0xfffe
	s_and_not1_b32 exec_lo, exec_lo, s8
	s_cbranch_execnz .LBB15_40
; %bb.41:                               ;   in Loop: Header=BB15_2 Depth=1
	s_or_b32 exec_lo, exec_lo, s8
.LBB15_42:                              ;   in Loop: Header=BB15_2 Depth=1
	s_wait_alu 0xfffe
	s_or_b32 exec_lo, exec_lo, s7
	v_sub_nc_u32_e32 v64, v40, v66
	v_lshl_add_u32 v67, v66, 2, v24
	v_add_nc_u32_e32 v68, v66, v10
	v_sub_nc_u32_e32 v69, v45, v66
                                        ; implicit-def: $vgpr66
	s_delay_alu instid0(VALU_DEP_4)
	v_lshlrev_b32_e32 v70, 2, v64
	ds_load_b32 v64, v67
	ds_load_b32 v65, v70 offset:96
	v_cmp_le_i32_e64 s6, v22, v68
	v_cmp_gt_i32_e64 s8, v23, v69
	s_wait_dscnt 0x0
	v_cmp_lt_i32_e64 s7, v65, v64
	s_or_b32 s6, s6, s7
	s_wait_alu 0xfffe
	s_and_b32 s6, s8, s6
	s_wait_alu 0xfffe
	s_xor_b32 s7, s6, -1
	s_wait_alu 0xfffe
	s_and_saveexec_b32 s8, s7
	s_wait_alu 0xfffe
	s_xor_b32 s7, exec_lo, s8
; %bb.43:                               ;   in Loop: Header=BB15_2 Depth=1
	ds_load_b32 v66, v67 offset:4
                                        ; implicit-def: $vgpr70
; %bb.44:                               ;   in Loop: Header=BB15_2 Depth=1
	s_wait_alu 0xfffe
	s_or_saveexec_b32 s7, s7
	v_mov_b32_e32 v67, v65
	s_wait_alu 0xfffe
	s_xor_b32 exec_lo, exec_lo, s7
	s_cbranch_execz .LBB15_46
; %bb.45:                               ;   in Loop: Header=BB15_2 Depth=1
	ds_load_b32 v67, v70 offset:100
	s_wait_dscnt 0x1
	v_mov_b32_e32 v66, v64
.LBB15_46:                              ;   in Loop: Header=BB15_2 Depth=1
	s_or_b32 exec_lo, exec_lo, s7
	v_add_nc_u32_e32 v70, 1, v68
	v_add_nc_u32_e32 v71, 1, v69
	s_wait_dscnt 0x0
	v_cmp_lt_i32_e64 s8, v67, v66
	s_delay_alu instid0(VALU_DEP_3) | instskip(NEXT) | instid1(VALU_DEP_3)
	v_cndmask_b32_e64 v72, v70, v68, s6
	v_cndmask_b32_e64 v71, v69, v71, s6
                                        ; implicit-def: $vgpr70
	s_delay_alu instid0(VALU_DEP_2) | instskip(NEXT) | instid1(VALU_DEP_2)
	v_cmp_ge_i32_e64 s7, v72, v22
	v_cmp_lt_i32_e64 s9, v71, v23
	s_or_b32 s7, s7, s8
	s_wait_alu 0xfffe
	s_and_b32 s7, s9, s7
	s_wait_alu 0xfffe
	s_xor_b32 s8, s7, -1
	s_wait_alu 0xfffe
	s_and_saveexec_b32 s9, s8
	s_wait_alu 0xfffe
	s_xor_b32 s8, exec_lo, s9
; %bb.47:                               ;   in Loop: Header=BB15_2 Depth=1
	v_lshlrev_b32_e32 v70, 2, v72
	ds_load_b32 v70, v70 offset:4
; %bb.48:                               ;   in Loop: Header=BB15_2 Depth=1
	s_wait_alu 0xfffe
	s_or_saveexec_b32 s8, s8
	v_mov_b32_e32 v73, v67
	s_wait_alu 0xfffe
	s_xor_b32 exec_lo, exec_lo, s8
	s_cbranch_execz .LBB15_50
; %bb.49:                               ;   in Loop: Header=BB15_2 Depth=1
	s_wait_dscnt 0x0
	v_lshlrev_b32_e32 v70, 2, v71
	ds_load_b32 v73, v70 offset:4
	v_mov_b32_e32 v70, v66
.LBB15_50:                              ;   in Loop: Header=BB15_2 Depth=1
	s_or_b32 exec_lo, exec_lo, s8
	v_add_nc_u32_e32 v74, 1, v72
	v_add_nc_u32_e32 v75, 1, v71
	s_wait_dscnt 0x0
	v_cmp_lt_i32_e64 s8, v73, v70
	v_cndmask_b32_e64 v68, v68, v69, s6
	s_wait_loadcnt 0x0
	v_cndmask_b32_e64 v74, v74, v72, s7
	v_cndmask_b32_e64 v72, v72, v71, s7
	;; [unrolled: 1-line block ×3, first 2 shown]
	s_barrier_signal -1
	s_barrier_wait -1
	v_cmp_ge_i32_e64 s9, v74, v22
	global_inv scope:SCOPE_SE
	v_cmp_lt_i32_e64 s10, v71, v23
	ds_store_2addr_b32 v1, v61, v62 offset1:1
	ds_store_b32 v1, v63 offset:8
	v_lshlrev_b32_e32 v61, 2, v68
	s_or_b32 s8, s9, s8
	v_lshlrev_b32_e32 v62, 2, v72
	s_wait_alu 0xfffe
	s_and_b32 s8, s10, s8
	s_wait_loadcnt_dscnt 0x0
	s_wait_alu 0xfffe
	v_cndmask_b32_e64 v69, v70, v73, s8
	v_cndmask_b32_e64 v70, v74, v71, s8
	s_barrier_signal -1
	s_barrier_wait -1
	global_inv scope:SCOPE_SE
	v_cndmask_b32_e64 v66, v66, v67, s7
	v_lshlrev_b32_e32 v63, 2, v70
	v_cndmask_b32_e64 v64, v64, v65, s6
	ds_load_b32 v61, v61
	ds_load_b32 v62, v62
	;; [unrolled: 1-line block ×3, first 2 shown]
	s_wait_loadcnt_dscnt 0x0
	s_barrier_signal -1
	s_barrier_wait -1
	global_inv scope:SCOPE_SE
	ds_store_2addr_b32 v1, v64, v66 offset1:1
	ds_store_b32 v1, v69 offset:8
	v_mov_b32_e32 v66, v58
	s_wait_loadcnt_dscnt 0x0
	s_barrier_signal -1
	s_barrier_wait -1
	global_inv scope:SCOPE_SE
	s_and_saveexec_b32 s7, s4
	s_cbranch_execz .LBB15_54
; %bb.51:                               ;   in Loop: Header=BB15_2 Depth=1
	v_mov_b32_e32 v66, v58
	v_mov_b32_e32 v64, v52
	s_mov_b32 s8, 0
.LBB15_52:                              ;   Parent Loop BB15_2 Depth=1
                                        ; =>  This Inner Loop Header: Depth=2
	s_delay_alu instid0(VALU_DEP_1) | instskip(NEXT) | instid1(VALU_DEP_1)
	v_sub_nc_u32_e32 v65, v64, v66
	v_lshrrev_b32_e32 v65, 1, v65
	s_delay_alu instid0(VALU_DEP_1) | instskip(NEXT) | instid1(VALU_DEP_1)
	v_add_nc_u32_e32 v65, v65, v66
	v_not_b32_e32 v67, v65
	v_lshl_add_u32 v68, v65, 2, v27
	v_add_nc_u32_e32 v69, 1, v65
	s_delay_alu instid0(VALU_DEP_3)
	v_lshl_add_u32 v67, v67, 2, v35
	ds_load_b32 v68, v68
	ds_load_b32 v67, v67 offset:192
	s_wait_dscnt 0x0
	v_cmp_lt_i32_e64 s6, v67, v68
	s_wait_alu 0xf1ff
	s_delay_alu instid0(VALU_DEP_1) | instskip(SKIP_1) | instid1(VALU_DEP_1)
	v_cndmask_b32_e64 v64, v64, v65, s6
	v_cndmask_b32_e64 v66, v69, v66, s6
	v_cmp_ge_i32_e64 s6, v66, v64
	s_wait_alu 0xfffe
	s_or_b32 s8, s6, s8
	s_wait_alu 0xfffe
	s_and_not1_b32 exec_lo, exec_lo, s8
	s_cbranch_execnz .LBB15_52
; %bb.53:                               ;   in Loop: Header=BB15_2 Depth=1
	s_or_b32 exec_lo, exec_lo, s8
.LBB15_54:                              ;   in Loop: Header=BB15_2 Depth=1
	s_wait_alu 0xfffe
	s_or_b32 exec_lo, exec_lo, s7
	v_sub_nc_u32_e32 v64, v41, v66
	v_lshl_add_u32 v67, v66, 2, v27
	v_add_nc_u32_e32 v68, v66, v11
	v_sub_nc_u32_e32 v69, v46, v66
                                        ; implicit-def: $vgpr66
	s_delay_alu instid0(VALU_DEP_4)
	v_lshlrev_b32_e32 v70, 2, v64
	ds_load_b32 v64, v67
	ds_load_b32 v65, v70 offset:192
	v_cmp_le_i32_e64 s6, v25, v68
	v_cmp_gt_i32_e64 s8, v26, v69
	s_wait_dscnt 0x0
	v_cmp_lt_i32_e64 s7, v65, v64
	s_or_b32 s6, s6, s7
	s_wait_alu 0xfffe
	s_and_b32 s6, s8, s6
	s_wait_alu 0xfffe
	s_xor_b32 s7, s6, -1
	s_wait_alu 0xfffe
	s_and_saveexec_b32 s8, s7
	s_wait_alu 0xfffe
	s_xor_b32 s7, exec_lo, s8
; %bb.55:                               ;   in Loop: Header=BB15_2 Depth=1
	ds_load_b32 v66, v67 offset:4
                                        ; implicit-def: $vgpr70
; %bb.56:                               ;   in Loop: Header=BB15_2 Depth=1
	s_wait_alu 0xfffe
	s_or_saveexec_b32 s7, s7
	v_mov_b32_e32 v67, v65
	s_wait_alu 0xfffe
	s_xor_b32 exec_lo, exec_lo, s7
	s_cbranch_execz .LBB15_58
; %bb.57:                               ;   in Loop: Header=BB15_2 Depth=1
	ds_load_b32 v67, v70 offset:196
	s_wait_dscnt 0x1
	v_mov_b32_e32 v66, v64
.LBB15_58:                              ;   in Loop: Header=BB15_2 Depth=1
	s_or_b32 exec_lo, exec_lo, s7
	v_add_nc_u32_e32 v70, 1, v68
	v_add_nc_u32_e32 v71, 1, v69
	s_wait_dscnt 0x0
	v_cmp_lt_i32_e64 s8, v67, v66
	s_delay_alu instid0(VALU_DEP_3) | instskip(NEXT) | instid1(VALU_DEP_3)
	v_cndmask_b32_e64 v72, v70, v68, s6
	v_cndmask_b32_e64 v71, v69, v71, s6
                                        ; implicit-def: $vgpr70
	s_delay_alu instid0(VALU_DEP_2) | instskip(NEXT) | instid1(VALU_DEP_2)
	v_cmp_ge_i32_e64 s7, v72, v25
	v_cmp_lt_i32_e64 s9, v71, v26
	s_or_b32 s7, s7, s8
	s_wait_alu 0xfffe
	s_and_b32 s7, s9, s7
	s_wait_alu 0xfffe
	s_xor_b32 s8, s7, -1
	s_wait_alu 0xfffe
	s_and_saveexec_b32 s9, s8
	s_wait_alu 0xfffe
	s_xor_b32 s8, exec_lo, s9
; %bb.59:                               ;   in Loop: Header=BB15_2 Depth=1
	v_lshlrev_b32_e32 v70, 2, v72
	ds_load_b32 v70, v70 offset:4
; %bb.60:                               ;   in Loop: Header=BB15_2 Depth=1
	s_wait_alu 0xfffe
	s_or_saveexec_b32 s8, s8
	v_mov_b32_e32 v73, v67
	s_wait_alu 0xfffe
	s_xor_b32 exec_lo, exec_lo, s8
	s_cbranch_execz .LBB15_62
; %bb.61:                               ;   in Loop: Header=BB15_2 Depth=1
	s_wait_dscnt 0x0
	v_lshlrev_b32_e32 v70, 2, v71
	ds_load_b32 v73, v70 offset:4
	v_mov_b32_e32 v70, v66
.LBB15_62:                              ;   in Loop: Header=BB15_2 Depth=1
	s_or_b32 exec_lo, exec_lo, s8
	v_add_nc_u32_e32 v74, 1, v72
	v_add_nc_u32_e32 v75, 1, v71
	v_cndmask_b32_e64 v66, v66, v67, s7
	v_mov_b32_e32 v67, v59
	s_wait_dscnt 0x0
	v_cmp_lt_i32_e64 s8, v73, v70
	v_cndmask_b32_e64 v74, v74, v72, s7
	v_cndmask_b32_e64 v72, v72, v71, s7
	;; [unrolled: 1-line block ×4, first 2 shown]
	s_wait_loadcnt 0x0
	v_cmp_ge_i32_e64 s9, v74, v25
	s_barrier_signal -1
	v_cmp_lt_i32_e64 s10, v71, v26
	s_barrier_wait -1
	global_inv scope:SCOPE_SE
	s_or_b32 s8, s9, s8
	ds_store_2addr_b32 v1, v61, v62 offset1:1
	ds_store_b32 v1, v63 offset:8
	s_wait_alu 0xfffe
	s_and_b32 s8, s10, s8
	v_lshlrev_b32_e32 v61, 2, v68
	s_wait_alu 0xfffe
	v_cndmask_b32_e64 v69, v70, v73, s8
	v_cndmask_b32_e64 v70, v74, v71, s8
	v_lshlrev_b32_e32 v62, 2, v72
	s_wait_loadcnt_dscnt 0x0
	s_barrier_signal -1
	s_barrier_wait -1
	v_lshlrev_b32_e32 v63, 2, v70
	global_inv scope:SCOPE_SE
	ds_load_b32 v61, v61
	ds_load_b32 v62, v62
	;; [unrolled: 1-line block ×3, first 2 shown]
	v_cndmask_b32_e64 v64, v64, v65, s6
	s_wait_loadcnt_dscnt 0x0
	s_barrier_signal -1
	s_barrier_wait -1
	global_inv scope:SCOPE_SE
	ds_store_2addr_b32 v1, v64, v66 offset1:1
	ds_store_b32 v1, v69 offset:8
	s_wait_loadcnt_dscnt 0x0
	s_barrier_signal -1
	s_barrier_wait -1
	global_inv scope:SCOPE_SE
	s_and_saveexec_b32 s7, s5
	s_cbranch_execz .LBB15_66
; %bb.63:                               ;   in Loop: Header=BB15_2 Depth=1
	v_dual_mov_b32 v67, v59 :: v_dual_mov_b32 v64, v53
	s_mov_b32 s8, 0
.LBB15_64:                              ;   Parent Loop BB15_2 Depth=1
                                        ; =>  This Inner Loop Header: Depth=2
	s_delay_alu instid0(VALU_DEP_1) | instskip(NEXT) | instid1(VALU_DEP_1)
	v_sub_nc_u32_e32 v65, v64, v67
	v_lshrrev_b32_e32 v65, 1, v65
	s_delay_alu instid0(VALU_DEP_1) | instskip(NEXT) | instid1(VALU_DEP_1)
	v_add_nc_u32_e32 v65, v65, v67
	v_not_b32_e32 v66, v65
	v_lshl_add_u32 v68, v65, 2, v30
	v_add_nc_u32_e32 v69, 1, v65
	s_delay_alu instid0(VALU_DEP_3)
	v_lshl_add_u32 v66, v66, 2, v36
	ds_load_b32 v68, v68
	ds_load_b32 v66, v66 offset:384
	s_wait_dscnt 0x0
	v_cmp_lt_i32_e64 s6, v66, v68
	s_wait_alu 0xf1ff
	s_delay_alu instid0(VALU_DEP_1) | instskip(SKIP_1) | instid1(VALU_DEP_1)
	v_cndmask_b32_e64 v64, v64, v65, s6
	v_cndmask_b32_e64 v67, v69, v67, s6
	v_cmp_ge_i32_e64 s6, v67, v64
	s_wait_alu 0xfffe
	s_or_b32 s8, s6, s8
	s_wait_alu 0xfffe
	s_and_not1_b32 exec_lo, exec_lo, s8
	s_cbranch_execnz .LBB15_64
; %bb.65:                               ;   in Loop: Header=BB15_2 Depth=1
	s_or_b32 exec_lo, exec_lo, s8
.LBB15_66:                              ;   in Loop: Header=BB15_2 Depth=1
	s_wait_alu 0xfffe
	s_or_b32 exec_lo, exec_lo, s7
	v_sub_nc_u32_e32 v64, v60, v67
	v_lshl_add_u32 v68, v67, 2, v30
	v_sub_nc_u32_e32 v69, v47, v67
	s_delay_alu instid0(VALU_DEP_3) | instskip(SKIP_1) | instid1(VALU_DEP_3)
	v_lshlrev_b32_e32 v70, 2, v64
	v_add_nc_u32_e32 v64, v67, v12
	v_cmp_gt_i32_e64 s8, v29, v69
                                        ; implicit-def: $vgpr67
	ds_load_b32 v65, v68
	ds_load_b32 v66, v70 offset:384
	v_cmp_le_i32_e64 s6, v28, v64
	s_wait_dscnt 0x0
	v_cmp_lt_i32_e64 s7, v66, v65
	s_or_b32 s6, s6, s7
	s_wait_alu 0xfffe
	s_and_b32 s6, s8, s6
	s_wait_alu 0xfffe
	s_xor_b32 s7, s6, -1
	s_wait_alu 0xfffe
	s_and_saveexec_b32 s8, s7
	s_wait_alu 0xfffe
	s_xor_b32 s7, exec_lo, s8
; %bb.67:                               ;   in Loop: Header=BB15_2 Depth=1
	ds_load_b32 v67, v68 offset:4
                                        ; implicit-def: $vgpr70
; %bb.68:                               ;   in Loop: Header=BB15_2 Depth=1
	s_wait_alu 0xfffe
	s_or_saveexec_b32 s7, s7
	v_mov_b32_e32 v68, v66
	s_wait_alu 0xfffe
	s_xor_b32 exec_lo, exec_lo, s7
	s_cbranch_execz .LBB15_70
; %bb.69:                               ;   in Loop: Header=BB15_2 Depth=1
	ds_load_b32 v68, v70 offset:388
	s_wait_dscnt 0x1
	v_mov_b32_e32 v67, v65
.LBB15_70:                              ;   in Loop: Header=BB15_2 Depth=1
	s_or_b32 exec_lo, exec_lo, s7
	v_add_nc_u32_e32 v70, 1, v64
	v_add_nc_u32_e32 v71, 1, v69
	s_wait_dscnt 0x0
	v_cmp_lt_i32_e64 s8, v68, v67
	s_delay_alu instid0(VALU_DEP_3) | instskip(NEXT) | instid1(VALU_DEP_3)
	v_cndmask_b32_e64 v72, v70, v64, s6
	v_cndmask_b32_e64 v71, v69, v71, s6
                                        ; implicit-def: $vgpr70
	s_delay_alu instid0(VALU_DEP_2) | instskip(NEXT) | instid1(VALU_DEP_2)
	v_cmp_ge_i32_e64 s7, v72, v28
	v_cmp_lt_i32_e64 s9, v71, v29
	s_or_b32 s7, s7, s8
	s_wait_alu 0xfffe
	s_and_b32 s7, s9, s7
	s_wait_alu 0xfffe
	s_xor_b32 s8, s7, -1
	s_wait_alu 0xfffe
	s_and_saveexec_b32 s9, s8
	s_wait_alu 0xfffe
	s_xor_b32 s8, exec_lo, s9
; %bb.71:                               ;   in Loop: Header=BB15_2 Depth=1
	v_lshlrev_b32_e32 v70, 2, v72
	ds_load_b32 v70, v70 offset:4
; %bb.72:                               ;   in Loop: Header=BB15_2 Depth=1
	s_wait_alu 0xfffe
	s_or_saveexec_b32 s8, s8
	v_mov_b32_e32 v73, v68
	s_wait_alu 0xfffe
	s_xor_b32 exec_lo, exec_lo, s8
	s_cbranch_execz .LBB15_74
; %bb.73:                               ;   in Loop: Header=BB15_2 Depth=1
	s_wait_dscnt 0x0
	v_lshlrev_b32_e32 v70, 2, v71
	ds_load_b32 v73, v70 offset:4
	v_mov_b32_e32 v70, v67
.LBB15_74:                              ;   in Loop: Header=BB15_2 Depth=1
	s_or_b32 exec_lo, exec_lo, s8
	v_add_nc_u32_e32 v74, 1, v72
	v_add_nc_u32_e32 v75, 1, v71
	s_wait_dscnt 0x0
	v_cmp_lt_i32_e64 s8, v73, v70
	v_cndmask_b32_e64 v64, v64, v69, s6
	s_wait_loadcnt 0x0
	v_cndmask_b32_e64 v74, v74, v72, s7
	v_cndmask_b32_e64 v72, v72, v71, s7
	;; [unrolled: 1-line block ×3, first 2 shown]
	s_barrier_signal -1
	s_barrier_wait -1
	v_cmp_ge_i32_e64 s9, v74, v28
	global_inv scope:SCOPE_SE
	v_cmp_lt_i32_e64 s10, v71, v29
	ds_store_2addr_b32 v1, v61, v62 offset1:1
	ds_store_b32 v1, v63 offset:8
	v_lshlrev_b32_e32 v61, 2, v64
	s_or_b32 s8, s9, s8
	v_lshlrev_b32_e32 v63, 2, v72
	s_wait_alu 0xfffe
	s_and_b32 s8, s10, s8
	s_wait_loadcnt_dscnt 0x0
	s_wait_alu 0xfffe
	v_cndmask_b32_e64 v69, v70, v73, s8
	v_cndmask_b32_e64 v70, v74, v71, s8
	s_barrier_signal -1
	s_barrier_wait -1
	global_inv scope:SCOPE_SE
	v_cndmask_b32_e64 v65, v65, v66, s6
	v_lshlrev_b32_e32 v64, 2, v70
	ds_load_b32 v62, v61
	ds_load_b32 v63, v63
	;; [unrolled: 1-line block ×3, first 2 shown]
	v_cndmask_b32_e64 v61, v67, v68, s7
	s_wait_loadcnt_dscnt 0x0
	s_barrier_signal -1
	s_barrier_wait -1
	global_inv scope:SCOPE_SE
	ds_store_2addr_b32 v1, v65, v61 offset1:1
	ds_store_b32 v1, v69 offset:8
	v_mov_b32_e32 v61, v4
	s_wait_loadcnt_dscnt 0x0
	s_barrier_signal -1
	s_barrier_wait -1
	global_inv scope:SCOPE_SE
	s_and_saveexec_b32 s7, vcc_lo
	s_cbranch_execz .LBB15_78
; %bb.75:                               ;   in Loop: Header=BB15_2 Depth=1
	v_mov_b32_e32 v61, v4
	v_mov_b32_e32 v65, v5
	s_mov_b32 s8, 0
.LBB15_76:                              ;   Parent Loop BB15_2 Depth=1
                                        ; =>  This Inner Loop Header: Depth=2
	s_delay_alu instid0(VALU_DEP_1) | instskip(NEXT) | instid1(VALU_DEP_1)
	v_sub_nc_u32_e32 v66, v65, v61
	v_lshrrev_b32_e32 v66, 1, v66
	s_delay_alu instid0(VALU_DEP_1) | instskip(NEXT) | instid1(VALU_DEP_1)
	v_add_nc_u32_e32 v66, v66, v61
	v_not_b32_e32 v67, v66
	v_lshlrev_b32_e32 v68, 2, v66
	v_add_nc_u32_e32 v69, 1, v66
	s_delay_alu instid0(VALU_DEP_3)
	v_lshl_add_u32 v67, v67, 2, v6
	ds_load_b32 v68, v68
	ds_load_b32 v67, v67 offset:768
	s_wait_dscnt 0x0
	v_cmp_lt_i32_e64 s6, v67, v68
	s_wait_alu 0xf1ff
	s_delay_alu instid0(VALU_DEP_1) | instskip(SKIP_1) | instid1(VALU_DEP_1)
	v_cndmask_b32_e64 v65, v65, v66, s6
	v_cndmask_b32_e64 v61, v69, v61, s6
	v_cmp_ge_i32_e64 s6, v61, v65
	s_wait_alu 0xfffe
	s_or_b32 s8, s6, s8
	s_wait_alu 0xfffe
	s_and_not1_b32 exec_lo, exec_lo, s8
	s_cbranch_execnz .LBB15_76
; %bb.77:                               ;   in Loop: Header=BB15_2 Depth=1
	s_or_b32 exec_lo, exec_lo, s8
.LBB15_78:                              ;   in Loop: Header=BB15_2 Depth=1
	s_wait_alu 0xfffe
	s_or_b32 exec_lo, exec_lo, s7
	v_sub_nc_u32_e32 v65, v2, v61
	v_lshlrev_b32_e32 v70, 2, v61
	v_cmp_le_i32_e64 s6, 0xc0, v61
                                        ; implicit-def: $vgpr69
	s_delay_alu instid0(VALU_DEP_3)
	v_lshlrev_b32_e32 v66, 2, v65
	v_sub_nc_u32_e32 v65, v3, v61
	ds_load_b32 v67, v70
	ds_load_b32 v68, v66 offset:768
	v_cmp_gt_i32_e64 s8, 0x180, v65
	s_wait_dscnt 0x0
	v_cmp_lt_i32_e64 s7, v68, v67
	s_or_b32 s6, s6, s7
	s_wait_alu 0xfffe
	s_and_b32 s6, s8, s6
	s_wait_alu 0xfffe
	s_xor_b32 s7, s6, -1
	s_wait_alu 0xfffe
	s_and_saveexec_b32 s8, s7
	s_wait_alu 0xfffe
	s_xor_b32 s7, exec_lo, s8
; %bb.79:                               ;   in Loop: Header=BB15_2 Depth=1
	ds_load_b32 v69, v70 offset:4
                                        ; implicit-def: $vgpr66
; %bb.80:                               ;   in Loop: Header=BB15_2 Depth=1
	s_wait_alu 0xfffe
	s_or_saveexec_b32 s7, s7
	v_mov_b32_e32 v70, v68
	s_wait_alu 0xfffe
	s_xor_b32 exec_lo, exec_lo, s7
	s_cbranch_execz .LBB15_82
; %bb.81:                               ;   in Loop: Header=BB15_2 Depth=1
	ds_load_b32 v70, v66 offset:772
	s_wait_dscnt 0x1
	v_mov_b32_e32 v69, v67
.LBB15_82:                              ;   in Loop: Header=BB15_2 Depth=1
	s_or_b32 exec_lo, exec_lo, s7
	v_add_nc_u32_e32 v66, 1, v61
	v_add_nc_u32_e32 v71, 1, v65
	s_wait_dscnt 0x0
	v_cmp_lt_i32_e64 s8, v70, v69
                                        ; implicit-def: $vgpr72
	s_delay_alu instid0(VALU_DEP_3) | instskip(NEXT) | instid1(VALU_DEP_3)
	v_cndmask_b32_e64 v74, v66, v61, s6
	v_cndmask_b32_e64 v66, v65, v71, s6
                                        ; implicit-def: $vgpr71
	s_delay_alu instid0(VALU_DEP_2) | instskip(NEXT) | instid1(VALU_DEP_2)
	v_cmp_le_i32_e64 s7, 0xc0, v74
	v_cmp_gt_i32_e64 s9, 0x180, v66
	s_or_b32 s7, s7, s8
	s_wait_alu 0xfffe
	s_and_b32 s7, s9, s7
	s_wait_alu 0xfffe
	s_xor_b32 s8, s7, -1
	s_wait_alu 0xfffe
	s_and_saveexec_b32 s9, s8
	s_wait_alu 0xfffe
	s_xor_b32 s8, exec_lo, s9
; %bb.83:                               ;   in Loop: Header=BB15_2 Depth=1
	v_lshlrev_b32_e32 v71, 2, v74
	ds_load_b32 v72, v71 offset:4
	v_add_nc_u32_e32 v71, 1, v74
; %bb.84:                               ;   in Loop: Header=BB15_2 Depth=1
	s_wait_alu 0xfffe
	s_or_saveexec_b32 s8, s8
	v_mov_b32_e32 v73, v74
	v_mov_b32_e32 v75, v70
	s_wait_alu 0xfffe
	s_xor_b32 exec_lo, exec_lo, s8
	s_cbranch_execz .LBB15_1
; %bb.85:                               ;   in Loop: Header=BB15_2 Depth=1
	s_wait_dscnt 0x0
	v_dual_mov_b32 v73, v66 :: v_dual_add_nc_u32 v72, 1, v66
	s_delay_alu instid0(VALU_DEP_1)
	v_dual_mov_b32 v66, v72 :: v_dual_lshlrev_b32 v71, 2, v66
	v_mov_b32_e32 v72, v69
	ds_load_b32 v75, v71 offset:4
	v_mov_b32_e32 v71, v74
	s_branch .LBB15_1
.LBB15_86:
	s_wait_dscnt 0x2
	v_add_nc_u32_e32 v1, v63, v66
	v_lshlrev_b32_e32 v0, 2, v0
	s_wait_dscnt 0x1
	v_add_nc_u32_e32 v2, v62, v65
	s_wait_dscnt 0x0
	v_add_nc_u32_e32 v3, v61, v64
	s_add_nc_u64 s[0:1], s[14:15], s[16:17]
	s_clause 0x2
	global_store_b32 v0, v1, s[0:1]
	global_store_b32 v0, v2, s[0:1] offset:512
	global_store_b32 v0, v3, s[0:1] offset:1024
	s_endpgm
	.section	.rodata,"a",@progbits
	.p2align	6, 0x0
	.amdhsa_kernel _Z17sort_pairs_kernelIiLj128ELj3EN10test_utils4lessELj10EEvPKT_PS2_T2_
		.amdhsa_group_segment_fixed_size 1540
		.amdhsa_private_segment_fixed_size 0
		.amdhsa_kernarg_size 20
		.amdhsa_user_sgpr_count 2
		.amdhsa_user_sgpr_dispatch_ptr 0
		.amdhsa_user_sgpr_queue_ptr 0
		.amdhsa_user_sgpr_kernarg_segment_ptr 1
		.amdhsa_user_sgpr_dispatch_id 0
		.amdhsa_user_sgpr_private_segment_size 0
		.amdhsa_wavefront_size32 1
		.amdhsa_uses_dynamic_stack 0
		.amdhsa_enable_private_segment 0
		.amdhsa_system_sgpr_workgroup_id_x 1
		.amdhsa_system_sgpr_workgroup_id_y 0
		.amdhsa_system_sgpr_workgroup_id_z 0
		.amdhsa_system_sgpr_workgroup_info 0
		.amdhsa_system_vgpr_workitem_id 0
		.amdhsa_next_free_vgpr 77
		.amdhsa_next_free_sgpr 20
		.amdhsa_reserve_vcc 1
		.amdhsa_float_round_mode_32 0
		.amdhsa_float_round_mode_16_64 0
		.amdhsa_float_denorm_mode_32 3
		.amdhsa_float_denorm_mode_16_64 3
		.amdhsa_fp16_overflow 0
		.amdhsa_workgroup_processor_mode 1
		.amdhsa_memory_ordered 1
		.amdhsa_forward_progress 1
		.amdhsa_inst_pref_size 51
		.amdhsa_round_robin_scheduling 0
		.amdhsa_exception_fp_ieee_invalid_op 0
		.amdhsa_exception_fp_denorm_src 0
		.amdhsa_exception_fp_ieee_div_zero 0
		.amdhsa_exception_fp_ieee_overflow 0
		.amdhsa_exception_fp_ieee_underflow 0
		.amdhsa_exception_fp_ieee_inexact 0
		.amdhsa_exception_int_div_zero 0
	.end_amdhsa_kernel
	.section	.text._Z17sort_pairs_kernelIiLj128ELj3EN10test_utils4lessELj10EEvPKT_PS2_T2_,"axG",@progbits,_Z17sort_pairs_kernelIiLj128ELj3EN10test_utils4lessELj10EEvPKT_PS2_T2_,comdat
.Lfunc_end15:
	.size	_Z17sort_pairs_kernelIiLj128ELj3EN10test_utils4lessELj10EEvPKT_PS2_T2_, .Lfunc_end15-_Z17sort_pairs_kernelIiLj128ELj3EN10test_utils4lessELj10EEvPKT_PS2_T2_
                                        ; -- End function
	.set _Z17sort_pairs_kernelIiLj128ELj3EN10test_utils4lessELj10EEvPKT_PS2_T2_.num_vgpr, 77
	.set _Z17sort_pairs_kernelIiLj128ELj3EN10test_utils4lessELj10EEvPKT_PS2_T2_.num_agpr, 0
	.set _Z17sort_pairs_kernelIiLj128ELj3EN10test_utils4lessELj10EEvPKT_PS2_T2_.numbered_sgpr, 20
	.set _Z17sort_pairs_kernelIiLj128ELj3EN10test_utils4lessELj10EEvPKT_PS2_T2_.num_named_barrier, 0
	.set _Z17sort_pairs_kernelIiLj128ELj3EN10test_utils4lessELj10EEvPKT_PS2_T2_.private_seg_size, 0
	.set _Z17sort_pairs_kernelIiLj128ELj3EN10test_utils4lessELj10EEvPKT_PS2_T2_.uses_vcc, 1
	.set _Z17sort_pairs_kernelIiLj128ELj3EN10test_utils4lessELj10EEvPKT_PS2_T2_.uses_flat_scratch, 0
	.set _Z17sort_pairs_kernelIiLj128ELj3EN10test_utils4lessELj10EEvPKT_PS2_T2_.has_dyn_sized_stack, 0
	.set _Z17sort_pairs_kernelIiLj128ELj3EN10test_utils4lessELj10EEvPKT_PS2_T2_.has_recursion, 0
	.set _Z17sort_pairs_kernelIiLj128ELj3EN10test_utils4lessELj10EEvPKT_PS2_T2_.has_indirect_call, 0
	.section	.AMDGPU.csdata,"",@progbits
; Kernel info:
; codeLenInByte = 6496
; TotalNumSgprs: 22
; NumVgprs: 77
; ScratchSize: 0
; MemoryBound: 0
; FloatMode: 240
; IeeeMode: 1
; LDSByteSize: 1540 bytes/workgroup (compile time only)
; SGPRBlocks: 0
; VGPRBlocks: 9
; NumSGPRsForWavesPerEU: 22
; NumVGPRsForWavesPerEU: 77
; Occupancy: 16
; WaveLimiterHint : 1
; COMPUTE_PGM_RSRC2:SCRATCH_EN: 0
; COMPUTE_PGM_RSRC2:USER_SGPR: 2
; COMPUTE_PGM_RSRC2:TRAP_HANDLER: 0
; COMPUTE_PGM_RSRC2:TGID_X_EN: 1
; COMPUTE_PGM_RSRC2:TGID_Y_EN: 0
; COMPUTE_PGM_RSRC2:TGID_Z_EN: 0
; COMPUTE_PGM_RSRC2:TIDIG_COMP_CNT: 0
	.section	.text._Z16sort_keys_kernelIiLj128ELj4EN10test_utils4lessELj10EEvPKT_PS2_T2_,"axG",@progbits,_Z16sort_keys_kernelIiLj128ELj4EN10test_utils4lessELj10EEvPKT_PS2_T2_,comdat
	.protected	_Z16sort_keys_kernelIiLj128ELj4EN10test_utils4lessELj10EEvPKT_PS2_T2_ ; -- Begin function _Z16sort_keys_kernelIiLj128ELj4EN10test_utils4lessELj10EEvPKT_PS2_T2_
	.globl	_Z16sort_keys_kernelIiLj128ELj4EN10test_utils4lessELj10EEvPKT_PS2_T2_
	.p2align	8
	.type	_Z16sort_keys_kernelIiLj128ELj4EN10test_utils4lessELj10EEvPKT_PS2_T2_,@function
_Z16sort_keys_kernelIiLj128ELj4EN10test_utils4lessELj10EEvPKT_PS2_T2_: ; @_Z16sort_keys_kernelIiLj128ELj4EN10test_utils4lessELj10EEvPKT_PS2_T2_
; %bb.0:
	s_load_b128 s[12:15], s[0:1], 0x0
	s_lshl_b32 s16, ttmp9, 9
	s_mov_b32 s17, 0
	v_lshlrev_b32_e32 v46, 2, v0
	s_lshl_b64 s[18:19], s[16:17], 2
	v_lshlrev_b32_e32 v5, 4, v0
	s_delay_alu instid0(VALU_DEP_2)
	v_and_b32_e32 v18, 0x1c0, v46
	v_and_b32_e32 v50, 60, v46
	;; [unrolled: 1-line block ×5, first 2 shown]
	v_or_b32_e32 v20, 32, v18
	v_add_nc_u32_e32 v21, 64, v18
	v_or_b32_e32 v2, 4, v1
	v_add_nc_u32_e32 v3, 8, v1
	v_and_b32_e32 v25, 0x180, v46
	v_and_b32_e32 v45, 4, v46
	v_sub_nc_u32_e32 v29, v21, v20
	s_wait_kmcnt 0x0
	s_add_nc_u64 s[0:1], s[12:13], s[18:19]
	v_sub_nc_u32_e32 v8, v3, v2
	s_clause 0x3
	global_load_b32 v54, v46, s[0:1]
	global_load_b32 v55, v46, s[0:1] offset:512
	global_load_b32 v56, v46, s[0:1] offset:1024
	;; [unrolled: 1-line block ×3, first 2 shown]
	v_or_b32_e32 v6, 8, v4
	v_sub_nc_u32_e32 v30, v50, v29
	v_cmp_ge_i32_e64 s2, v50, v29
	v_add_nc_u32_e32 v7, 16, v4
	v_or_b32_e32 v13, 16, v11
	v_add_nc_u32_e32 v14, 32, v11
	v_or_b32_e32 v27, 64, v25
	v_cndmask_b32_e64 v29, 0, v30, s2
	v_and_b32_e32 v30, 0x100, v46
	v_add_nc_u32_e32 v28, 0x80, v25
	v_sub_nc_u32_e32 v9, v45, v8
	v_cmp_ge_i32_e32 vcc_lo, v45, v8
	v_and_b32_e32 v48, 12, v46
	v_or_b32_e32 v33, 0x80, v30
	v_add_nc_u32_e32 v34, 0x100, v30
	v_sub_nc_u32_e32 v15, v7, v6
	v_and_b32_e32 v49, 28, v46
	v_sub_nc_u32_e32 v22, v14, v13
	v_and_b32_e32 v51, 0x7c, v46
	;; [unrolled: 2-line block ×3, first 2 shown]
	v_sub_nc_u32_e32 v40, v34, v33
	v_cndmask_b32_e32 v8, 0, v9, vcc_lo
	v_sub_nc_u32_e32 v10, v2, v1
	v_sub_nc_u32_e32 v16, v48, v15
	;; [unrolled: 1-line block ×3, first 2 shown]
	v_cmp_ge_i32_e64 s0, v48, v15
	v_sub_nc_u32_e32 v23, v49, v22
	v_sub_nc_u32_e32 v24, v13, v11
	v_cmp_ge_i32_e64 s1, v49, v22
	v_sub_nc_u32_e32 v31, v20, v18
	v_sub_nc_u32_e32 v36, v51, v35
	;; [unrolled: 1-line block ×3, first 2 shown]
	v_cmp_ge_i32_e64 s3, v51, v35
	v_sub_nc_u32_e32 v41, v52, v40
	v_sub_nc_u32_e32 v42, v33, v30
	v_cmp_ge_i32_e64 s4, v52, v40
	v_min_i32_e32 v9, v45, v10
	v_add_nc_u32_e32 v12, v2, v45
	v_cndmask_b32_e64 v15, 0, v16, s0
	v_min_i32_e32 v16, v48, v17
	v_add_nc_u32_e32 v19, v6, v48
	v_cndmask_b32_e64 v22, 0, v23, s1
	v_min_i32_e32 v23, v49, v24
	v_add_nc_u32_e32 v26, v13, v49
	v_min_i32_e32 v31, v50, v31
	s_wait_alu 0xf1ff
	v_cndmask_b32_e64 v35, 0, v36, s3
	v_min_i32_e32 v36, v51, v37
	v_add_nc_u32_e32 v37, v20, v50
	v_add_nc_u32_e32 v39, v27, v51
	v_cndmask_b32_e64 v40, 0, v41, s4
	v_min_i32_e32 v41, v52, v42
	v_subrev_nc_u32_e64 v42, 0x100, v46 clamp
	v_min_i32_e32 v43, 0x100, v46
	v_lshlrev_b32_e32 v47, 2, v45
	v_add_nc_u32_e32 v45, v33, v52
	v_lshlrev_b32_e32 v48, 2, v48
	v_lshlrev_b32_e32 v49, 2, v49
	;; [unrolled: 1-line block ×7, first 2 shown]
	v_cmp_lt_i32_e64 s0, v15, v16
	v_lshlrev_b32_e32 v24, 2, v11
	v_cmp_lt_i32_e64 s1, v22, v23
	v_lshlrev_b32_e32 v32, 2, v18
	;; [unrolled: 2-line block ×4, first 2 shown]
	v_cmp_lt_i32_e64 s4, v40, v41
	v_cmp_lt_i32_e64 s5, v42, v43
	v_add_nc_u32_e32 v46, 0x100, v46
	v_lshl_add_u32 v47, v2, 2, v47
	v_lshl_add_u32 v48, v6, 2, v48
	;; [unrolled: 1-line block ×6, first 2 shown]
	v_add_nc_u32_e32 v53, 0x400, v5
	v_cmp_lt_i32_e32 vcc_lo, v8, v9
	s_branch .LBB16_2
.LBB16_1:                               ;   in Loop: Header=BB16_2 Depth=1
	s_or_b32 exec_lo, exec_lo, s9
	v_cmp_le_i32_e64 s9, 0x100, v63
	s_wait_dscnt 0x0
	v_cmp_lt_i32_e64 s10, v64, v61
	v_cmp_gt_i32_e64 s11, 0x200, v60
	v_cndmask_b32_e64 v54, v54, v55, s6
	v_cndmask_b32_e64 v55, v56, v57, s7
	;; [unrolled: 1-line block ×3, first 2 shown]
	s_or_b32 s6, s9, s10
	s_add_co_i32 s17, s17, 1
	s_wait_alu 0xfffe
	s_and_b32 s6, s11, s6
	s_cmp_eq_u32 s17, 10
	s_wait_alu 0xfffe
	v_cndmask_b32_e64 v57, v61, v64, s6
	s_cbranch_scc1 .LBB16_114
.LBB16_2:                               ; =>This Loop Header: Depth=1
                                        ;     Child Loop BB16_4 Depth 2
                                        ;     Child Loop BB16_20 Depth 2
	;; [unrolled: 1-line block ×7, first 2 shown]
	s_wait_loadcnt 0x0
	s_delay_alu instid0(VALU_DEP_1)
	v_cmp_lt_i32_e64 s6, v57, v56
	v_cmp_lt_i32_e64 s7, v55, v54
	v_max_i32_e32 v59, v55, v54
	v_min_i32_e32 v61, v57, v56
	s_wait_alu 0xf1ff
	v_cndmask_b32_e64 v60, v57, v56, s6
	v_cndmask_b32_e64 v58, v54, v55, s7
	v_cndmask_b32_e64 v62, v56, v57, s6
	v_cndmask_b32_e64 v63, v55, v54, s7
	v_min_i32_e32 v54, v55, v54
	v_max_i32_e32 v55, v57, v56
	v_cmp_lt_i32_e64 s6, v61, v59
	v_min_i32_e32 v57, v61, v59
	s_barrier_signal -1
	v_cmp_lt_i32_e64 s7, v61, v54
	v_cmp_gt_i32_e64 s8, v59, v55
	s_wait_alu 0xf1ff
	v_cndmask_b32_e64 v56, v62, v59, s6
	v_max_i32_e32 v62, v61, v59
	v_cndmask_b32_e64 v59, v63, v61, s6
	v_cndmask_b32_e64 v58, v58, v57, s7
	v_cndmask_b32_e64 v57, v57, v54, s7
	s_barrier_wait -1
	v_cndmask_b32_e64 v61, v62, v55, s8
	v_cndmask_b32_e64 v54, v59, v54, s7
	;; [unrolled: 1-line block ×3, first 2 shown]
	v_mov_b32_e32 v56, v8
	v_cndmask_b32_e64 v60, v60, v62, s8
	v_cmp_lt_i32_e64 s6, v61, v57
	global_inv scope:SCOPE_SE
	s_wait_alu 0xf1ff
	v_cndmask_b32_e64 v54, v54, v61, s6
	v_cndmask_b32_e64 v55, v55, v57, s6
	ds_store_2addr_b32 v5, v58, v54 offset1:1
	ds_store_2addr_b32 v5, v55, v60 offset0:2 offset1:3
	s_wait_loadcnt_dscnt 0x0
	s_barrier_signal -1
	s_barrier_wait -1
	global_inv scope:SCOPE_SE
	s_and_saveexec_b32 s7, vcc_lo
	s_cbranch_execz .LBB16_6
; %bb.3:                                ;   in Loop: Header=BB16_2 Depth=1
	v_mov_b32_e32 v56, v8
	v_mov_b32_e32 v54, v9
	s_mov_b32 s8, 0
.LBB16_4:                               ;   Parent Loop BB16_2 Depth=1
                                        ; =>  This Inner Loop Header: Depth=2
	s_delay_alu instid0(VALU_DEP_1) | instskip(NEXT) | instid1(VALU_DEP_1)
	v_sub_nc_u32_e32 v55, v54, v56
	v_lshrrev_b32_e32 v55, 1, v55
	s_delay_alu instid0(VALU_DEP_1) | instskip(NEXT) | instid1(VALU_DEP_1)
	v_add_nc_u32_e32 v55, v55, v56
	v_not_b32_e32 v57, v55
	v_lshl_add_u32 v58, v55, 2, v10
	v_add_nc_u32_e32 v59, 1, v55
	s_delay_alu instid0(VALU_DEP_3)
	v_lshl_add_u32 v57, v57, 2, v47
	ds_load_b32 v58, v58
	ds_load_b32 v57, v57
	s_wait_dscnt 0x0
	v_cmp_lt_i32_e64 s6, v57, v58
	s_wait_alu 0xf1ff
	s_delay_alu instid0(VALU_DEP_1) | instskip(SKIP_1) | instid1(VALU_DEP_1)
	v_cndmask_b32_e64 v54, v54, v55, s6
	v_cndmask_b32_e64 v56, v59, v56, s6
	v_cmp_ge_i32_e64 s6, v56, v54
	s_wait_alu 0xfffe
	s_or_b32 s8, s6, s8
	s_wait_alu 0xfffe
	s_and_not1_b32 exec_lo, exec_lo, s8
	s_cbranch_execnz .LBB16_4
; %bb.5:                                ;   in Loop: Header=BB16_2 Depth=1
	s_or_b32 exec_lo, exec_lo, s8
.LBB16_6:                               ;   in Loop: Header=BB16_2 Depth=1
	s_wait_alu 0xfffe
	s_or_b32 exec_lo, exec_lo, s7
	v_sub_nc_u32_e32 v58, v12, v56
	v_lshl_add_u32 v57, v56, 2, v10
	v_add_nc_u32_e32 v59, v56, v1
                                        ; implicit-def: $vgpr56
	s_delay_alu instid0(VALU_DEP_3) | instskip(SKIP_1) | instid1(VALU_DEP_3)
	v_lshlrev_b32_e32 v60, 2, v58
	v_cmp_gt_i32_e64 s8, v3, v58
	v_cmp_le_i32_e64 s6, v2, v59
	ds_load_b32 v54, v57
	ds_load_b32 v55, v60
	s_wait_dscnt 0x0
	v_cmp_lt_i32_e64 s7, v55, v54
	s_or_b32 s6, s6, s7
	s_wait_alu 0xfffe
	s_and_b32 s6, s8, s6
	s_wait_alu 0xfffe
	s_xor_b32 s7, s6, -1
	s_wait_alu 0xfffe
	s_and_saveexec_b32 s8, s7
	s_wait_alu 0xfffe
	s_xor_b32 s7, exec_lo, s8
; %bb.7:                                ;   in Loop: Header=BB16_2 Depth=1
	ds_load_b32 v56, v57 offset:4
                                        ; implicit-def: $vgpr60
; %bb.8:                                ;   in Loop: Header=BB16_2 Depth=1
	s_wait_alu 0xfffe
	s_or_saveexec_b32 s7, s7
	v_mov_b32_e32 v57, v55
	s_wait_alu 0xfffe
	s_xor_b32 exec_lo, exec_lo, s7
	s_cbranch_execz .LBB16_10
; %bb.9:                                ;   in Loop: Header=BB16_2 Depth=1
	ds_load_b32 v57, v60 offset:4
	s_wait_dscnt 0x1
	v_mov_b32_e32 v56, v54
.LBB16_10:                              ;   in Loop: Header=BB16_2 Depth=1
	s_or_b32 exec_lo, exec_lo, s7
	v_add_nc_u32_e32 v60, 1, v59
	v_add_nc_u32_e32 v62, 1, v58
	s_wait_dscnt 0x0
	v_cmp_lt_i32_e64 s8, v57, v56
	s_delay_alu instid0(VALU_DEP_3) | instskip(NEXT) | instid1(VALU_DEP_3)
	v_cndmask_b32_e64 v61, v60, v59, s6
	v_cndmask_b32_e64 v60, v58, v62, s6
                                        ; implicit-def: $vgpr58
	s_delay_alu instid0(VALU_DEP_2) | instskip(NEXT) | instid1(VALU_DEP_2)
	v_cmp_ge_i32_e64 s7, v61, v2
	v_cmp_lt_i32_e64 s9, v60, v3
	s_or_b32 s7, s7, s8
	s_wait_alu 0xfffe
	s_and_b32 s7, s9, s7
	s_wait_alu 0xfffe
	s_xor_b32 s8, s7, -1
	s_wait_alu 0xfffe
	s_and_saveexec_b32 s9, s8
	s_wait_alu 0xfffe
	s_xor_b32 s8, exec_lo, s9
; %bb.11:                               ;   in Loop: Header=BB16_2 Depth=1
	v_lshlrev_b32_e32 v58, 2, v61
	ds_load_b32 v58, v58 offset:4
; %bb.12:                               ;   in Loop: Header=BB16_2 Depth=1
	s_wait_alu 0xfffe
	s_or_saveexec_b32 s8, s8
	v_mov_b32_e32 v59, v57
	s_wait_alu 0xfffe
	s_xor_b32 exec_lo, exec_lo, s8
	s_cbranch_execz .LBB16_14
; %bb.13:                               ;   in Loop: Header=BB16_2 Depth=1
	s_wait_dscnt 0x0
	v_lshlrev_b32_e32 v58, 2, v60
	ds_load_b32 v59, v58 offset:4
	v_mov_b32_e32 v58, v56
.LBB16_14:                              ;   in Loop: Header=BB16_2 Depth=1
	s_or_b32 exec_lo, exec_lo, s8
	v_add_nc_u32_e32 v62, 1, v61
	v_add_nc_u32_e32 v63, 1, v60
	s_wait_dscnt 0x0
	v_cmp_lt_i32_e64 s9, v59, v58
	s_delay_alu instid0(VALU_DEP_3) | instskip(NEXT) | instid1(VALU_DEP_3)
	v_cndmask_b32_e64 v62, v62, v61, s7
	v_cndmask_b32_e64 v61, v60, v63, s7
                                        ; implicit-def: $vgpr60
	s_delay_alu instid0(VALU_DEP_2) | instskip(NEXT) | instid1(VALU_DEP_2)
	v_cmp_ge_i32_e64 s8, v62, v2
	v_cmp_lt_i32_e64 s10, v61, v3
	s_or_b32 s8, s8, s9
	s_wait_alu 0xfffe
	s_and_b32 s8, s10, s8
	s_wait_alu 0xfffe
	s_xor_b32 s9, s8, -1
	s_wait_alu 0xfffe
	s_and_saveexec_b32 s10, s9
	s_delay_alu instid0(SALU_CYCLE_1)
	s_xor_b32 s9, exec_lo, s10
; %bb.15:                               ;   in Loop: Header=BB16_2 Depth=1
	v_lshlrev_b32_e32 v60, 2, v62
	ds_load_b32 v60, v60 offset:4
; %bb.16:                               ;   in Loop: Header=BB16_2 Depth=1
	s_wait_alu 0xfffe
	s_or_saveexec_b32 s9, s9
	v_mov_b32_e32 v63, v59
	s_wait_alu 0xfffe
	s_xor_b32 exec_lo, exec_lo, s9
	s_cbranch_execz .LBB16_18
; %bb.17:                               ;   in Loop: Header=BB16_2 Depth=1
	s_wait_dscnt 0x0
	v_lshlrev_b32_e32 v60, 2, v61
	ds_load_b32 v63, v60 offset:4
	v_mov_b32_e32 v60, v58
.LBB16_18:                              ;   in Loop: Header=BB16_2 Depth=1
	s_or_b32 exec_lo, exec_lo, s9
	v_add_nc_u32_e32 v64, 1, v62
	v_add_nc_u32_e32 v65, 1, v61
	v_cndmask_b32_e64 v57, v56, v57, s7
	v_mov_b32_e32 v56, v15
	v_cndmask_b32_e64 v58, v58, v59, s8
	v_cndmask_b32_e64 v62, v64, v62, s8
	;; [unrolled: 1-line block ×3, first 2 shown]
	s_wait_dscnt 0x0
	v_cmp_lt_i32_e64 s8, v63, v60
	v_cndmask_b32_e64 v54, v54, v55, s6
	s_wait_loadcnt 0x0
	v_cmp_ge_i32_e64 s9, v62, v2
	v_cmp_lt_i32_e64 s7, v61, v3
	s_barrier_signal -1
	s_barrier_wait -1
	global_inv scope:SCOPE_SE
	s_or_b32 s6, s9, s8
	s_wait_alu 0xfffe
	s_and_b32 s6, s7, s6
	s_wait_alu 0xfffe
	v_cndmask_b32_e64 v55, v60, v63, s6
	ds_store_2addr_b32 v5, v54, v57 offset1:1
	ds_store_2addr_b32 v5, v58, v55 offset0:2 offset1:3
	s_wait_loadcnt_dscnt 0x0
	s_barrier_signal -1
	s_barrier_wait -1
	global_inv scope:SCOPE_SE
	s_and_saveexec_b32 s7, s0
	s_cbranch_execz .LBB16_22
; %bb.19:                               ;   in Loop: Header=BB16_2 Depth=1
	v_mov_b32_e32 v56, v15
	v_mov_b32_e32 v54, v16
	s_mov_b32 s8, 0
.LBB16_20:                              ;   Parent Loop BB16_2 Depth=1
                                        ; =>  This Inner Loop Header: Depth=2
	s_delay_alu instid0(VALU_DEP_1) | instskip(NEXT) | instid1(VALU_DEP_1)
	v_sub_nc_u32_e32 v55, v54, v56
	v_lshrrev_b32_e32 v55, 1, v55
	s_delay_alu instid0(VALU_DEP_1) | instskip(NEXT) | instid1(VALU_DEP_1)
	v_add_nc_u32_e32 v55, v55, v56
	v_not_b32_e32 v57, v55
	v_lshl_add_u32 v58, v55, 2, v17
	v_add_nc_u32_e32 v59, 1, v55
	s_delay_alu instid0(VALU_DEP_3)
	v_lshl_add_u32 v57, v57, 2, v48
	ds_load_b32 v58, v58
	ds_load_b32 v57, v57
	s_wait_dscnt 0x0
	v_cmp_lt_i32_e64 s6, v57, v58
	s_wait_alu 0xf1ff
	s_delay_alu instid0(VALU_DEP_1) | instskip(SKIP_1) | instid1(VALU_DEP_1)
	v_cndmask_b32_e64 v54, v54, v55, s6
	v_cndmask_b32_e64 v56, v59, v56, s6
	v_cmp_ge_i32_e64 s6, v56, v54
	s_wait_alu 0xfffe
	s_or_b32 s8, s6, s8
	s_wait_alu 0xfffe
	s_and_not1_b32 exec_lo, exec_lo, s8
	s_cbranch_execnz .LBB16_20
; %bb.21:                               ;   in Loop: Header=BB16_2 Depth=1
	s_or_b32 exec_lo, exec_lo, s8
.LBB16_22:                              ;   in Loop: Header=BB16_2 Depth=1
	s_wait_alu 0xfffe
	s_or_b32 exec_lo, exec_lo, s7
	v_sub_nc_u32_e32 v58, v19, v56
	v_lshl_add_u32 v57, v56, 2, v17
	v_add_nc_u32_e32 v59, v56, v4
                                        ; implicit-def: $vgpr56
	s_delay_alu instid0(VALU_DEP_3) | instskip(SKIP_1) | instid1(VALU_DEP_3)
	v_lshlrev_b32_e32 v60, 2, v58
	v_cmp_gt_i32_e64 s8, v7, v58
	v_cmp_le_i32_e64 s6, v6, v59
	ds_load_b32 v54, v57
	ds_load_b32 v55, v60
	s_wait_dscnt 0x0
	v_cmp_lt_i32_e64 s7, v55, v54
	s_or_b32 s6, s6, s7
	s_wait_alu 0xfffe
	s_and_b32 s6, s8, s6
	s_wait_alu 0xfffe
	s_xor_b32 s7, s6, -1
	s_wait_alu 0xfffe
	s_and_saveexec_b32 s8, s7
	s_wait_alu 0xfffe
	s_xor_b32 s7, exec_lo, s8
; %bb.23:                               ;   in Loop: Header=BB16_2 Depth=1
	ds_load_b32 v56, v57 offset:4
                                        ; implicit-def: $vgpr60
; %bb.24:                               ;   in Loop: Header=BB16_2 Depth=1
	s_wait_alu 0xfffe
	s_or_saveexec_b32 s7, s7
	v_mov_b32_e32 v57, v55
	s_wait_alu 0xfffe
	s_xor_b32 exec_lo, exec_lo, s7
	s_cbranch_execz .LBB16_26
; %bb.25:                               ;   in Loop: Header=BB16_2 Depth=1
	ds_load_b32 v57, v60 offset:4
	s_wait_dscnt 0x1
	v_mov_b32_e32 v56, v54
.LBB16_26:                              ;   in Loop: Header=BB16_2 Depth=1
	s_or_b32 exec_lo, exec_lo, s7
	v_add_nc_u32_e32 v60, 1, v59
	v_add_nc_u32_e32 v62, 1, v58
	s_wait_dscnt 0x0
	v_cmp_lt_i32_e64 s8, v57, v56
	s_delay_alu instid0(VALU_DEP_3) | instskip(NEXT) | instid1(VALU_DEP_3)
	v_cndmask_b32_e64 v61, v60, v59, s6
	v_cndmask_b32_e64 v60, v58, v62, s6
                                        ; implicit-def: $vgpr58
	s_delay_alu instid0(VALU_DEP_2) | instskip(NEXT) | instid1(VALU_DEP_2)
	v_cmp_ge_i32_e64 s7, v61, v6
	v_cmp_lt_i32_e64 s9, v60, v7
	s_or_b32 s7, s7, s8
	s_wait_alu 0xfffe
	s_and_b32 s7, s9, s7
	s_wait_alu 0xfffe
	s_xor_b32 s8, s7, -1
	s_wait_alu 0xfffe
	s_and_saveexec_b32 s9, s8
	s_wait_alu 0xfffe
	s_xor_b32 s8, exec_lo, s9
; %bb.27:                               ;   in Loop: Header=BB16_2 Depth=1
	v_lshlrev_b32_e32 v58, 2, v61
	ds_load_b32 v58, v58 offset:4
; %bb.28:                               ;   in Loop: Header=BB16_2 Depth=1
	s_wait_alu 0xfffe
	s_or_saveexec_b32 s8, s8
	v_mov_b32_e32 v59, v57
	s_wait_alu 0xfffe
	s_xor_b32 exec_lo, exec_lo, s8
	s_cbranch_execz .LBB16_30
; %bb.29:                               ;   in Loop: Header=BB16_2 Depth=1
	s_wait_dscnt 0x0
	v_lshlrev_b32_e32 v58, 2, v60
	ds_load_b32 v59, v58 offset:4
	v_mov_b32_e32 v58, v56
.LBB16_30:                              ;   in Loop: Header=BB16_2 Depth=1
	s_or_b32 exec_lo, exec_lo, s8
	v_add_nc_u32_e32 v62, 1, v61
	v_add_nc_u32_e32 v63, 1, v60
	s_wait_dscnt 0x0
	v_cmp_lt_i32_e64 s9, v59, v58
	s_delay_alu instid0(VALU_DEP_3) | instskip(NEXT) | instid1(VALU_DEP_3)
	v_cndmask_b32_e64 v62, v62, v61, s7
	v_cndmask_b32_e64 v61, v60, v63, s7
                                        ; implicit-def: $vgpr60
	s_delay_alu instid0(VALU_DEP_2) | instskip(NEXT) | instid1(VALU_DEP_2)
	v_cmp_ge_i32_e64 s8, v62, v6
	v_cmp_lt_i32_e64 s10, v61, v7
	s_or_b32 s8, s8, s9
	s_wait_alu 0xfffe
	s_and_b32 s8, s10, s8
	s_wait_alu 0xfffe
	s_xor_b32 s9, s8, -1
	s_wait_alu 0xfffe
	s_and_saveexec_b32 s10, s9
	s_delay_alu instid0(SALU_CYCLE_1)
	s_xor_b32 s9, exec_lo, s10
; %bb.31:                               ;   in Loop: Header=BB16_2 Depth=1
	v_lshlrev_b32_e32 v60, 2, v62
	ds_load_b32 v60, v60 offset:4
; %bb.32:                               ;   in Loop: Header=BB16_2 Depth=1
	s_wait_alu 0xfffe
	s_or_saveexec_b32 s9, s9
	v_mov_b32_e32 v63, v59
	s_wait_alu 0xfffe
	s_xor_b32 exec_lo, exec_lo, s9
	s_cbranch_execz .LBB16_34
; %bb.33:                               ;   in Loop: Header=BB16_2 Depth=1
	s_wait_dscnt 0x0
	v_lshlrev_b32_e32 v60, 2, v61
	ds_load_b32 v63, v60 offset:4
	v_mov_b32_e32 v60, v58
.LBB16_34:                              ;   in Loop: Header=BB16_2 Depth=1
	s_or_b32 exec_lo, exec_lo, s9
	v_add_nc_u32_e32 v64, 1, v62
	v_add_nc_u32_e32 v65, 1, v61
	v_cndmask_b32_e64 v57, v56, v57, s7
	v_mov_b32_e32 v56, v22
	v_cndmask_b32_e64 v58, v58, v59, s8
	v_cndmask_b32_e64 v62, v64, v62, s8
	;; [unrolled: 1-line block ×3, first 2 shown]
	s_wait_dscnt 0x0
	v_cmp_lt_i32_e64 s8, v63, v60
	v_cndmask_b32_e64 v54, v54, v55, s6
	s_wait_loadcnt 0x0
	v_cmp_ge_i32_e64 s9, v62, v6
	v_cmp_lt_i32_e64 s7, v61, v7
	s_barrier_signal -1
	s_barrier_wait -1
	global_inv scope:SCOPE_SE
	s_or_b32 s6, s9, s8
	s_wait_alu 0xfffe
	s_and_b32 s6, s7, s6
	s_wait_alu 0xfffe
	v_cndmask_b32_e64 v55, v60, v63, s6
	ds_store_2addr_b32 v5, v54, v57 offset1:1
	ds_store_2addr_b32 v5, v58, v55 offset0:2 offset1:3
	s_wait_loadcnt_dscnt 0x0
	s_barrier_signal -1
	s_barrier_wait -1
	global_inv scope:SCOPE_SE
	s_and_saveexec_b32 s7, s1
	s_cbranch_execz .LBB16_38
; %bb.35:                               ;   in Loop: Header=BB16_2 Depth=1
	v_mov_b32_e32 v56, v22
	v_mov_b32_e32 v54, v23
	s_mov_b32 s8, 0
.LBB16_36:                              ;   Parent Loop BB16_2 Depth=1
                                        ; =>  This Inner Loop Header: Depth=2
	s_delay_alu instid0(VALU_DEP_1) | instskip(NEXT) | instid1(VALU_DEP_1)
	v_sub_nc_u32_e32 v55, v54, v56
	v_lshrrev_b32_e32 v55, 1, v55
	s_delay_alu instid0(VALU_DEP_1) | instskip(NEXT) | instid1(VALU_DEP_1)
	v_add_nc_u32_e32 v55, v55, v56
	v_not_b32_e32 v57, v55
	v_lshl_add_u32 v58, v55, 2, v24
	v_add_nc_u32_e32 v59, 1, v55
	s_delay_alu instid0(VALU_DEP_3)
	v_lshl_add_u32 v57, v57, 2, v49
	ds_load_b32 v58, v58
	ds_load_b32 v57, v57
	s_wait_dscnt 0x0
	v_cmp_lt_i32_e64 s6, v57, v58
	s_wait_alu 0xf1ff
	s_delay_alu instid0(VALU_DEP_1) | instskip(SKIP_1) | instid1(VALU_DEP_1)
	v_cndmask_b32_e64 v54, v54, v55, s6
	v_cndmask_b32_e64 v56, v59, v56, s6
	v_cmp_ge_i32_e64 s6, v56, v54
	s_wait_alu 0xfffe
	s_or_b32 s8, s6, s8
	s_wait_alu 0xfffe
	s_and_not1_b32 exec_lo, exec_lo, s8
	s_cbranch_execnz .LBB16_36
; %bb.37:                               ;   in Loop: Header=BB16_2 Depth=1
	s_or_b32 exec_lo, exec_lo, s8
.LBB16_38:                              ;   in Loop: Header=BB16_2 Depth=1
	s_wait_alu 0xfffe
	s_or_b32 exec_lo, exec_lo, s7
	v_sub_nc_u32_e32 v58, v26, v56
	v_lshl_add_u32 v57, v56, 2, v24
	v_add_nc_u32_e32 v59, v56, v11
                                        ; implicit-def: $vgpr56
	s_delay_alu instid0(VALU_DEP_3) | instskip(SKIP_1) | instid1(VALU_DEP_3)
	v_lshlrev_b32_e32 v60, 2, v58
	v_cmp_gt_i32_e64 s8, v14, v58
	v_cmp_le_i32_e64 s6, v13, v59
	ds_load_b32 v54, v57
	ds_load_b32 v55, v60
	s_wait_dscnt 0x0
	v_cmp_lt_i32_e64 s7, v55, v54
	s_or_b32 s6, s6, s7
	s_wait_alu 0xfffe
	s_and_b32 s6, s8, s6
	s_wait_alu 0xfffe
	s_xor_b32 s7, s6, -1
	s_wait_alu 0xfffe
	s_and_saveexec_b32 s8, s7
	s_wait_alu 0xfffe
	s_xor_b32 s7, exec_lo, s8
; %bb.39:                               ;   in Loop: Header=BB16_2 Depth=1
	ds_load_b32 v56, v57 offset:4
                                        ; implicit-def: $vgpr60
; %bb.40:                               ;   in Loop: Header=BB16_2 Depth=1
	s_wait_alu 0xfffe
	s_or_saveexec_b32 s7, s7
	v_mov_b32_e32 v57, v55
	s_wait_alu 0xfffe
	s_xor_b32 exec_lo, exec_lo, s7
	s_cbranch_execz .LBB16_42
; %bb.41:                               ;   in Loop: Header=BB16_2 Depth=1
	ds_load_b32 v57, v60 offset:4
	s_wait_dscnt 0x1
	v_mov_b32_e32 v56, v54
.LBB16_42:                              ;   in Loop: Header=BB16_2 Depth=1
	s_or_b32 exec_lo, exec_lo, s7
	v_add_nc_u32_e32 v60, 1, v59
	v_add_nc_u32_e32 v62, 1, v58
	s_wait_dscnt 0x0
	v_cmp_lt_i32_e64 s8, v57, v56
	s_delay_alu instid0(VALU_DEP_3) | instskip(NEXT) | instid1(VALU_DEP_3)
	v_cndmask_b32_e64 v61, v60, v59, s6
	v_cndmask_b32_e64 v60, v58, v62, s6
                                        ; implicit-def: $vgpr58
	s_delay_alu instid0(VALU_DEP_2) | instskip(NEXT) | instid1(VALU_DEP_2)
	v_cmp_ge_i32_e64 s7, v61, v13
	v_cmp_lt_i32_e64 s9, v60, v14
	s_or_b32 s7, s7, s8
	s_wait_alu 0xfffe
	s_and_b32 s7, s9, s7
	s_wait_alu 0xfffe
	s_xor_b32 s8, s7, -1
	s_wait_alu 0xfffe
	s_and_saveexec_b32 s9, s8
	s_wait_alu 0xfffe
	s_xor_b32 s8, exec_lo, s9
; %bb.43:                               ;   in Loop: Header=BB16_2 Depth=1
	v_lshlrev_b32_e32 v58, 2, v61
	ds_load_b32 v58, v58 offset:4
; %bb.44:                               ;   in Loop: Header=BB16_2 Depth=1
	s_wait_alu 0xfffe
	s_or_saveexec_b32 s8, s8
	v_mov_b32_e32 v59, v57
	s_wait_alu 0xfffe
	s_xor_b32 exec_lo, exec_lo, s8
	s_cbranch_execz .LBB16_46
; %bb.45:                               ;   in Loop: Header=BB16_2 Depth=1
	s_wait_dscnt 0x0
	v_lshlrev_b32_e32 v58, 2, v60
	ds_load_b32 v59, v58 offset:4
	v_mov_b32_e32 v58, v56
.LBB16_46:                              ;   in Loop: Header=BB16_2 Depth=1
	s_or_b32 exec_lo, exec_lo, s8
	v_add_nc_u32_e32 v62, 1, v61
	v_add_nc_u32_e32 v63, 1, v60
	s_wait_dscnt 0x0
	v_cmp_lt_i32_e64 s9, v59, v58
	s_delay_alu instid0(VALU_DEP_3) | instskip(NEXT) | instid1(VALU_DEP_3)
	v_cndmask_b32_e64 v62, v62, v61, s7
	v_cndmask_b32_e64 v61, v60, v63, s7
                                        ; implicit-def: $vgpr60
	s_delay_alu instid0(VALU_DEP_2) | instskip(NEXT) | instid1(VALU_DEP_2)
	v_cmp_ge_i32_e64 s8, v62, v13
	v_cmp_lt_i32_e64 s10, v61, v14
	s_or_b32 s8, s8, s9
	s_wait_alu 0xfffe
	s_and_b32 s8, s10, s8
	s_wait_alu 0xfffe
	s_xor_b32 s9, s8, -1
	s_wait_alu 0xfffe
	s_and_saveexec_b32 s10, s9
	s_delay_alu instid0(SALU_CYCLE_1)
	s_xor_b32 s9, exec_lo, s10
; %bb.47:                               ;   in Loop: Header=BB16_2 Depth=1
	v_lshlrev_b32_e32 v60, 2, v62
	ds_load_b32 v60, v60 offset:4
; %bb.48:                               ;   in Loop: Header=BB16_2 Depth=1
	s_wait_alu 0xfffe
	s_or_saveexec_b32 s9, s9
	v_mov_b32_e32 v63, v59
	s_wait_alu 0xfffe
	s_xor_b32 exec_lo, exec_lo, s9
	s_cbranch_execz .LBB16_50
; %bb.49:                               ;   in Loop: Header=BB16_2 Depth=1
	s_wait_dscnt 0x0
	v_lshlrev_b32_e32 v60, 2, v61
	ds_load_b32 v63, v60 offset:4
	v_mov_b32_e32 v60, v58
.LBB16_50:                              ;   in Loop: Header=BB16_2 Depth=1
	s_or_b32 exec_lo, exec_lo, s9
	v_add_nc_u32_e32 v64, 1, v62
	v_add_nc_u32_e32 v65, 1, v61
	v_cndmask_b32_e64 v57, v56, v57, s7
	v_mov_b32_e32 v56, v29
	v_cndmask_b32_e64 v58, v58, v59, s8
	v_cndmask_b32_e64 v62, v64, v62, s8
	;; [unrolled: 1-line block ×3, first 2 shown]
	s_wait_dscnt 0x0
	v_cmp_lt_i32_e64 s8, v63, v60
	v_cndmask_b32_e64 v54, v54, v55, s6
	s_wait_loadcnt 0x0
	v_cmp_ge_i32_e64 s9, v62, v13
	v_cmp_lt_i32_e64 s7, v61, v14
	s_barrier_signal -1
	s_barrier_wait -1
	global_inv scope:SCOPE_SE
	s_or_b32 s6, s9, s8
	s_wait_alu 0xfffe
	s_and_b32 s6, s7, s6
	s_wait_alu 0xfffe
	v_cndmask_b32_e64 v55, v60, v63, s6
	ds_store_2addr_b32 v5, v54, v57 offset1:1
	ds_store_2addr_b32 v5, v58, v55 offset0:2 offset1:3
	s_wait_loadcnt_dscnt 0x0
	s_barrier_signal -1
	s_barrier_wait -1
	global_inv scope:SCOPE_SE
	s_and_saveexec_b32 s7, s2
	s_cbranch_execz .LBB16_54
; %bb.51:                               ;   in Loop: Header=BB16_2 Depth=1
	v_mov_b32_e32 v56, v29
	v_mov_b32_e32 v54, v31
	s_mov_b32 s8, 0
.LBB16_52:                              ;   Parent Loop BB16_2 Depth=1
                                        ; =>  This Inner Loop Header: Depth=2
	s_delay_alu instid0(VALU_DEP_1) | instskip(NEXT) | instid1(VALU_DEP_1)
	v_sub_nc_u32_e32 v55, v54, v56
	v_lshrrev_b32_e32 v55, 1, v55
	s_delay_alu instid0(VALU_DEP_1) | instskip(NEXT) | instid1(VALU_DEP_1)
	v_add_nc_u32_e32 v55, v55, v56
	v_not_b32_e32 v57, v55
	v_lshl_add_u32 v58, v55, 2, v32
	v_add_nc_u32_e32 v59, 1, v55
	s_delay_alu instid0(VALU_DEP_3)
	v_lshl_add_u32 v57, v57, 2, v50
	ds_load_b32 v58, v58
	ds_load_b32 v57, v57
	s_wait_dscnt 0x0
	v_cmp_lt_i32_e64 s6, v57, v58
	s_wait_alu 0xf1ff
	s_delay_alu instid0(VALU_DEP_1) | instskip(SKIP_1) | instid1(VALU_DEP_1)
	v_cndmask_b32_e64 v54, v54, v55, s6
	v_cndmask_b32_e64 v56, v59, v56, s6
	v_cmp_ge_i32_e64 s6, v56, v54
	s_wait_alu 0xfffe
	s_or_b32 s8, s6, s8
	s_wait_alu 0xfffe
	s_and_not1_b32 exec_lo, exec_lo, s8
	s_cbranch_execnz .LBB16_52
; %bb.53:                               ;   in Loop: Header=BB16_2 Depth=1
	s_or_b32 exec_lo, exec_lo, s8
.LBB16_54:                              ;   in Loop: Header=BB16_2 Depth=1
	s_wait_alu 0xfffe
	s_or_b32 exec_lo, exec_lo, s7
	v_sub_nc_u32_e32 v58, v37, v56
	v_lshl_add_u32 v57, v56, 2, v32
	v_add_nc_u32_e32 v59, v56, v18
                                        ; implicit-def: $vgpr56
	s_delay_alu instid0(VALU_DEP_3) | instskip(SKIP_1) | instid1(VALU_DEP_3)
	v_lshlrev_b32_e32 v60, 2, v58
	v_cmp_gt_i32_e64 s8, v21, v58
	v_cmp_le_i32_e64 s6, v20, v59
	ds_load_b32 v54, v57
	ds_load_b32 v55, v60
	s_wait_dscnt 0x0
	v_cmp_lt_i32_e64 s7, v55, v54
	s_or_b32 s6, s6, s7
	s_wait_alu 0xfffe
	s_and_b32 s6, s8, s6
	s_wait_alu 0xfffe
	s_xor_b32 s7, s6, -1
	s_wait_alu 0xfffe
	s_and_saveexec_b32 s8, s7
	s_wait_alu 0xfffe
	s_xor_b32 s7, exec_lo, s8
; %bb.55:                               ;   in Loop: Header=BB16_2 Depth=1
	ds_load_b32 v56, v57 offset:4
                                        ; implicit-def: $vgpr60
; %bb.56:                               ;   in Loop: Header=BB16_2 Depth=1
	s_wait_alu 0xfffe
	s_or_saveexec_b32 s7, s7
	v_mov_b32_e32 v57, v55
	s_wait_alu 0xfffe
	s_xor_b32 exec_lo, exec_lo, s7
	s_cbranch_execz .LBB16_58
; %bb.57:                               ;   in Loop: Header=BB16_2 Depth=1
	ds_load_b32 v57, v60 offset:4
	s_wait_dscnt 0x1
	v_mov_b32_e32 v56, v54
.LBB16_58:                              ;   in Loop: Header=BB16_2 Depth=1
	s_or_b32 exec_lo, exec_lo, s7
	v_add_nc_u32_e32 v60, 1, v59
	v_add_nc_u32_e32 v62, 1, v58
	s_wait_dscnt 0x0
	v_cmp_lt_i32_e64 s8, v57, v56
	s_delay_alu instid0(VALU_DEP_3) | instskip(NEXT) | instid1(VALU_DEP_3)
	v_cndmask_b32_e64 v61, v60, v59, s6
	v_cndmask_b32_e64 v60, v58, v62, s6
                                        ; implicit-def: $vgpr58
	s_delay_alu instid0(VALU_DEP_2) | instskip(NEXT) | instid1(VALU_DEP_2)
	v_cmp_ge_i32_e64 s7, v61, v20
	v_cmp_lt_i32_e64 s9, v60, v21
	s_or_b32 s7, s7, s8
	s_wait_alu 0xfffe
	s_and_b32 s7, s9, s7
	s_wait_alu 0xfffe
	s_xor_b32 s8, s7, -1
	s_wait_alu 0xfffe
	s_and_saveexec_b32 s9, s8
	s_wait_alu 0xfffe
	s_xor_b32 s8, exec_lo, s9
; %bb.59:                               ;   in Loop: Header=BB16_2 Depth=1
	v_lshlrev_b32_e32 v58, 2, v61
	ds_load_b32 v58, v58 offset:4
; %bb.60:                               ;   in Loop: Header=BB16_2 Depth=1
	s_wait_alu 0xfffe
	s_or_saveexec_b32 s8, s8
	v_mov_b32_e32 v59, v57
	s_wait_alu 0xfffe
	s_xor_b32 exec_lo, exec_lo, s8
	s_cbranch_execz .LBB16_62
; %bb.61:                               ;   in Loop: Header=BB16_2 Depth=1
	s_wait_dscnt 0x0
	v_lshlrev_b32_e32 v58, 2, v60
	ds_load_b32 v59, v58 offset:4
	v_mov_b32_e32 v58, v56
.LBB16_62:                              ;   in Loop: Header=BB16_2 Depth=1
	s_or_b32 exec_lo, exec_lo, s8
	v_add_nc_u32_e32 v62, 1, v61
	v_add_nc_u32_e32 v63, 1, v60
	s_wait_dscnt 0x0
	v_cmp_lt_i32_e64 s9, v59, v58
	s_delay_alu instid0(VALU_DEP_3) | instskip(NEXT) | instid1(VALU_DEP_3)
	v_cndmask_b32_e64 v62, v62, v61, s7
	v_cndmask_b32_e64 v61, v60, v63, s7
                                        ; implicit-def: $vgpr60
	s_delay_alu instid0(VALU_DEP_2) | instskip(NEXT) | instid1(VALU_DEP_2)
	v_cmp_ge_i32_e64 s8, v62, v20
	v_cmp_lt_i32_e64 s10, v61, v21
	s_or_b32 s8, s8, s9
	s_wait_alu 0xfffe
	s_and_b32 s8, s10, s8
	s_wait_alu 0xfffe
	s_xor_b32 s9, s8, -1
	s_wait_alu 0xfffe
	s_and_saveexec_b32 s10, s9
	s_delay_alu instid0(SALU_CYCLE_1)
	s_xor_b32 s9, exec_lo, s10
; %bb.63:                               ;   in Loop: Header=BB16_2 Depth=1
	v_lshlrev_b32_e32 v60, 2, v62
	ds_load_b32 v60, v60 offset:4
; %bb.64:                               ;   in Loop: Header=BB16_2 Depth=1
	s_wait_alu 0xfffe
	s_or_saveexec_b32 s9, s9
	v_mov_b32_e32 v63, v59
	s_wait_alu 0xfffe
	s_xor_b32 exec_lo, exec_lo, s9
	s_cbranch_execz .LBB16_66
; %bb.65:                               ;   in Loop: Header=BB16_2 Depth=1
	s_wait_dscnt 0x0
	v_lshlrev_b32_e32 v60, 2, v61
	ds_load_b32 v63, v60 offset:4
	v_mov_b32_e32 v60, v58
.LBB16_66:                              ;   in Loop: Header=BB16_2 Depth=1
	s_or_b32 exec_lo, exec_lo, s9
	v_add_nc_u32_e32 v64, 1, v62
	v_add_nc_u32_e32 v65, 1, v61
	v_cndmask_b32_e64 v57, v56, v57, s7
	v_mov_b32_e32 v56, v35
	v_cndmask_b32_e64 v58, v58, v59, s8
	v_cndmask_b32_e64 v62, v64, v62, s8
	;; [unrolled: 1-line block ×3, first 2 shown]
	s_wait_dscnt 0x0
	v_cmp_lt_i32_e64 s8, v63, v60
	v_cndmask_b32_e64 v54, v54, v55, s6
	s_wait_loadcnt 0x0
	v_cmp_ge_i32_e64 s9, v62, v20
	v_cmp_lt_i32_e64 s7, v61, v21
	s_barrier_signal -1
	s_barrier_wait -1
	global_inv scope:SCOPE_SE
	s_or_b32 s6, s9, s8
	s_wait_alu 0xfffe
	s_and_b32 s6, s7, s6
	s_wait_alu 0xfffe
	v_cndmask_b32_e64 v55, v60, v63, s6
	ds_store_2addr_b32 v5, v54, v57 offset1:1
	ds_store_2addr_b32 v5, v58, v55 offset0:2 offset1:3
	s_wait_loadcnt_dscnt 0x0
	s_barrier_signal -1
	s_barrier_wait -1
	global_inv scope:SCOPE_SE
	s_and_saveexec_b32 s7, s3
	s_cbranch_execz .LBB16_70
; %bb.67:                               ;   in Loop: Header=BB16_2 Depth=1
	v_mov_b32_e32 v56, v35
	v_mov_b32_e32 v54, v36
	s_mov_b32 s8, 0
.LBB16_68:                              ;   Parent Loop BB16_2 Depth=1
                                        ; =>  This Inner Loop Header: Depth=2
	s_delay_alu instid0(VALU_DEP_1) | instskip(NEXT) | instid1(VALU_DEP_1)
	v_sub_nc_u32_e32 v55, v54, v56
	v_lshrrev_b32_e32 v55, 1, v55
	s_delay_alu instid0(VALU_DEP_1) | instskip(NEXT) | instid1(VALU_DEP_1)
	v_add_nc_u32_e32 v55, v55, v56
	v_not_b32_e32 v57, v55
	v_lshl_add_u32 v58, v55, 2, v38
	v_add_nc_u32_e32 v59, 1, v55
	s_delay_alu instid0(VALU_DEP_3)
	v_lshl_add_u32 v57, v57, 2, v51
	ds_load_b32 v58, v58
	ds_load_b32 v57, v57
	s_wait_dscnt 0x0
	v_cmp_lt_i32_e64 s6, v57, v58
	s_wait_alu 0xf1ff
	s_delay_alu instid0(VALU_DEP_1) | instskip(SKIP_1) | instid1(VALU_DEP_1)
	v_cndmask_b32_e64 v54, v54, v55, s6
	v_cndmask_b32_e64 v56, v59, v56, s6
	v_cmp_ge_i32_e64 s6, v56, v54
	s_wait_alu 0xfffe
	s_or_b32 s8, s6, s8
	s_wait_alu 0xfffe
	s_and_not1_b32 exec_lo, exec_lo, s8
	s_cbranch_execnz .LBB16_68
; %bb.69:                               ;   in Loop: Header=BB16_2 Depth=1
	s_or_b32 exec_lo, exec_lo, s8
.LBB16_70:                              ;   in Loop: Header=BB16_2 Depth=1
	s_wait_alu 0xfffe
	s_or_b32 exec_lo, exec_lo, s7
	v_sub_nc_u32_e32 v58, v39, v56
	v_lshl_add_u32 v57, v56, 2, v38
	v_add_nc_u32_e32 v59, v56, v25
                                        ; implicit-def: $vgpr56
	s_delay_alu instid0(VALU_DEP_3) | instskip(SKIP_1) | instid1(VALU_DEP_3)
	v_lshlrev_b32_e32 v60, 2, v58
	v_cmp_gt_i32_e64 s8, v28, v58
	v_cmp_le_i32_e64 s6, v27, v59
	ds_load_b32 v54, v57
	ds_load_b32 v55, v60
	s_wait_dscnt 0x0
	v_cmp_lt_i32_e64 s7, v55, v54
	s_or_b32 s6, s6, s7
	s_wait_alu 0xfffe
	s_and_b32 s6, s8, s6
	s_wait_alu 0xfffe
	s_xor_b32 s7, s6, -1
	s_wait_alu 0xfffe
	s_and_saveexec_b32 s8, s7
	s_wait_alu 0xfffe
	s_xor_b32 s7, exec_lo, s8
; %bb.71:                               ;   in Loop: Header=BB16_2 Depth=1
	ds_load_b32 v56, v57 offset:4
                                        ; implicit-def: $vgpr60
; %bb.72:                               ;   in Loop: Header=BB16_2 Depth=1
	s_wait_alu 0xfffe
	s_or_saveexec_b32 s7, s7
	v_mov_b32_e32 v57, v55
	s_wait_alu 0xfffe
	s_xor_b32 exec_lo, exec_lo, s7
	s_cbranch_execz .LBB16_74
; %bb.73:                               ;   in Loop: Header=BB16_2 Depth=1
	ds_load_b32 v57, v60 offset:4
	s_wait_dscnt 0x1
	v_mov_b32_e32 v56, v54
.LBB16_74:                              ;   in Loop: Header=BB16_2 Depth=1
	s_or_b32 exec_lo, exec_lo, s7
	v_add_nc_u32_e32 v60, 1, v59
	v_add_nc_u32_e32 v62, 1, v58
	s_wait_dscnt 0x0
	v_cmp_lt_i32_e64 s8, v57, v56
	s_delay_alu instid0(VALU_DEP_3) | instskip(NEXT) | instid1(VALU_DEP_3)
	v_cndmask_b32_e64 v61, v60, v59, s6
	v_cndmask_b32_e64 v60, v58, v62, s6
                                        ; implicit-def: $vgpr58
	s_delay_alu instid0(VALU_DEP_2) | instskip(NEXT) | instid1(VALU_DEP_2)
	v_cmp_ge_i32_e64 s7, v61, v27
	v_cmp_lt_i32_e64 s9, v60, v28
	s_or_b32 s7, s7, s8
	s_wait_alu 0xfffe
	s_and_b32 s7, s9, s7
	s_wait_alu 0xfffe
	s_xor_b32 s8, s7, -1
	s_wait_alu 0xfffe
	s_and_saveexec_b32 s9, s8
	s_wait_alu 0xfffe
	s_xor_b32 s8, exec_lo, s9
; %bb.75:                               ;   in Loop: Header=BB16_2 Depth=1
	v_lshlrev_b32_e32 v58, 2, v61
	ds_load_b32 v58, v58 offset:4
; %bb.76:                               ;   in Loop: Header=BB16_2 Depth=1
	s_wait_alu 0xfffe
	s_or_saveexec_b32 s8, s8
	v_mov_b32_e32 v59, v57
	s_wait_alu 0xfffe
	s_xor_b32 exec_lo, exec_lo, s8
	s_cbranch_execz .LBB16_78
; %bb.77:                               ;   in Loop: Header=BB16_2 Depth=1
	s_wait_dscnt 0x0
	v_lshlrev_b32_e32 v58, 2, v60
	ds_load_b32 v59, v58 offset:4
	v_mov_b32_e32 v58, v56
.LBB16_78:                              ;   in Loop: Header=BB16_2 Depth=1
	s_or_b32 exec_lo, exec_lo, s8
	v_add_nc_u32_e32 v62, 1, v61
	v_add_nc_u32_e32 v63, 1, v60
	s_wait_dscnt 0x0
	v_cmp_lt_i32_e64 s9, v59, v58
	s_delay_alu instid0(VALU_DEP_3) | instskip(NEXT) | instid1(VALU_DEP_3)
	v_cndmask_b32_e64 v62, v62, v61, s7
	v_cndmask_b32_e64 v61, v60, v63, s7
                                        ; implicit-def: $vgpr60
	s_delay_alu instid0(VALU_DEP_2) | instskip(NEXT) | instid1(VALU_DEP_2)
	v_cmp_ge_i32_e64 s8, v62, v27
	v_cmp_lt_i32_e64 s10, v61, v28
	s_or_b32 s8, s8, s9
	s_wait_alu 0xfffe
	s_and_b32 s8, s10, s8
	s_wait_alu 0xfffe
	s_xor_b32 s9, s8, -1
	s_wait_alu 0xfffe
	s_and_saveexec_b32 s10, s9
	s_delay_alu instid0(SALU_CYCLE_1)
	s_xor_b32 s9, exec_lo, s10
; %bb.79:                               ;   in Loop: Header=BB16_2 Depth=1
	v_lshlrev_b32_e32 v60, 2, v62
	ds_load_b32 v60, v60 offset:4
; %bb.80:                               ;   in Loop: Header=BB16_2 Depth=1
	s_wait_alu 0xfffe
	s_or_saveexec_b32 s9, s9
	v_mov_b32_e32 v63, v59
	s_wait_alu 0xfffe
	s_xor_b32 exec_lo, exec_lo, s9
	s_cbranch_execz .LBB16_82
; %bb.81:                               ;   in Loop: Header=BB16_2 Depth=1
	s_wait_dscnt 0x0
	v_lshlrev_b32_e32 v60, 2, v61
	ds_load_b32 v63, v60 offset:4
	v_mov_b32_e32 v60, v58
.LBB16_82:                              ;   in Loop: Header=BB16_2 Depth=1
	s_or_b32 exec_lo, exec_lo, s9
	v_add_nc_u32_e32 v64, 1, v62
	v_add_nc_u32_e32 v65, 1, v61
	v_cndmask_b32_e64 v57, v56, v57, s7
	v_mov_b32_e32 v56, v40
	v_cndmask_b32_e64 v58, v58, v59, s8
	v_cndmask_b32_e64 v62, v64, v62, s8
	;; [unrolled: 1-line block ×3, first 2 shown]
	s_wait_dscnt 0x0
	v_cmp_lt_i32_e64 s8, v63, v60
	v_cndmask_b32_e64 v54, v54, v55, s6
	s_wait_loadcnt 0x0
	v_cmp_ge_i32_e64 s9, v62, v27
	v_cmp_lt_i32_e64 s7, v61, v28
	s_barrier_signal -1
	s_barrier_wait -1
	global_inv scope:SCOPE_SE
	s_or_b32 s6, s9, s8
	s_wait_alu 0xfffe
	s_and_b32 s6, s7, s6
	s_wait_alu 0xfffe
	v_cndmask_b32_e64 v55, v60, v63, s6
	ds_store_2addr_b32 v5, v54, v57 offset1:1
	ds_store_2addr_b32 v5, v58, v55 offset0:2 offset1:3
	s_wait_loadcnt_dscnt 0x0
	s_barrier_signal -1
	s_barrier_wait -1
	global_inv scope:SCOPE_SE
	s_and_saveexec_b32 s7, s4
	s_cbranch_execz .LBB16_86
; %bb.83:                               ;   in Loop: Header=BB16_2 Depth=1
	v_mov_b32_e32 v56, v40
	v_mov_b32_e32 v54, v41
	s_mov_b32 s8, 0
.LBB16_84:                              ;   Parent Loop BB16_2 Depth=1
                                        ; =>  This Inner Loop Header: Depth=2
	s_delay_alu instid0(VALU_DEP_1) | instskip(NEXT) | instid1(VALU_DEP_1)
	v_sub_nc_u32_e32 v55, v54, v56
	v_lshrrev_b32_e32 v55, 1, v55
	s_delay_alu instid0(VALU_DEP_1) | instskip(NEXT) | instid1(VALU_DEP_1)
	v_add_nc_u32_e32 v55, v55, v56
	v_not_b32_e32 v57, v55
	v_lshl_add_u32 v58, v55, 2, v44
	v_add_nc_u32_e32 v59, 1, v55
	s_delay_alu instid0(VALU_DEP_3)
	v_lshl_add_u32 v57, v57, 2, v52
	ds_load_b32 v58, v58
	ds_load_b32 v57, v57
	s_wait_dscnt 0x0
	v_cmp_lt_i32_e64 s6, v57, v58
	s_wait_alu 0xf1ff
	s_delay_alu instid0(VALU_DEP_1) | instskip(SKIP_1) | instid1(VALU_DEP_1)
	v_cndmask_b32_e64 v54, v54, v55, s6
	v_cndmask_b32_e64 v56, v59, v56, s6
	v_cmp_ge_i32_e64 s6, v56, v54
	s_wait_alu 0xfffe
	s_or_b32 s8, s6, s8
	s_wait_alu 0xfffe
	s_and_not1_b32 exec_lo, exec_lo, s8
	s_cbranch_execnz .LBB16_84
; %bb.85:                               ;   in Loop: Header=BB16_2 Depth=1
	s_or_b32 exec_lo, exec_lo, s8
.LBB16_86:                              ;   in Loop: Header=BB16_2 Depth=1
	s_wait_alu 0xfffe
	s_or_b32 exec_lo, exec_lo, s7
	v_sub_nc_u32_e32 v58, v45, v56
	v_lshl_add_u32 v57, v56, 2, v44
	v_add_nc_u32_e32 v59, v56, v30
                                        ; implicit-def: $vgpr56
	s_delay_alu instid0(VALU_DEP_3) | instskip(SKIP_1) | instid1(VALU_DEP_3)
	v_lshlrev_b32_e32 v60, 2, v58
	v_cmp_gt_i32_e64 s8, v34, v58
	v_cmp_le_i32_e64 s6, v33, v59
	ds_load_b32 v54, v57
	ds_load_b32 v55, v60
	s_wait_dscnt 0x0
	v_cmp_lt_i32_e64 s7, v55, v54
	s_or_b32 s6, s6, s7
	s_wait_alu 0xfffe
	s_and_b32 s6, s8, s6
	s_wait_alu 0xfffe
	s_xor_b32 s7, s6, -1
	s_wait_alu 0xfffe
	s_and_saveexec_b32 s8, s7
	s_wait_alu 0xfffe
	s_xor_b32 s7, exec_lo, s8
; %bb.87:                               ;   in Loop: Header=BB16_2 Depth=1
	ds_load_b32 v56, v57 offset:4
                                        ; implicit-def: $vgpr60
; %bb.88:                               ;   in Loop: Header=BB16_2 Depth=1
	s_wait_alu 0xfffe
	s_or_saveexec_b32 s7, s7
	v_mov_b32_e32 v57, v55
	s_wait_alu 0xfffe
	s_xor_b32 exec_lo, exec_lo, s7
	s_cbranch_execz .LBB16_90
; %bb.89:                               ;   in Loop: Header=BB16_2 Depth=1
	ds_load_b32 v57, v60 offset:4
	s_wait_dscnt 0x1
	v_mov_b32_e32 v56, v54
.LBB16_90:                              ;   in Loop: Header=BB16_2 Depth=1
	s_or_b32 exec_lo, exec_lo, s7
	v_add_nc_u32_e32 v60, 1, v59
	v_add_nc_u32_e32 v62, 1, v58
	s_wait_dscnt 0x0
	v_cmp_lt_i32_e64 s8, v57, v56
	s_delay_alu instid0(VALU_DEP_3) | instskip(NEXT) | instid1(VALU_DEP_3)
	v_cndmask_b32_e64 v61, v60, v59, s6
	v_cndmask_b32_e64 v60, v58, v62, s6
                                        ; implicit-def: $vgpr58
	s_delay_alu instid0(VALU_DEP_2) | instskip(NEXT) | instid1(VALU_DEP_2)
	v_cmp_ge_i32_e64 s7, v61, v33
	v_cmp_lt_i32_e64 s9, v60, v34
	s_or_b32 s7, s7, s8
	s_wait_alu 0xfffe
	s_and_b32 s7, s9, s7
	s_wait_alu 0xfffe
	s_xor_b32 s8, s7, -1
	s_wait_alu 0xfffe
	s_and_saveexec_b32 s9, s8
	s_wait_alu 0xfffe
	s_xor_b32 s8, exec_lo, s9
; %bb.91:                               ;   in Loop: Header=BB16_2 Depth=1
	v_lshlrev_b32_e32 v58, 2, v61
	ds_load_b32 v58, v58 offset:4
; %bb.92:                               ;   in Loop: Header=BB16_2 Depth=1
	s_wait_alu 0xfffe
	s_or_saveexec_b32 s8, s8
	v_mov_b32_e32 v59, v57
	s_wait_alu 0xfffe
	s_xor_b32 exec_lo, exec_lo, s8
	s_cbranch_execz .LBB16_94
; %bb.93:                               ;   in Loop: Header=BB16_2 Depth=1
	s_wait_dscnt 0x0
	v_lshlrev_b32_e32 v58, 2, v60
	ds_load_b32 v59, v58 offset:4
	v_mov_b32_e32 v58, v56
.LBB16_94:                              ;   in Loop: Header=BB16_2 Depth=1
	s_or_b32 exec_lo, exec_lo, s8
	v_add_nc_u32_e32 v62, 1, v61
	v_add_nc_u32_e32 v63, 1, v60
	s_wait_dscnt 0x0
	v_cmp_lt_i32_e64 s9, v59, v58
	s_delay_alu instid0(VALU_DEP_3) | instskip(NEXT) | instid1(VALU_DEP_3)
	v_cndmask_b32_e64 v62, v62, v61, s7
	v_cndmask_b32_e64 v61, v60, v63, s7
                                        ; implicit-def: $vgpr60
	s_delay_alu instid0(VALU_DEP_2) | instskip(NEXT) | instid1(VALU_DEP_2)
	v_cmp_ge_i32_e64 s8, v62, v33
	v_cmp_lt_i32_e64 s10, v61, v34
	s_or_b32 s8, s8, s9
	s_wait_alu 0xfffe
	s_and_b32 s8, s10, s8
	s_wait_alu 0xfffe
	s_xor_b32 s9, s8, -1
	s_wait_alu 0xfffe
	s_and_saveexec_b32 s10, s9
	s_delay_alu instid0(SALU_CYCLE_1)
	s_xor_b32 s9, exec_lo, s10
; %bb.95:                               ;   in Loop: Header=BB16_2 Depth=1
	v_lshlrev_b32_e32 v60, 2, v62
	ds_load_b32 v60, v60 offset:4
; %bb.96:                               ;   in Loop: Header=BB16_2 Depth=1
	s_wait_alu 0xfffe
	s_or_saveexec_b32 s9, s9
	v_mov_b32_e32 v63, v59
	s_wait_alu 0xfffe
	s_xor_b32 exec_lo, exec_lo, s9
	s_cbranch_execz .LBB16_98
; %bb.97:                               ;   in Loop: Header=BB16_2 Depth=1
	s_wait_dscnt 0x0
	v_lshlrev_b32_e32 v60, 2, v61
	ds_load_b32 v63, v60 offset:4
	v_mov_b32_e32 v60, v58
.LBB16_98:                              ;   in Loop: Header=BB16_2 Depth=1
	s_or_b32 exec_lo, exec_lo, s9
	v_add_nc_u32_e32 v64, 1, v62
	v_add_nc_u32_e32 v65, 1, v61
	v_cndmask_b32_e64 v59, v58, v59, s8
	v_mov_b32_e32 v58, v42
	v_cndmask_b32_e64 v56, v56, v57, s7
	v_cndmask_b32_e64 v62, v64, v62, s8
	;; [unrolled: 1-line block ×3, first 2 shown]
	s_wait_dscnt 0x0
	v_cmp_lt_i32_e64 s8, v63, v60
	v_cndmask_b32_e64 v54, v54, v55, s6
	s_wait_loadcnt 0x0
	v_cmp_ge_i32_e64 s9, v62, v33
	v_cmp_lt_i32_e64 s7, v61, v34
	s_barrier_signal -1
	s_barrier_wait -1
	global_inv scope:SCOPE_SE
	s_or_b32 s6, s9, s8
	s_wait_alu 0xfffe
	s_and_b32 s6, s7, s6
	s_wait_alu 0xfffe
	v_cndmask_b32_e64 v55, v60, v63, s6
	ds_store_2addr_b32 v5, v54, v56 offset1:1
	ds_store_2addr_b32 v5, v59, v55 offset0:2 offset1:3
	s_wait_loadcnt_dscnt 0x0
	s_barrier_signal -1
	s_barrier_wait -1
	global_inv scope:SCOPE_SE
	s_and_saveexec_b32 s7, s5
	s_cbranch_execz .LBB16_102
; %bb.99:                               ;   in Loop: Header=BB16_2 Depth=1
	v_mov_b32_e32 v58, v42
	v_mov_b32_e32 v54, v43
	s_mov_b32 s8, 0
.LBB16_100:                             ;   Parent Loop BB16_2 Depth=1
                                        ; =>  This Inner Loop Header: Depth=2
	s_delay_alu instid0(VALU_DEP_1) | instskip(NEXT) | instid1(VALU_DEP_1)
	v_sub_nc_u32_e32 v55, v54, v58
	v_lshrrev_b32_e32 v55, 1, v55
	s_delay_alu instid0(VALU_DEP_1) | instskip(NEXT) | instid1(VALU_DEP_1)
	v_add_nc_u32_e32 v55, v55, v58
	v_not_b32_e32 v56, v55
	v_lshlrev_b32_e32 v57, 2, v55
	v_add_nc_u32_e32 v59, 1, v55
	s_delay_alu instid0(VALU_DEP_3)
	v_lshl_add_u32 v56, v56, 2, v53
	ds_load_b32 v57, v57
	ds_load_b32 v56, v56
	s_wait_dscnt 0x0
	v_cmp_lt_i32_e64 s6, v56, v57
	s_wait_alu 0xf1ff
	s_delay_alu instid0(VALU_DEP_1) | instskip(SKIP_1) | instid1(VALU_DEP_1)
	v_cndmask_b32_e64 v54, v54, v55, s6
	v_cndmask_b32_e64 v58, v59, v58, s6
	v_cmp_ge_i32_e64 s6, v58, v54
	s_wait_alu 0xfffe
	s_or_b32 s8, s6, s8
	s_wait_alu 0xfffe
	s_and_not1_b32 exec_lo, exec_lo, s8
	s_cbranch_execnz .LBB16_100
; %bb.101:                              ;   in Loop: Header=BB16_2 Depth=1
	s_or_b32 exec_lo, exec_lo, s8
.LBB16_102:                             ;   in Loop: Header=BB16_2 Depth=1
	s_wait_alu 0xfffe
	s_or_b32 exec_lo, exec_lo, s7
	v_sub_nc_u32_e32 v59, v46, v58
	v_lshlrev_b32_e32 v57, 2, v58
	v_cmp_le_i32_e64 s6, 0x100, v58
                                        ; implicit-def: $vgpr56
	s_delay_alu instid0(VALU_DEP_3)
	v_lshlrev_b32_e32 v60, 2, v59
	v_cmp_gt_i32_e64 s8, 0x200, v59
	ds_load_b32 v54, v57
	ds_load_b32 v55, v60
	s_wait_dscnt 0x0
	v_cmp_lt_i32_e64 s7, v55, v54
	s_or_b32 s6, s6, s7
	s_wait_alu 0xfffe
	s_and_b32 s6, s8, s6
	s_wait_alu 0xfffe
	s_xor_b32 s7, s6, -1
	s_wait_alu 0xfffe
	s_and_saveexec_b32 s8, s7
	s_wait_alu 0xfffe
	s_xor_b32 s7, exec_lo, s8
; %bb.103:                              ;   in Loop: Header=BB16_2 Depth=1
	ds_load_b32 v56, v57 offset:4
                                        ; implicit-def: $vgpr60
; %bb.104:                              ;   in Loop: Header=BB16_2 Depth=1
	s_wait_alu 0xfffe
	s_or_saveexec_b32 s7, s7
	v_mov_b32_e32 v57, v55
	s_wait_alu 0xfffe
	s_xor_b32 exec_lo, exec_lo, s7
	s_cbranch_execz .LBB16_106
; %bb.105:                              ;   in Loop: Header=BB16_2 Depth=1
	ds_load_b32 v57, v60 offset:4
	s_wait_dscnt 0x1
	v_mov_b32_e32 v56, v54
.LBB16_106:                             ;   in Loop: Header=BB16_2 Depth=1
	s_or_b32 exec_lo, exec_lo, s7
	v_add_nc_u32_e32 v60, 1, v58
	v_add_nc_u32_e32 v62, 1, v59
	s_wait_dscnt 0x0
	v_cmp_lt_i32_e64 s8, v57, v56
	s_delay_alu instid0(VALU_DEP_3) | instskip(NEXT) | instid1(VALU_DEP_3)
	v_cndmask_b32_e64 v61, v60, v58, s6
	v_cndmask_b32_e64 v60, v59, v62, s6
                                        ; implicit-def: $vgpr58
	s_delay_alu instid0(VALU_DEP_2) | instskip(NEXT) | instid1(VALU_DEP_2)
	v_cmp_le_i32_e64 s7, 0x100, v61
	v_cmp_gt_i32_e64 s9, 0x200, v60
	s_or_b32 s7, s7, s8
	s_wait_alu 0xfffe
	s_and_b32 s7, s9, s7
	s_wait_alu 0xfffe
	s_xor_b32 s8, s7, -1
	s_wait_alu 0xfffe
	s_and_saveexec_b32 s9, s8
	s_wait_alu 0xfffe
	s_xor_b32 s8, exec_lo, s9
; %bb.107:                              ;   in Loop: Header=BB16_2 Depth=1
	v_lshlrev_b32_e32 v58, 2, v61
	ds_load_b32 v58, v58 offset:4
; %bb.108:                              ;   in Loop: Header=BB16_2 Depth=1
	s_wait_alu 0xfffe
	s_or_saveexec_b32 s8, s8
	v_mov_b32_e32 v59, v57
	s_wait_alu 0xfffe
	s_xor_b32 exec_lo, exec_lo, s8
	s_cbranch_execz .LBB16_110
; %bb.109:                              ;   in Loop: Header=BB16_2 Depth=1
	s_wait_dscnt 0x0
	v_lshlrev_b32_e32 v58, 2, v60
	ds_load_b32 v59, v58 offset:4
	v_mov_b32_e32 v58, v56
.LBB16_110:                             ;   in Loop: Header=BB16_2 Depth=1
	s_or_b32 exec_lo, exec_lo, s8
	v_add_nc_u32_e32 v62, 1, v61
	v_add_nc_u32_e32 v63, 1, v60
	s_wait_dscnt 0x0
	v_cmp_lt_i32_e64 s9, v59, v58
	s_delay_alu instid0(VALU_DEP_3) | instskip(NEXT) | instid1(VALU_DEP_3)
	v_cndmask_b32_e64 v62, v62, v61, s7
	v_cndmask_b32_e64 v60, v60, v63, s7
                                        ; implicit-def: $vgpr61
                                        ; implicit-def: $vgpr63
	s_delay_alu instid0(VALU_DEP_2) | instskip(NEXT) | instid1(VALU_DEP_2)
	v_cmp_le_i32_e64 s8, 0x100, v62
	v_cmp_gt_i32_e64 s10, 0x200, v60
	s_or_b32 s8, s8, s9
	s_wait_alu 0xfffe
	s_and_b32 s8, s10, s8
	s_wait_alu 0xfffe
	s_xor_b32 s9, s8, -1
	s_wait_alu 0xfffe
	s_and_saveexec_b32 s10, s9
	s_delay_alu instid0(SALU_CYCLE_1)
	s_xor_b32 s9, exec_lo, s10
; %bb.111:                              ;   in Loop: Header=BB16_2 Depth=1
	v_lshlrev_b32_e32 v61, 2, v62
	v_add_nc_u32_e32 v63, 1, v62
                                        ; implicit-def: $vgpr62
	ds_load_b32 v61, v61 offset:4
; %bb.112:                              ;   in Loop: Header=BB16_2 Depth=1
	s_wait_alu 0xfffe
	s_or_saveexec_b32 s9, s9
	v_mov_b32_e32 v64, v59
	s_wait_alu 0xfffe
	s_xor_b32 exec_lo, exec_lo, s9
	s_cbranch_execz .LBB16_1
; %bb.113:                              ;   in Loop: Header=BB16_2 Depth=1
	s_wait_dscnt 0x0
	v_lshlrev_b32_e32 v61, 2, v60
	v_dual_mov_b32 v63, v62 :: v_dual_add_nc_u32 v60, 1, v60
	ds_load_b32 v64, v61 offset:4
	v_mov_b32_e32 v61, v58
	s_branch .LBB16_1
.LBB16_114:
	v_lshlrev_b32_e32 v0, 2, v0
	s_add_nc_u64 s[0:1], s[14:15], s[18:19]
	s_clause 0x3
	global_store_b32 v0, v54, s[0:1]
	global_store_b32 v0, v55, s[0:1] offset:512
	global_store_b32 v0, v56, s[0:1] offset:1024
	;; [unrolled: 1-line block ×3, first 2 shown]
	s_endpgm
	.section	.rodata,"a",@progbits
	.p2align	6, 0x0
	.amdhsa_kernel _Z16sort_keys_kernelIiLj128ELj4EN10test_utils4lessELj10EEvPKT_PS2_T2_
		.amdhsa_group_segment_fixed_size 2052
		.amdhsa_private_segment_fixed_size 0
		.amdhsa_kernarg_size 20
		.amdhsa_user_sgpr_count 2
		.amdhsa_user_sgpr_dispatch_ptr 0
		.amdhsa_user_sgpr_queue_ptr 0
		.amdhsa_user_sgpr_kernarg_segment_ptr 1
		.amdhsa_user_sgpr_dispatch_id 0
		.amdhsa_user_sgpr_private_segment_size 0
		.amdhsa_wavefront_size32 1
		.amdhsa_uses_dynamic_stack 0
		.amdhsa_enable_private_segment 0
		.amdhsa_system_sgpr_workgroup_id_x 1
		.amdhsa_system_sgpr_workgroup_id_y 0
		.amdhsa_system_sgpr_workgroup_id_z 0
		.amdhsa_system_sgpr_workgroup_info 0
		.amdhsa_system_vgpr_workitem_id 0
		.amdhsa_next_free_vgpr 66
		.amdhsa_next_free_sgpr 20
		.amdhsa_reserve_vcc 1
		.amdhsa_float_round_mode_32 0
		.amdhsa_float_round_mode_16_64 0
		.amdhsa_float_denorm_mode_32 3
		.amdhsa_float_denorm_mode_16_64 3
		.amdhsa_fp16_overflow 0
		.amdhsa_workgroup_processor_mode 1
		.amdhsa_memory_ordered 1
		.amdhsa_forward_progress 1
		.amdhsa_inst_pref_size 51
		.amdhsa_round_robin_scheduling 0
		.amdhsa_exception_fp_ieee_invalid_op 0
		.amdhsa_exception_fp_denorm_src 0
		.amdhsa_exception_fp_ieee_div_zero 0
		.amdhsa_exception_fp_ieee_overflow 0
		.amdhsa_exception_fp_ieee_underflow 0
		.amdhsa_exception_fp_ieee_inexact 0
		.amdhsa_exception_int_div_zero 0
	.end_amdhsa_kernel
	.section	.text._Z16sort_keys_kernelIiLj128ELj4EN10test_utils4lessELj10EEvPKT_PS2_T2_,"axG",@progbits,_Z16sort_keys_kernelIiLj128ELj4EN10test_utils4lessELj10EEvPKT_PS2_T2_,comdat
.Lfunc_end16:
	.size	_Z16sort_keys_kernelIiLj128ELj4EN10test_utils4lessELj10EEvPKT_PS2_T2_, .Lfunc_end16-_Z16sort_keys_kernelIiLj128ELj4EN10test_utils4lessELj10EEvPKT_PS2_T2_
                                        ; -- End function
	.set _Z16sort_keys_kernelIiLj128ELj4EN10test_utils4lessELj10EEvPKT_PS2_T2_.num_vgpr, 66
	.set _Z16sort_keys_kernelIiLj128ELj4EN10test_utils4lessELj10EEvPKT_PS2_T2_.num_agpr, 0
	.set _Z16sort_keys_kernelIiLj128ELj4EN10test_utils4lessELj10EEvPKT_PS2_T2_.numbered_sgpr, 20
	.set _Z16sort_keys_kernelIiLj128ELj4EN10test_utils4lessELj10EEvPKT_PS2_T2_.num_named_barrier, 0
	.set _Z16sort_keys_kernelIiLj128ELj4EN10test_utils4lessELj10EEvPKT_PS2_T2_.private_seg_size, 0
	.set _Z16sort_keys_kernelIiLj128ELj4EN10test_utils4lessELj10EEvPKT_PS2_T2_.uses_vcc, 1
	.set _Z16sort_keys_kernelIiLj128ELj4EN10test_utils4lessELj10EEvPKT_PS2_T2_.uses_flat_scratch, 0
	.set _Z16sort_keys_kernelIiLj128ELj4EN10test_utils4lessELj10EEvPKT_PS2_T2_.has_dyn_sized_stack, 0
	.set _Z16sort_keys_kernelIiLj128ELj4EN10test_utils4lessELj10EEvPKT_PS2_T2_.has_recursion, 0
	.set _Z16sort_keys_kernelIiLj128ELj4EN10test_utils4lessELj10EEvPKT_PS2_T2_.has_indirect_call, 0
	.section	.AMDGPU.csdata,"",@progbits
; Kernel info:
; codeLenInByte = 6492
; TotalNumSgprs: 22
; NumVgprs: 66
; ScratchSize: 0
; MemoryBound: 0
; FloatMode: 240
; IeeeMode: 1
; LDSByteSize: 2052 bytes/workgroup (compile time only)
; SGPRBlocks: 0
; VGPRBlocks: 8
; NumSGPRsForWavesPerEU: 22
; NumVGPRsForWavesPerEU: 66
; Occupancy: 16
; WaveLimiterHint : 1
; COMPUTE_PGM_RSRC2:SCRATCH_EN: 0
; COMPUTE_PGM_RSRC2:USER_SGPR: 2
; COMPUTE_PGM_RSRC2:TRAP_HANDLER: 0
; COMPUTE_PGM_RSRC2:TGID_X_EN: 1
; COMPUTE_PGM_RSRC2:TGID_Y_EN: 0
; COMPUTE_PGM_RSRC2:TGID_Z_EN: 0
; COMPUTE_PGM_RSRC2:TIDIG_COMP_CNT: 0
	.section	.text._Z17sort_pairs_kernelIiLj128ELj4EN10test_utils4lessELj10EEvPKT_PS2_T2_,"axG",@progbits,_Z17sort_pairs_kernelIiLj128ELj4EN10test_utils4lessELj10EEvPKT_PS2_T2_,comdat
	.protected	_Z17sort_pairs_kernelIiLj128ELj4EN10test_utils4lessELj10EEvPKT_PS2_T2_ ; -- Begin function _Z17sort_pairs_kernelIiLj128ELj4EN10test_utils4lessELj10EEvPKT_PS2_T2_
	.globl	_Z17sort_pairs_kernelIiLj128ELj4EN10test_utils4lessELj10EEvPKT_PS2_T2_
	.p2align	8
	.type	_Z17sort_pairs_kernelIiLj128ELj4EN10test_utils4lessELj10EEvPKT_PS2_T2_,@function
_Z17sort_pairs_kernelIiLj128ELj4EN10test_utils4lessELj10EEvPKT_PS2_T2_: ; @_Z17sort_pairs_kernelIiLj128ELj4EN10test_utils4lessELj10EEvPKT_PS2_T2_
; %bb.0:
	s_load_b128 s[16:19], s[0:1], 0x0
	s_lshl_b32 s22, ttmp9, 9
	s_mov_b32 s23, 0
	v_lshlrev_b32_e32 v10, 2, v0
	s_lshl_b64 s[20:21], s[22:23], 2
	v_lshlrev_b32_e32 v1, 4, v0
	s_delay_alu instid0(VALU_DEP_2)
	v_and_b32_e32 v2, 0x1f8, v10
	v_and_b32_e32 v3, 0x1f0, v10
	;; [unrolled: 1-line block ×5, first 2 shown]
	v_or_b32_e32 v11, 4, v2
	v_add_nc_u32_e32 v12, 8, v2
	v_or_b32_e32 v14, 8, v3
	v_add_nc_u32_e32 v15, 16, v3
	v_and_b32_e32 v5, 0x1c0, v10
	v_or_b32_e32 v17, 16, v4
	v_sub_nc_u32_e32 v53, v12, v11
	s_wait_kmcnt 0x0
	s_add_nc_u64 s[0:1], s[16:17], s[20:21]
	v_add_nc_u32_e32 v18, 32, v4
	s_clause 0x3
	global_load_b32 v60, v10, s[0:1]
	global_load_b32 v61, v10, s[0:1] offset:512
	global_load_b32 v59, v10, s[0:1] offset:1024
	global_load_b32 v58, v10, s[0:1] offset:1536
	v_sub_nc_u32_e32 v41, v11, v2
	v_sub_nc_u32_e32 v54, v15, v14
	;; [unrolled: 1-line block ×3, first 2 shown]
	v_cmp_ge_i32_e64 s0, v47, v53
	v_and_b32_e32 v49, 28, v10
	v_and_b32_e32 v6, 0x180, v10
	v_or_b32_e32 v20, 32, v5
	v_add_nc_u32_e32 v21, 64, v5
	v_lshlrev_b32_e32 v35, 2, v47
	v_add_nc_u32_e32 v29, v11, v47
	v_sub_nc_u32_e32 v42, v14, v3
	v_sub_nc_u32_e32 v55, v18, v17
	v_min_i32_e32 v41, v47, v41
	v_sub_nc_u32_e32 v64, v48, v54
	v_cndmask_b32_e64 v47, 0, v63, s0
	v_cmp_ge_i32_e64 s0, v48, v54
	v_and_b32_e32 v50, 60, v10
	v_and_b32_e32 v7, 0x100, v10
	v_or_b32_e32 v23, 64, v6
	v_add_nc_u32_e32 v24, 0x80, v6
	v_lshlrev_b32_e32 v36, 2, v48
	v_add_nc_u32_e32 v30, v14, v48
	v_sub_nc_u32_e32 v43, v17, v4
	v_sub_nc_u32_e32 v56, v21, v20
	v_min_i32_e32 v42, v48, v42
	v_sub_nc_u32_e32 v65, v49, v55
	s_wait_alu 0xf1ff
	v_cndmask_b32_e64 v48, 0, v64, s0
	v_cmp_ge_i32_e64 s0, v49, v55
	v_and_b32_e32 v51, 0x7c, v10
	v_or_b32_e32 v26, 0x80, v7
	v_add_nc_u32_e32 v27, 0x100, v7
	v_lshlrev_b32_e32 v37, 2, v49
	v_add_nc_u32_e32 v31, v17, v49
	v_sub_nc_u32_e32 v44, v20, v5
	v_sub_nc_u32_e32 v57, v24, v23
	v_min_i32_e32 v43, v49, v43
	v_sub_nc_u32_e32 v66, v50, v56
	s_wait_alu 0xf1ff
	v_cndmask_b32_e64 v49, 0, v65, s0
	v_cmp_ge_i32_e64 s0, v50, v56
	v_and_b32_e32 v52, 0xfc, v10
	v_lshlrev_b32_e32 v38, 2, v50
	v_add_nc_u32_e32 v32, v20, v50
	v_sub_nc_u32_e32 v45, v23, v6
	v_sub_nc_u32_e32 v62, v27, v26
	v_min_i32_e32 v44, v50, v44
	v_sub_nc_u32_e32 v67, v51, v57
	s_wait_alu 0xf1ff
	v_cndmask_b32_e64 v50, 0, v66, s0
	v_cmp_ge_i32_e64 s0, v51, v57
	v_lshlrev_b32_e32 v39, 2, v51
	v_add_nc_u32_e32 v33, v23, v51
	v_sub_nc_u32_e32 v46, v26, v7
	v_min_i32_e32 v45, v51, v45
	v_sub_nc_u32_e32 v68, v52, v62
	s_wait_alu 0xf1ff
	v_cndmask_b32_e64 v51, 0, v67, s0
	v_cmp_ge_i32_e64 s0, v52, v62
	v_lshlrev_b32_e32 v40, 2, v52
	v_add_nc_u32_e32 v34, v26, v52
	v_min_i32_e32 v46, v52, v46
	v_subrev_nc_u32_e64 v8, 0x100, v10 clamp
	s_wait_alu 0xf1ff
	v_cndmask_b32_e64 v52, 0, v68, s0
	v_min_i32_e32 v9, 0x100, v10
	v_add_nc_u32_e32 v10, 0x100, v10
	v_lshlrev_b32_e32 v13, 2, v2
	v_lshlrev_b32_e32 v16, 2, v3
	;; [unrolled: 1-line block ×6, first 2 shown]
	v_lshl_add_u32 v35, v11, 2, v35
	v_lshl_add_u32 v36, v14, 2, v36
	;; [unrolled: 1-line block ×6, first 2 shown]
	v_cmp_lt_i32_e64 s0, v47, v41
	v_cmp_lt_i32_e64 s1, v48, v42
	v_cmp_lt_i32_e64 s2, v49, v43
	v_cmp_lt_i32_e64 s3, v50, v44
	v_cmp_lt_i32_e64 s4, v51, v45
	v_cmp_lt_i32_e64 s5, v52, v46
	v_add_nc_u32_e32 v53, 0x400, v1
	v_cmp_lt_i32_e32 vcc_lo, v8, v9
	s_wait_loadcnt 0x3
	v_add_nc_u32_e32 v56, 1, v60
	s_wait_loadcnt 0x2
	v_add_nc_u32_e32 v57, 1, v61
	;; [unrolled: 2-line block ×4, first 2 shown]
	s_branch .LBB17_2
.LBB17_1:                               ;   in Loop: Header=BB17_2 Depth=1
	s_or_b32 exec_lo, exec_lo, s9
	v_cmp_le_i32_e64 s9, 0x100, v70
	s_wait_dscnt 0x0
	v_cmp_lt_i32_e64 s10, v73, v71
	v_cmp_gt_i32_e64 s11, 0x200, v68
	v_cndmask_b32_e64 v62, v58, v62, s6
	v_cndmask_b32_e64 v66, v66, v67, s7
	s_wait_loadcnt 0x0
	s_or_b32 s9, s9, s10
	s_barrier_signal -1
	s_wait_alu 0xfffe
	s_and_b32 s9, s11, s9
	s_barrier_wait -1
	s_wait_alu 0xfffe
	v_cndmask_b32_e64 v67, v70, v68, s9
	global_inv scope:SCOPE_SE
	ds_store_2addr_b32 v1, v54, v55 offset1:1
	ds_store_2addr_b32 v1, v56, v57 offset0:2 offset1:3
	v_lshlrev_b32_e32 v54, 2, v62
	v_lshlrev_b32_e32 v55, 2, v66
	;; [unrolled: 1-line block ×4, first 2 shown]
	s_wait_loadcnt_dscnt 0x0
	s_barrier_signal -1
	s_barrier_wait -1
	global_inv scope:SCOPE_SE
	ds_load_b32 v56, v54
	ds_load_b32 v57, v55
	ds_load_b32 v54, v62
	ds_load_b32 v55, v66
	v_cndmask_b32_e64 v58, v71, v73, s9
	v_cndmask_b32_e64 v60, v59, v60, s6
	;; [unrolled: 1-line block ×4, first 2 shown]
	s_add_co_i32 s23, s23, 1
	s_delay_alu instid0(SALU_CYCLE_1)
	s_cmp_eq_u32 s23, 10
	s_cbranch_scc1 .LBB17_114
.LBB17_2:                               ; =>This Loop Header: Depth=1
                                        ;     Child Loop BB17_4 Depth 2
                                        ;     Child Loop BB17_20 Depth 2
	;; [unrolled: 1-line block ×7, first 2 shown]
	v_cmp_lt_i32_e64 s7, v61, v60
	v_cmp_lt_i32_e64 s9, v58, v59
	v_min_i32_e32 v63, v58, v59
	s_barrier_signal -1
	s_wait_alu 0xf1ff
	v_cndmask_b32_e64 v62, v60, v61, s7
	v_cndmask_b32_e64 v60, v61, v60, s7
	;; [unrolled: 1-line block ×4, first 2 shown]
	s_barrier_wait -1
	global_inv scope:SCOPE_SE
	v_cmp_lt_i32_e64 s11, v63, v60
	v_min_i32_e32 v59, v63, v60
	s_wait_alu 0xf1ff
	s_delay_alu instid0(VALU_DEP_2) | instskip(SKIP_1) | instid1(VALU_DEP_3)
	v_cndmask_b32_e64 v58, v58, v60, s11
	v_cndmask_b32_e64 v60, v60, v63, s11
	v_cmp_lt_i32_e64 s6, v59, v62
	s_delay_alu instid0(VALU_DEP_3) | instskip(SKIP_2) | instid1(VALU_DEP_3)
	v_cmp_lt_i32_e64 s8, v61, v58
	v_min_i32_e32 v63, v61, v58
	s_wait_alu 0xf1ff
	v_cndmask_b32_e64 v60, v60, v62, s6
	v_cndmask_b32_e64 v59, v62, v59, s6
	v_cndmask_b32_e64 v62, v61, v58, s8
	v_cndmask_b32_e64 v58, v58, v61, s8
	s_delay_alu instid0(VALU_DEP_4) | instskip(SKIP_1) | instid1(VALU_DEP_1)
	v_cmp_lt_i32_e64 s10, v63, v60
	s_wait_alu 0xf1ff
	v_cndmask_b32_e64 v58, v58, v60, s10
	v_cndmask_b32_e64 v61, v60, v63, s10
	v_mov_b32_e32 v60, v47
	ds_store_2addr_b32 v1, v59, v61 offset1:1
	ds_store_2addr_b32 v1, v58, v62 offset0:2 offset1:3
	s_wait_loadcnt_dscnt 0x0
	s_barrier_signal -1
	s_barrier_wait -1
	global_inv scope:SCOPE_SE
	s_and_saveexec_b32 s13, s0
	s_cbranch_execz .LBB17_6
; %bb.3:                                ;   in Loop: Header=BB17_2 Depth=1
	v_mov_b32_e32 v60, v47
	v_mov_b32_e32 v58, v41
	s_mov_b32 s14, 0
.LBB17_4:                               ;   Parent Loop BB17_2 Depth=1
                                        ; =>  This Inner Loop Header: Depth=2
	s_delay_alu instid0(VALU_DEP_1) | instskip(NEXT) | instid1(VALU_DEP_1)
	v_sub_nc_u32_e32 v59, v58, v60
	v_lshrrev_b32_e32 v59, 1, v59
	s_delay_alu instid0(VALU_DEP_1) | instskip(NEXT) | instid1(VALU_DEP_1)
	v_add_nc_u32_e32 v59, v59, v60
	v_not_b32_e32 v61, v59
	v_lshl_add_u32 v62, v59, 2, v13
	v_add_nc_u32_e32 v63, 1, v59
	s_delay_alu instid0(VALU_DEP_3)
	v_lshl_add_u32 v61, v61, 2, v35
	ds_load_b32 v62, v62
	ds_load_b32 v61, v61
	s_wait_dscnt 0x0
	v_cmp_lt_i32_e64 s12, v61, v62
	s_wait_alu 0xf1ff
	s_delay_alu instid0(VALU_DEP_1) | instskip(SKIP_1) | instid1(VALU_DEP_1)
	v_cndmask_b32_e64 v58, v58, v59, s12
	v_cndmask_b32_e64 v60, v63, v60, s12
	v_cmp_ge_i32_e64 s12, v60, v58
	s_wait_alu 0xfffe
	s_or_b32 s14, s12, s14
	s_wait_alu 0xfffe
	s_and_not1_b32 exec_lo, exec_lo, s14
	s_cbranch_execnz .LBB17_4
; %bb.5:                                ;   in Loop: Header=BB17_2 Depth=1
	s_or_b32 exec_lo, exec_lo, s14
.LBB17_6:                               ;   in Loop: Header=BB17_2 Depth=1
	s_wait_alu 0xfffe
	s_or_b32 exec_lo, exec_lo, s13
	v_sub_nc_u32_e32 v62, v29, v60
	v_lshl_add_u32 v61, v60, 2, v13
	v_add_nc_u32_e32 v63, v60, v2
                                        ; implicit-def: $vgpr60
	s_delay_alu instid0(VALU_DEP_3) | instskip(SKIP_1) | instid1(VALU_DEP_3)
	v_lshlrev_b32_e32 v64, 2, v62
	v_cmp_gt_i32_e64 s14, v12, v62
	v_cmp_le_i32_e64 s12, v11, v63
	ds_load_b32 v58, v61
	ds_load_b32 v59, v64
	s_wait_dscnt 0x0
	v_cmp_lt_i32_e64 s13, v59, v58
	s_or_b32 s12, s12, s13
	s_wait_alu 0xfffe
	s_and_b32 s12, s14, s12
	s_wait_alu 0xfffe
	s_xor_b32 s13, s12, -1
	s_wait_alu 0xfffe
	s_and_saveexec_b32 s14, s13
	s_wait_alu 0xfffe
	s_xor_b32 s13, exec_lo, s14
; %bb.7:                                ;   in Loop: Header=BB17_2 Depth=1
	ds_load_b32 v60, v61 offset:4
                                        ; implicit-def: $vgpr64
; %bb.8:                                ;   in Loop: Header=BB17_2 Depth=1
	s_wait_alu 0xfffe
	s_or_saveexec_b32 s13, s13
	v_mov_b32_e32 v61, v59
	s_wait_alu 0xfffe
	s_xor_b32 exec_lo, exec_lo, s13
	s_cbranch_execz .LBB17_10
; %bb.9:                                ;   in Loop: Header=BB17_2 Depth=1
	ds_load_b32 v61, v64 offset:4
	s_wait_dscnt 0x1
	v_mov_b32_e32 v60, v58
.LBB17_10:                              ;   in Loop: Header=BB17_2 Depth=1
	s_or_b32 exec_lo, exec_lo, s13
	v_add_nc_u32_e32 v64, 1, v63
	v_add_nc_u32_e32 v65, 1, v62
	s_wait_dscnt 0x0
	v_cmp_lt_i32_e64 s14, v61, v60
	s_delay_alu instid0(VALU_DEP_3) | instskip(NEXT) | instid1(VALU_DEP_3)
	v_cndmask_b32_e64 v66, v64, v63, s12
	v_cndmask_b32_e64 v67, v62, v65, s12
                                        ; implicit-def: $vgpr64
	s_delay_alu instid0(VALU_DEP_2) | instskip(NEXT) | instid1(VALU_DEP_2)
	v_cmp_ge_i32_e64 s13, v66, v11
	v_cmp_lt_i32_e64 s15, v67, v12
	s_or_b32 s13, s13, s14
	s_wait_alu 0xfffe
	s_and_b32 s13, s15, s13
	s_wait_alu 0xfffe
	s_xor_b32 s14, s13, -1
	s_wait_alu 0xfffe
	s_and_saveexec_b32 s15, s14
	s_wait_alu 0xfffe
	s_xor_b32 s14, exec_lo, s15
; %bb.11:                               ;   in Loop: Header=BB17_2 Depth=1
	v_lshlrev_b32_e32 v64, 2, v66
	ds_load_b32 v64, v64 offset:4
; %bb.12:                               ;   in Loop: Header=BB17_2 Depth=1
	s_wait_alu 0xfffe
	s_or_saveexec_b32 s14, s14
	v_mov_b32_e32 v65, v61
	s_wait_alu 0xfffe
	s_xor_b32 exec_lo, exec_lo, s14
	s_cbranch_execz .LBB17_14
; %bb.13:                               ;   in Loop: Header=BB17_2 Depth=1
	s_wait_dscnt 0x0
	v_lshlrev_b32_e32 v64, 2, v67
	ds_load_b32 v65, v64 offset:4
	v_mov_b32_e32 v64, v60
.LBB17_14:                              ;   in Loop: Header=BB17_2 Depth=1
	s_or_b32 exec_lo, exec_lo, s14
	v_add_nc_u32_e32 v68, 1, v66
	v_add_nc_u32_e32 v70, 1, v67
	s_wait_dscnt 0x0
	v_cmp_lt_i32_e64 s15, v65, v64
	s_delay_alu instid0(VALU_DEP_3) | instskip(NEXT) | instid1(VALU_DEP_3)
	v_cndmask_b32_e64 v69, v68, v66, s13
	v_cndmask_b32_e64 v70, v67, v70, s13
                                        ; implicit-def: $vgpr68
	s_delay_alu instid0(VALU_DEP_2) | instskip(NEXT) | instid1(VALU_DEP_2)
	v_cmp_ge_i32_e64 s14, v69, v11
	v_cmp_lt_i32_e64 s16, v70, v12
	s_or_b32 s14, s14, s15
	s_wait_alu 0xfffe
	s_and_b32 s14, s16, s14
	s_wait_alu 0xfffe
	s_xor_b32 s15, s14, -1
	s_wait_alu 0xfffe
	s_and_saveexec_b32 s16, s15
	s_delay_alu instid0(SALU_CYCLE_1)
	s_xor_b32 s15, exec_lo, s16
; %bb.15:                               ;   in Loop: Header=BB17_2 Depth=1
	v_lshlrev_b32_e32 v68, 2, v69
	ds_load_b32 v68, v68 offset:4
; %bb.16:                               ;   in Loop: Header=BB17_2 Depth=1
	s_wait_alu 0xfffe
	s_or_saveexec_b32 s15, s15
	v_mov_b32_e32 v71, v65
	s_wait_alu 0xfffe
	s_xor_b32 exec_lo, exec_lo, s15
	s_cbranch_execz .LBB17_18
; %bb.17:                               ;   in Loop: Header=BB17_2 Depth=1
	s_wait_dscnt 0x0
	v_lshlrev_b32_e32 v68, 2, v70
	ds_load_b32 v71, v68 offset:4
	v_mov_b32_e32 v68, v64
.LBB17_18:                              ;   in Loop: Header=BB17_2 Depth=1
	s_or_b32 exec_lo, exec_lo, s15
	v_add_nc_u32_e32 v73, 1, v69
	v_cndmask_b32_e64 v74, v57, v56, s7
	v_cndmask_b32_e64 v75, v54, v55, s9
	v_add_nc_u32_e32 v72, 1, v70
	v_cndmask_b32_e64 v56, v56, v57, s7
	v_cndmask_b32_e64 v73, v73, v69, s14
	;; [unrolled: 1-line block ×6, first 2 shown]
	v_cmp_ge_i32_e64 s7, v73, v11
	s_wait_dscnt 0x0
	v_cmp_lt_i32_e64 s9, v71, v68
	v_cndmask_b32_e64 v66, v66, v67, s13
	v_cndmask_b32_e64 v62, v63, v62, s12
	;; [unrolled: 1-line block ×5, first 2 shown]
	v_cmp_lt_i32_e64 s6, v72, v12
	s_or_b32 s7, s7, s9
	v_cndmask_b32_e64 v54, v54, v57, s8
	v_cndmask_b32_e64 v57, v63, v67, s10
	;; [unrolled: 1-line block ×3, first 2 shown]
	s_wait_alu 0xfffe
	s_and_b32 s6, s6, s7
	v_cndmask_b32_e64 v69, v69, v70, s14
	s_wait_alu 0xfffe
	v_cndmask_b32_e64 v67, v73, v72, s6
	s_wait_loadcnt 0x0
	s_barrier_signal -1
	s_barrier_wait -1
	global_inv scope:SCOPE_SE
	ds_store_2addr_b32 v1, v55, v57 offset1:1
	ds_store_2addr_b32 v1, v56, v54 offset0:2 offset1:3
	v_lshlrev_b32_e32 v54, 2, v62
	v_lshlrev_b32_e32 v55, 2, v66
	;; [unrolled: 1-line block ×4, first 2 shown]
	s_wait_loadcnt_dscnt 0x0
	s_barrier_signal -1
	s_barrier_wait -1
	global_inv scope:SCOPE_SE
	ds_load_b32 v54, v54
	ds_load_b32 v55, v55
	;; [unrolled: 1-line block ×4, first 2 shown]
	v_cndmask_b32_e64 v60, v60, v61, s13
	v_cndmask_b32_e64 v58, v58, v59, s12
	;; [unrolled: 1-line block ×4, first 2 shown]
	s_wait_loadcnt_dscnt 0x0
	s_barrier_signal -1
	s_barrier_wait -1
	global_inv scope:SCOPE_SE
	ds_store_2addr_b32 v1, v58, v60 offset1:1
	ds_store_2addr_b32 v1, v62, v63 offset0:2 offset1:3
	v_mov_b32_e32 v60, v48
	s_wait_loadcnt_dscnt 0x0
	s_barrier_signal -1
	s_barrier_wait -1
	global_inv scope:SCOPE_SE
	s_and_saveexec_b32 s7, s1
	s_cbranch_execz .LBB17_22
; %bb.19:                               ;   in Loop: Header=BB17_2 Depth=1
	v_mov_b32_e32 v60, v48
	v_mov_b32_e32 v58, v42
	s_mov_b32 s8, 0
.LBB17_20:                              ;   Parent Loop BB17_2 Depth=1
                                        ; =>  This Inner Loop Header: Depth=2
	s_delay_alu instid0(VALU_DEP_1) | instskip(NEXT) | instid1(VALU_DEP_1)
	v_sub_nc_u32_e32 v59, v58, v60
	v_lshrrev_b32_e32 v59, 1, v59
	s_delay_alu instid0(VALU_DEP_1) | instskip(NEXT) | instid1(VALU_DEP_1)
	v_add_nc_u32_e32 v59, v59, v60
	v_not_b32_e32 v61, v59
	v_lshl_add_u32 v62, v59, 2, v16
	v_add_nc_u32_e32 v63, 1, v59
	s_delay_alu instid0(VALU_DEP_3)
	v_lshl_add_u32 v61, v61, 2, v36
	ds_load_b32 v62, v62
	ds_load_b32 v61, v61
	s_wait_dscnt 0x0
	v_cmp_lt_i32_e64 s6, v61, v62
	s_wait_alu 0xf1ff
	s_delay_alu instid0(VALU_DEP_1) | instskip(SKIP_1) | instid1(VALU_DEP_1)
	v_cndmask_b32_e64 v58, v58, v59, s6
	v_cndmask_b32_e64 v60, v63, v60, s6
	v_cmp_ge_i32_e64 s6, v60, v58
	s_wait_alu 0xfffe
	s_or_b32 s8, s6, s8
	s_wait_alu 0xfffe
	s_and_not1_b32 exec_lo, exec_lo, s8
	s_cbranch_execnz .LBB17_20
; %bb.21:                               ;   in Loop: Header=BB17_2 Depth=1
	s_or_b32 exec_lo, exec_lo, s8
.LBB17_22:                              ;   in Loop: Header=BB17_2 Depth=1
	s_wait_alu 0xfffe
	s_or_b32 exec_lo, exec_lo, s7
	v_sub_nc_u32_e32 v62, v30, v60
	v_lshl_add_u32 v61, v60, 2, v16
	v_add_nc_u32_e32 v63, v60, v3
                                        ; implicit-def: $vgpr60
	s_delay_alu instid0(VALU_DEP_3) | instskip(SKIP_1) | instid1(VALU_DEP_3)
	v_lshlrev_b32_e32 v64, 2, v62
	v_cmp_gt_i32_e64 s8, v15, v62
	v_cmp_le_i32_e64 s6, v14, v63
	ds_load_b32 v58, v61
	ds_load_b32 v59, v64
	s_wait_dscnt 0x0
	v_cmp_lt_i32_e64 s7, v59, v58
	s_or_b32 s6, s6, s7
	s_wait_alu 0xfffe
	s_and_b32 s6, s8, s6
	s_wait_alu 0xfffe
	s_xor_b32 s7, s6, -1
	s_wait_alu 0xfffe
	s_and_saveexec_b32 s8, s7
	s_wait_alu 0xfffe
	s_xor_b32 s7, exec_lo, s8
; %bb.23:                               ;   in Loop: Header=BB17_2 Depth=1
	ds_load_b32 v60, v61 offset:4
                                        ; implicit-def: $vgpr64
; %bb.24:                               ;   in Loop: Header=BB17_2 Depth=1
	s_wait_alu 0xfffe
	s_or_saveexec_b32 s7, s7
	v_mov_b32_e32 v61, v59
	s_wait_alu 0xfffe
	s_xor_b32 exec_lo, exec_lo, s7
	s_cbranch_execz .LBB17_26
; %bb.25:                               ;   in Loop: Header=BB17_2 Depth=1
	ds_load_b32 v61, v64 offset:4
	s_wait_dscnt 0x1
	v_mov_b32_e32 v60, v58
.LBB17_26:                              ;   in Loop: Header=BB17_2 Depth=1
	s_or_b32 exec_lo, exec_lo, s7
	v_add_nc_u32_e32 v64, 1, v63
	v_add_nc_u32_e32 v65, 1, v62
	s_wait_dscnt 0x0
	v_cmp_lt_i32_e64 s8, v61, v60
	s_delay_alu instid0(VALU_DEP_3) | instskip(NEXT) | instid1(VALU_DEP_3)
	v_cndmask_b32_e64 v66, v64, v63, s6
	v_cndmask_b32_e64 v67, v62, v65, s6
                                        ; implicit-def: $vgpr64
	s_delay_alu instid0(VALU_DEP_2) | instskip(NEXT) | instid1(VALU_DEP_2)
	v_cmp_ge_i32_e64 s7, v66, v14
	v_cmp_lt_i32_e64 s9, v67, v15
	s_or_b32 s7, s7, s8
	s_wait_alu 0xfffe
	s_and_b32 s7, s9, s7
	s_wait_alu 0xfffe
	s_xor_b32 s8, s7, -1
	s_wait_alu 0xfffe
	s_and_saveexec_b32 s9, s8
	s_wait_alu 0xfffe
	s_xor_b32 s8, exec_lo, s9
; %bb.27:                               ;   in Loop: Header=BB17_2 Depth=1
	v_lshlrev_b32_e32 v64, 2, v66
	ds_load_b32 v64, v64 offset:4
; %bb.28:                               ;   in Loop: Header=BB17_2 Depth=1
	s_wait_alu 0xfffe
	s_or_saveexec_b32 s8, s8
	v_mov_b32_e32 v65, v61
	s_wait_alu 0xfffe
	s_xor_b32 exec_lo, exec_lo, s8
	s_cbranch_execz .LBB17_30
; %bb.29:                               ;   in Loop: Header=BB17_2 Depth=1
	s_wait_dscnt 0x0
	v_lshlrev_b32_e32 v64, 2, v67
	ds_load_b32 v65, v64 offset:4
	v_mov_b32_e32 v64, v60
.LBB17_30:                              ;   in Loop: Header=BB17_2 Depth=1
	s_or_b32 exec_lo, exec_lo, s8
	v_add_nc_u32_e32 v68, 1, v66
	v_add_nc_u32_e32 v69, 1, v67
	s_wait_dscnt 0x0
	v_cmp_lt_i32_e64 s9, v65, v64
	s_delay_alu instid0(VALU_DEP_3) | instskip(NEXT) | instid1(VALU_DEP_3)
	v_cndmask_b32_e64 v70, v68, v66, s7
	v_cndmask_b32_e64 v69, v67, v69, s7
                                        ; implicit-def: $vgpr68
	s_delay_alu instid0(VALU_DEP_2) | instskip(NEXT) | instid1(VALU_DEP_2)
	v_cmp_ge_i32_e64 s8, v70, v14
	v_cmp_lt_i32_e64 s10, v69, v15
	s_or_b32 s8, s8, s9
	s_wait_alu 0xfffe
	s_and_b32 s8, s10, s8
	s_wait_alu 0xfffe
	s_xor_b32 s9, s8, -1
	s_wait_alu 0xfffe
	s_and_saveexec_b32 s10, s9
	s_wait_alu 0xfffe
	s_xor_b32 s9, exec_lo, s10
; %bb.31:                               ;   in Loop: Header=BB17_2 Depth=1
	v_lshlrev_b32_e32 v68, 2, v70
	ds_load_b32 v68, v68 offset:4
; %bb.32:                               ;   in Loop: Header=BB17_2 Depth=1
	s_wait_alu 0xfffe
	s_or_saveexec_b32 s9, s9
	v_mov_b32_e32 v71, v65
	s_wait_alu 0xfffe
	s_xor_b32 exec_lo, exec_lo, s9
	s_cbranch_execz .LBB17_34
; %bb.33:                               ;   in Loop: Header=BB17_2 Depth=1
	s_wait_dscnt 0x0
	v_lshlrev_b32_e32 v68, 2, v69
	ds_load_b32 v71, v68 offset:4
	v_mov_b32_e32 v68, v64
.LBB17_34:                              ;   in Loop: Header=BB17_2 Depth=1
	s_or_b32 exec_lo, exec_lo, s9
	v_add_nc_u32_e32 v72, 1, v70
	v_add_nc_u32_e32 v73, 1, v69
	v_cndmask_b32_e64 v66, v66, v67, s7
	v_cndmask_b32_e64 v62, v63, v62, s6
	s_wait_dscnt 0x0
	v_cmp_lt_i32_e64 s9, v71, v68
	v_cndmask_b32_e64 v67, v72, v70, s8
	v_cndmask_b32_e64 v63, v69, v73, s8
	;; [unrolled: 1-line block ×3, first 2 shown]
	s_wait_loadcnt 0x0
	s_barrier_signal -1
	v_cmp_ge_i32_e64 s10, v67, v14
	v_cmp_lt_i32_e64 s11, v63, v15
	s_barrier_wait -1
	global_inv scope:SCOPE_SE
	ds_store_2addr_b32 v1, v54, v55 offset1:1
	ds_store_2addr_b32 v1, v56, v57 offset0:2 offset1:3
	s_or_b32 s9, s10, s9
	v_lshlrev_b32_e32 v55, 2, v62
	s_wait_alu 0xfffe
	s_and_b32 s9, s11, s9
	v_lshlrev_b32_e32 v56, 2, v66
	s_wait_alu 0xfffe
	v_cndmask_b32_e64 v54, v67, v63, s9
	v_lshlrev_b32_e32 v57, 2, v74
	s_wait_loadcnt_dscnt 0x0
	s_barrier_signal -1
	s_barrier_wait -1
	v_lshlrev_b32_e32 v62, 2, v54
	global_inv scope:SCOPE_SE
	ds_load_b32 v54, v55
	ds_load_b32 v55, v56
	;; [unrolled: 1-line block ×4, first 2 shown]
	v_cndmask_b32_e64 v60, v60, v61, s7
	v_cndmask_b32_e64 v58, v58, v59, s6
	;; [unrolled: 1-line block ×4, first 2 shown]
	s_wait_loadcnt_dscnt 0x0
	s_barrier_signal -1
	s_barrier_wait -1
	global_inv scope:SCOPE_SE
	ds_store_2addr_b32 v1, v58, v60 offset1:1
	ds_store_2addr_b32 v1, v62, v68 offset0:2 offset1:3
	v_mov_b32_e32 v60, v49
	s_wait_loadcnt_dscnt 0x0
	s_barrier_signal -1
	s_barrier_wait -1
	global_inv scope:SCOPE_SE
	s_and_saveexec_b32 s7, s2
	s_cbranch_execz .LBB17_38
; %bb.35:                               ;   in Loop: Header=BB17_2 Depth=1
	v_mov_b32_e32 v60, v49
	v_mov_b32_e32 v58, v43
	s_mov_b32 s8, 0
.LBB17_36:                              ;   Parent Loop BB17_2 Depth=1
                                        ; =>  This Inner Loop Header: Depth=2
	s_delay_alu instid0(VALU_DEP_1) | instskip(NEXT) | instid1(VALU_DEP_1)
	v_sub_nc_u32_e32 v59, v58, v60
	v_lshrrev_b32_e32 v59, 1, v59
	s_delay_alu instid0(VALU_DEP_1) | instskip(NEXT) | instid1(VALU_DEP_1)
	v_add_nc_u32_e32 v59, v59, v60
	v_not_b32_e32 v61, v59
	v_lshl_add_u32 v62, v59, 2, v19
	v_add_nc_u32_e32 v63, 1, v59
	s_delay_alu instid0(VALU_DEP_3)
	v_lshl_add_u32 v61, v61, 2, v37
	ds_load_b32 v62, v62
	ds_load_b32 v61, v61
	s_wait_dscnt 0x0
	v_cmp_lt_i32_e64 s6, v61, v62
	s_wait_alu 0xf1ff
	s_delay_alu instid0(VALU_DEP_1) | instskip(SKIP_1) | instid1(VALU_DEP_1)
	v_cndmask_b32_e64 v58, v58, v59, s6
	v_cndmask_b32_e64 v60, v63, v60, s6
	v_cmp_ge_i32_e64 s6, v60, v58
	s_wait_alu 0xfffe
	s_or_b32 s8, s6, s8
	s_wait_alu 0xfffe
	s_and_not1_b32 exec_lo, exec_lo, s8
	s_cbranch_execnz .LBB17_36
; %bb.37:                               ;   in Loop: Header=BB17_2 Depth=1
	s_or_b32 exec_lo, exec_lo, s8
.LBB17_38:                              ;   in Loop: Header=BB17_2 Depth=1
	s_wait_alu 0xfffe
	s_or_b32 exec_lo, exec_lo, s7
	v_sub_nc_u32_e32 v62, v31, v60
	v_lshl_add_u32 v61, v60, 2, v19
	v_add_nc_u32_e32 v63, v60, v4
                                        ; implicit-def: $vgpr60
	s_delay_alu instid0(VALU_DEP_3) | instskip(SKIP_1) | instid1(VALU_DEP_3)
	v_lshlrev_b32_e32 v64, 2, v62
	v_cmp_gt_i32_e64 s8, v18, v62
	v_cmp_le_i32_e64 s6, v17, v63
	ds_load_b32 v58, v61
	ds_load_b32 v59, v64
	s_wait_dscnt 0x0
	v_cmp_lt_i32_e64 s7, v59, v58
	s_or_b32 s6, s6, s7
	s_wait_alu 0xfffe
	s_and_b32 s6, s8, s6
	s_wait_alu 0xfffe
	s_xor_b32 s7, s6, -1
	s_wait_alu 0xfffe
	s_and_saveexec_b32 s8, s7
	s_wait_alu 0xfffe
	s_xor_b32 s7, exec_lo, s8
; %bb.39:                               ;   in Loop: Header=BB17_2 Depth=1
	ds_load_b32 v60, v61 offset:4
                                        ; implicit-def: $vgpr64
; %bb.40:                               ;   in Loop: Header=BB17_2 Depth=1
	s_wait_alu 0xfffe
	s_or_saveexec_b32 s7, s7
	v_mov_b32_e32 v61, v59
	s_wait_alu 0xfffe
	s_xor_b32 exec_lo, exec_lo, s7
	s_cbranch_execz .LBB17_42
; %bb.41:                               ;   in Loop: Header=BB17_2 Depth=1
	ds_load_b32 v61, v64 offset:4
	s_wait_dscnt 0x1
	v_mov_b32_e32 v60, v58
.LBB17_42:                              ;   in Loop: Header=BB17_2 Depth=1
	s_or_b32 exec_lo, exec_lo, s7
	v_add_nc_u32_e32 v64, 1, v63
	v_add_nc_u32_e32 v65, 1, v62
	s_wait_dscnt 0x0
	v_cmp_lt_i32_e64 s8, v61, v60
	s_delay_alu instid0(VALU_DEP_3) | instskip(NEXT) | instid1(VALU_DEP_3)
	v_cndmask_b32_e64 v66, v64, v63, s6
	v_cndmask_b32_e64 v67, v62, v65, s6
                                        ; implicit-def: $vgpr64
	s_delay_alu instid0(VALU_DEP_2) | instskip(NEXT) | instid1(VALU_DEP_2)
	v_cmp_ge_i32_e64 s7, v66, v17
	v_cmp_lt_i32_e64 s9, v67, v18
	s_or_b32 s7, s7, s8
	s_wait_alu 0xfffe
	s_and_b32 s7, s9, s7
	s_wait_alu 0xfffe
	s_xor_b32 s8, s7, -1
	s_wait_alu 0xfffe
	s_and_saveexec_b32 s9, s8
	s_wait_alu 0xfffe
	s_xor_b32 s8, exec_lo, s9
; %bb.43:                               ;   in Loop: Header=BB17_2 Depth=1
	v_lshlrev_b32_e32 v64, 2, v66
	ds_load_b32 v64, v64 offset:4
; %bb.44:                               ;   in Loop: Header=BB17_2 Depth=1
	s_wait_alu 0xfffe
	s_or_saveexec_b32 s8, s8
	v_mov_b32_e32 v65, v61
	s_wait_alu 0xfffe
	s_xor_b32 exec_lo, exec_lo, s8
	s_cbranch_execz .LBB17_46
; %bb.45:                               ;   in Loop: Header=BB17_2 Depth=1
	s_wait_dscnt 0x0
	v_lshlrev_b32_e32 v64, 2, v67
	ds_load_b32 v65, v64 offset:4
	v_mov_b32_e32 v64, v60
.LBB17_46:                              ;   in Loop: Header=BB17_2 Depth=1
	s_or_b32 exec_lo, exec_lo, s8
	v_add_nc_u32_e32 v68, 1, v66
	v_add_nc_u32_e32 v69, 1, v67
	s_wait_dscnt 0x0
	v_cmp_lt_i32_e64 s9, v65, v64
	s_delay_alu instid0(VALU_DEP_3) | instskip(NEXT) | instid1(VALU_DEP_3)
	v_cndmask_b32_e64 v70, v68, v66, s7
	v_cndmask_b32_e64 v69, v67, v69, s7
                                        ; implicit-def: $vgpr68
	s_delay_alu instid0(VALU_DEP_2) | instskip(NEXT) | instid1(VALU_DEP_2)
	v_cmp_ge_i32_e64 s8, v70, v17
	v_cmp_lt_i32_e64 s10, v69, v18
	s_or_b32 s8, s8, s9
	s_wait_alu 0xfffe
	s_and_b32 s8, s10, s8
	s_wait_alu 0xfffe
	s_xor_b32 s9, s8, -1
	s_wait_alu 0xfffe
	s_and_saveexec_b32 s10, s9
	s_wait_alu 0xfffe
	s_xor_b32 s9, exec_lo, s10
; %bb.47:                               ;   in Loop: Header=BB17_2 Depth=1
	v_lshlrev_b32_e32 v68, 2, v70
	ds_load_b32 v68, v68 offset:4
; %bb.48:                               ;   in Loop: Header=BB17_2 Depth=1
	s_wait_alu 0xfffe
	s_or_saveexec_b32 s9, s9
	v_mov_b32_e32 v71, v65
	s_wait_alu 0xfffe
	s_xor_b32 exec_lo, exec_lo, s9
	s_cbranch_execz .LBB17_50
; %bb.49:                               ;   in Loop: Header=BB17_2 Depth=1
	s_wait_dscnt 0x0
	v_lshlrev_b32_e32 v68, 2, v69
	ds_load_b32 v71, v68 offset:4
	v_mov_b32_e32 v68, v64
.LBB17_50:                              ;   in Loop: Header=BB17_2 Depth=1
	s_or_b32 exec_lo, exec_lo, s9
	v_add_nc_u32_e32 v72, 1, v70
	v_add_nc_u32_e32 v73, 1, v69
	v_cndmask_b32_e64 v66, v66, v67, s7
	v_cndmask_b32_e64 v62, v63, v62, s6
	s_wait_dscnt 0x0
	v_cmp_lt_i32_e64 s9, v71, v68
	v_cndmask_b32_e64 v67, v72, v70, s8
	v_cndmask_b32_e64 v63, v69, v73, s8
	;; [unrolled: 1-line block ×3, first 2 shown]
	s_wait_loadcnt 0x0
	s_barrier_signal -1
	v_cmp_ge_i32_e64 s10, v67, v17
	v_cmp_lt_i32_e64 s11, v63, v18
	s_barrier_wait -1
	global_inv scope:SCOPE_SE
	ds_store_2addr_b32 v1, v54, v55 offset1:1
	ds_store_2addr_b32 v1, v56, v57 offset0:2 offset1:3
	s_or_b32 s9, s10, s9
	v_lshlrev_b32_e32 v55, 2, v62
	s_wait_alu 0xfffe
	s_and_b32 s9, s11, s9
	v_lshlrev_b32_e32 v56, 2, v66
	s_wait_alu 0xfffe
	v_cndmask_b32_e64 v54, v67, v63, s9
	v_lshlrev_b32_e32 v57, 2, v74
	s_wait_loadcnt_dscnt 0x0
	s_barrier_signal -1
	s_barrier_wait -1
	v_lshlrev_b32_e32 v62, 2, v54
	global_inv scope:SCOPE_SE
	ds_load_b32 v54, v55
	ds_load_b32 v55, v56
	;; [unrolled: 1-line block ×4, first 2 shown]
	v_cndmask_b32_e64 v60, v60, v61, s7
	v_cndmask_b32_e64 v58, v58, v59, s6
	;; [unrolled: 1-line block ×4, first 2 shown]
	s_wait_loadcnt_dscnt 0x0
	s_barrier_signal -1
	s_barrier_wait -1
	global_inv scope:SCOPE_SE
	ds_store_2addr_b32 v1, v58, v60 offset1:1
	ds_store_2addr_b32 v1, v62, v68 offset0:2 offset1:3
	v_mov_b32_e32 v60, v50
	s_wait_loadcnt_dscnt 0x0
	s_barrier_signal -1
	s_barrier_wait -1
	global_inv scope:SCOPE_SE
	s_and_saveexec_b32 s7, s3
	s_cbranch_execz .LBB17_54
; %bb.51:                               ;   in Loop: Header=BB17_2 Depth=1
	v_mov_b32_e32 v60, v50
	v_mov_b32_e32 v58, v44
	s_mov_b32 s8, 0
.LBB17_52:                              ;   Parent Loop BB17_2 Depth=1
                                        ; =>  This Inner Loop Header: Depth=2
	s_delay_alu instid0(VALU_DEP_1) | instskip(NEXT) | instid1(VALU_DEP_1)
	v_sub_nc_u32_e32 v59, v58, v60
	v_lshrrev_b32_e32 v59, 1, v59
	s_delay_alu instid0(VALU_DEP_1) | instskip(NEXT) | instid1(VALU_DEP_1)
	v_add_nc_u32_e32 v59, v59, v60
	v_not_b32_e32 v61, v59
	v_lshl_add_u32 v62, v59, 2, v22
	v_add_nc_u32_e32 v63, 1, v59
	s_delay_alu instid0(VALU_DEP_3)
	v_lshl_add_u32 v61, v61, 2, v38
	ds_load_b32 v62, v62
	ds_load_b32 v61, v61
	s_wait_dscnt 0x0
	v_cmp_lt_i32_e64 s6, v61, v62
	s_wait_alu 0xf1ff
	s_delay_alu instid0(VALU_DEP_1) | instskip(SKIP_1) | instid1(VALU_DEP_1)
	v_cndmask_b32_e64 v58, v58, v59, s6
	v_cndmask_b32_e64 v60, v63, v60, s6
	v_cmp_ge_i32_e64 s6, v60, v58
	s_wait_alu 0xfffe
	s_or_b32 s8, s6, s8
	s_wait_alu 0xfffe
	s_and_not1_b32 exec_lo, exec_lo, s8
	s_cbranch_execnz .LBB17_52
; %bb.53:                               ;   in Loop: Header=BB17_2 Depth=1
	s_or_b32 exec_lo, exec_lo, s8
.LBB17_54:                              ;   in Loop: Header=BB17_2 Depth=1
	s_wait_alu 0xfffe
	s_or_b32 exec_lo, exec_lo, s7
	v_sub_nc_u32_e32 v62, v32, v60
	v_lshl_add_u32 v61, v60, 2, v22
	v_add_nc_u32_e32 v63, v60, v5
                                        ; implicit-def: $vgpr60
	s_delay_alu instid0(VALU_DEP_3) | instskip(SKIP_1) | instid1(VALU_DEP_3)
	v_lshlrev_b32_e32 v64, 2, v62
	v_cmp_gt_i32_e64 s8, v21, v62
	v_cmp_le_i32_e64 s6, v20, v63
	ds_load_b32 v58, v61
	ds_load_b32 v59, v64
	s_wait_dscnt 0x0
	v_cmp_lt_i32_e64 s7, v59, v58
	s_or_b32 s6, s6, s7
	s_wait_alu 0xfffe
	s_and_b32 s6, s8, s6
	s_wait_alu 0xfffe
	s_xor_b32 s7, s6, -1
	s_wait_alu 0xfffe
	s_and_saveexec_b32 s8, s7
	s_wait_alu 0xfffe
	s_xor_b32 s7, exec_lo, s8
; %bb.55:                               ;   in Loop: Header=BB17_2 Depth=1
	ds_load_b32 v60, v61 offset:4
                                        ; implicit-def: $vgpr64
; %bb.56:                               ;   in Loop: Header=BB17_2 Depth=1
	s_wait_alu 0xfffe
	s_or_saveexec_b32 s7, s7
	v_mov_b32_e32 v61, v59
	s_wait_alu 0xfffe
	s_xor_b32 exec_lo, exec_lo, s7
	s_cbranch_execz .LBB17_58
; %bb.57:                               ;   in Loop: Header=BB17_2 Depth=1
	ds_load_b32 v61, v64 offset:4
	s_wait_dscnt 0x1
	v_mov_b32_e32 v60, v58
.LBB17_58:                              ;   in Loop: Header=BB17_2 Depth=1
	s_or_b32 exec_lo, exec_lo, s7
	v_add_nc_u32_e32 v64, 1, v63
	v_add_nc_u32_e32 v65, 1, v62
	s_wait_dscnt 0x0
	v_cmp_lt_i32_e64 s8, v61, v60
	s_delay_alu instid0(VALU_DEP_3) | instskip(NEXT) | instid1(VALU_DEP_3)
	v_cndmask_b32_e64 v66, v64, v63, s6
	v_cndmask_b32_e64 v67, v62, v65, s6
                                        ; implicit-def: $vgpr64
	s_delay_alu instid0(VALU_DEP_2) | instskip(NEXT) | instid1(VALU_DEP_2)
	v_cmp_ge_i32_e64 s7, v66, v20
	v_cmp_lt_i32_e64 s9, v67, v21
	s_or_b32 s7, s7, s8
	s_wait_alu 0xfffe
	s_and_b32 s7, s9, s7
	s_wait_alu 0xfffe
	s_xor_b32 s8, s7, -1
	s_wait_alu 0xfffe
	s_and_saveexec_b32 s9, s8
	s_wait_alu 0xfffe
	s_xor_b32 s8, exec_lo, s9
; %bb.59:                               ;   in Loop: Header=BB17_2 Depth=1
	v_lshlrev_b32_e32 v64, 2, v66
	ds_load_b32 v64, v64 offset:4
; %bb.60:                               ;   in Loop: Header=BB17_2 Depth=1
	s_wait_alu 0xfffe
	s_or_saveexec_b32 s8, s8
	v_mov_b32_e32 v65, v61
	s_wait_alu 0xfffe
	s_xor_b32 exec_lo, exec_lo, s8
	s_cbranch_execz .LBB17_62
; %bb.61:                               ;   in Loop: Header=BB17_2 Depth=1
	s_wait_dscnt 0x0
	v_lshlrev_b32_e32 v64, 2, v67
	ds_load_b32 v65, v64 offset:4
	v_mov_b32_e32 v64, v60
.LBB17_62:                              ;   in Loop: Header=BB17_2 Depth=1
	s_or_b32 exec_lo, exec_lo, s8
	v_add_nc_u32_e32 v68, 1, v66
	v_add_nc_u32_e32 v69, 1, v67
	s_wait_dscnt 0x0
	v_cmp_lt_i32_e64 s9, v65, v64
	s_delay_alu instid0(VALU_DEP_3) | instskip(NEXT) | instid1(VALU_DEP_3)
	v_cndmask_b32_e64 v70, v68, v66, s7
	v_cndmask_b32_e64 v69, v67, v69, s7
                                        ; implicit-def: $vgpr68
	s_delay_alu instid0(VALU_DEP_2) | instskip(NEXT) | instid1(VALU_DEP_2)
	v_cmp_ge_i32_e64 s8, v70, v20
	v_cmp_lt_i32_e64 s10, v69, v21
	s_or_b32 s8, s8, s9
	s_wait_alu 0xfffe
	s_and_b32 s8, s10, s8
	s_wait_alu 0xfffe
	s_xor_b32 s9, s8, -1
	s_wait_alu 0xfffe
	s_and_saveexec_b32 s10, s9
	s_wait_alu 0xfffe
	s_xor_b32 s9, exec_lo, s10
; %bb.63:                               ;   in Loop: Header=BB17_2 Depth=1
	v_lshlrev_b32_e32 v68, 2, v70
	ds_load_b32 v68, v68 offset:4
; %bb.64:                               ;   in Loop: Header=BB17_2 Depth=1
	s_wait_alu 0xfffe
	s_or_saveexec_b32 s9, s9
	v_mov_b32_e32 v71, v65
	s_wait_alu 0xfffe
	s_xor_b32 exec_lo, exec_lo, s9
	s_cbranch_execz .LBB17_66
; %bb.65:                               ;   in Loop: Header=BB17_2 Depth=1
	s_wait_dscnt 0x0
	v_lshlrev_b32_e32 v68, 2, v69
	ds_load_b32 v71, v68 offset:4
	v_mov_b32_e32 v68, v64
.LBB17_66:                              ;   in Loop: Header=BB17_2 Depth=1
	s_or_b32 exec_lo, exec_lo, s9
	v_add_nc_u32_e32 v72, 1, v70
	v_add_nc_u32_e32 v73, 1, v69
	v_cndmask_b32_e64 v66, v66, v67, s7
	v_cndmask_b32_e64 v62, v63, v62, s6
	s_wait_dscnt 0x0
	v_cmp_lt_i32_e64 s9, v71, v68
	v_cndmask_b32_e64 v67, v72, v70, s8
	v_cndmask_b32_e64 v63, v69, v73, s8
	;; [unrolled: 1-line block ×3, first 2 shown]
	s_wait_loadcnt 0x0
	s_barrier_signal -1
	v_cmp_ge_i32_e64 s10, v67, v20
	v_cmp_lt_i32_e64 s11, v63, v21
	s_barrier_wait -1
	global_inv scope:SCOPE_SE
	ds_store_2addr_b32 v1, v54, v55 offset1:1
	ds_store_2addr_b32 v1, v56, v57 offset0:2 offset1:3
	s_or_b32 s9, s10, s9
	v_lshlrev_b32_e32 v55, 2, v62
	s_wait_alu 0xfffe
	s_and_b32 s9, s11, s9
	v_lshlrev_b32_e32 v56, 2, v66
	s_wait_alu 0xfffe
	v_cndmask_b32_e64 v54, v67, v63, s9
	v_lshlrev_b32_e32 v57, 2, v74
	s_wait_loadcnt_dscnt 0x0
	s_barrier_signal -1
	s_barrier_wait -1
	v_lshlrev_b32_e32 v62, 2, v54
	global_inv scope:SCOPE_SE
	ds_load_b32 v54, v55
	ds_load_b32 v55, v56
	;; [unrolled: 1-line block ×4, first 2 shown]
	v_cndmask_b32_e64 v60, v60, v61, s7
	v_cndmask_b32_e64 v58, v58, v59, s6
	;; [unrolled: 1-line block ×4, first 2 shown]
	s_wait_loadcnt_dscnt 0x0
	s_barrier_signal -1
	s_barrier_wait -1
	global_inv scope:SCOPE_SE
	ds_store_2addr_b32 v1, v58, v60 offset1:1
	ds_store_2addr_b32 v1, v62, v68 offset0:2 offset1:3
	v_mov_b32_e32 v60, v51
	s_wait_loadcnt_dscnt 0x0
	s_barrier_signal -1
	s_barrier_wait -1
	global_inv scope:SCOPE_SE
	s_and_saveexec_b32 s7, s4
	s_cbranch_execz .LBB17_70
; %bb.67:                               ;   in Loop: Header=BB17_2 Depth=1
	v_mov_b32_e32 v60, v51
	v_mov_b32_e32 v58, v45
	s_mov_b32 s8, 0
.LBB17_68:                              ;   Parent Loop BB17_2 Depth=1
                                        ; =>  This Inner Loop Header: Depth=2
	s_delay_alu instid0(VALU_DEP_1) | instskip(NEXT) | instid1(VALU_DEP_1)
	v_sub_nc_u32_e32 v59, v58, v60
	v_lshrrev_b32_e32 v59, 1, v59
	s_delay_alu instid0(VALU_DEP_1) | instskip(NEXT) | instid1(VALU_DEP_1)
	v_add_nc_u32_e32 v59, v59, v60
	v_not_b32_e32 v61, v59
	v_lshl_add_u32 v62, v59, 2, v25
	v_add_nc_u32_e32 v63, 1, v59
	s_delay_alu instid0(VALU_DEP_3)
	v_lshl_add_u32 v61, v61, 2, v39
	ds_load_b32 v62, v62
	ds_load_b32 v61, v61
	s_wait_dscnt 0x0
	v_cmp_lt_i32_e64 s6, v61, v62
	s_wait_alu 0xf1ff
	s_delay_alu instid0(VALU_DEP_1) | instskip(SKIP_1) | instid1(VALU_DEP_1)
	v_cndmask_b32_e64 v58, v58, v59, s6
	v_cndmask_b32_e64 v60, v63, v60, s6
	v_cmp_ge_i32_e64 s6, v60, v58
	s_wait_alu 0xfffe
	s_or_b32 s8, s6, s8
	s_wait_alu 0xfffe
	s_and_not1_b32 exec_lo, exec_lo, s8
	s_cbranch_execnz .LBB17_68
; %bb.69:                               ;   in Loop: Header=BB17_2 Depth=1
	s_or_b32 exec_lo, exec_lo, s8
.LBB17_70:                              ;   in Loop: Header=BB17_2 Depth=1
	s_wait_alu 0xfffe
	s_or_b32 exec_lo, exec_lo, s7
	v_sub_nc_u32_e32 v62, v33, v60
	v_lshl_add_u32 v61, v60, 2, v25
	v_add_nc_u32_e32 v63, v60, v6
                                        ; implicit-def: $vgpr60
	s_delay_alu instid0(VALU_DEP_3) | instskip(SKIP_1) | instid1(VALU_DEP_3)
	v_lshlrev_b32_e32 v64, 2, v62
	v_cmp_gt_i32_e64 s8, v24, v62
	v_cmp_le_i32_e64 s6, v23, v63
	ds_load_b32 v58, v61
	ds_load_b32 v59, v64
	s_wait_dscnt 0x0
	v_cmp_lt_i32_e64 s7, v59, v58
	s_or_b32 s6, s6, s7
	s_wait_alu 0xfffe
	s_and_b32 s6, s8, s6
	s_wait_alu 0xfffe
	s_xor_b32 s7, s6, -1
	s_wait_alu 0xfffe
	s_and_saveexec_b32 s8, s7
	s_wait_alu 0xfffe
	s_xor_b32 s7, exec_lo, s8
; %bb.71:                               ;   in Loop: Header=BB17_2 Depth=1
	ds_load_b32 v60, v61 offset:4
                                        ; implicit-def: $vgpr64
; %bb.72:                               ;   in Loop: Header=BB17_2 Depth=1
	s_wait_alu 0xfffe
	s_or_saveexec_b32 s7, s7
	v_mov_b32_e32 v61, v59
	s_wait_alu 0xfffe
	s_xor_b32 exec_lo, exec_lo, s7
	s_cbranch_execz .LBB17_74
; %bb.73:                               ;   in Loop: Header=BB17_2 Depth=1
	ds_load_b32 v61, v64 offset:4
	s_wait_dscnt 0x1
	v_mov_b32_e32 v60, v58
.LBB17_74:                              ;   in Loop: Header=BB17_2 Depth=1
	s_or_b32 exec_lo, exec_lo, s7
	v_add_nc_u32_e32 v64, 1, v63
	v_add_nc_u32_e32 v65, 1, v62
	s_wait_dscnt 0x0
	v_cmp_lt_i32_e64 s8, v61, v60
	s_delay_alu instid0(VALU_DEP_3) | instskip(NEXT) | instid1(VALU_DEP_3)
	v_cndmask_b32_e64 v66, v64, v63, s6
	v_cndmask_b32_e64 v67, v62, v65, s6
                                        ; implicit-def: $vgpr64
	s_delay_alu instid0(VALU_DEP_2) | instskip(NEXT) | instid1(VALU_DEP_2)
	v_cmp_ge_i32_e64 s7, v66, v23
	v_cmp_lt_i32_e64 s9, v67, v24
	s_or_b32 s7, s7, s8
	s_wait_alu 0xfffe
	s_and_b32 s7, s9, s7
	s_wait_alu 0xfffe
	s_xor_b32 s8, s7, -1
	s_wait_alu 0xfffe
	s_and_saveexec_b32 s9, s8
	s_wait_alu 0xfffe
	s_xor_b32 s8, exec_lo, s9
; %bb.75:                               ;   in Loop: Header=BB17_2 Depth=1
	v_lshlrev_b32_e32 v64, 2, v66
	ds_load_b32 v64, v64 offset:4
; %bb.76:                               ;   in Loop: Header=BB17_2 Depth=1
	s_wait_alu 0xfffe
	s_or_saveexec_b32 s8, s8
	v_mov_b32_e32 v65, v61
	s_wait_alu 0xfffe
	s_xor_b32 exec_lo, exec_lo, s8
	s_cbranch_execz .LBB17_78
; %bb.77:                               ;   in Loop: Header=BB17_2 Depth=1
	s_wait_dscnt 0x0
	v_lshlrev_b32_e32 v64, 2, v67
	ds_load_b32 v65, v64 offset:4
	v_mov_b32_e32 v64, v60
.LBB17_78:                              ;   in Loop: Header=BB17_2 Depth=1
	s_or_b32 exec_lo, exec_lo, s8
	v_add_nc_u32_e32 v68, 1, v66
	v_add_nc_u32_e32 v69, 1, v67
	s_wait_dscnt 0x0
	v_cmp_lt_i32_e64 s9, v65, v64
	s_delay_alu instid0(VALU_DEP_3) | instskip(NEXT) | instid1(VALU_DEP_3)
	v_cndmask_b32_e64 v70, v68, v66, s7
	v_cndmask_b32_e64 v69, v67, v69, s7
                                        ; implicit-def: $vgpr68
	s_delay_alu instid0(VALU_DEP_2) | instskip(NEXT) | instid1(VALU_DEP_2)
	v_cmp_ge_i32_e64 s8, v70, v23
	v_cmp_lt_i32_e64 s10, v69, v24
	s_or_b32 s8, s8, s9
	s_wait_alu 0xfffe
	s_and_b32 s8, s10, s8
	s_wait_alu 0xfffe
	s_xor_b32 s9, s8, -1
	s_wait_alu 0xfffe
	s_and_saveexec_b32 s10, s9
	s_wait_alu 0xfffe
	s_xor_b32 s9, exec_lo, s10
; %bb.79:                               ;   in Loop: Header=BB17_2 Depth=1
	v_lshlrev_b32_e32 v68, 2, v70
	ds_load_b32 v68, v68 offset:4
; %bb.80:                               ;   in Loop: Header=BB17_2 Depth=1
	s_wait_alu 0xfffe
	s_or_saveexec_b32 s9, s9
	v_mov_b32_e32 v71, v65
	s_wait_alu 0xfffe
	s_xor_b32 exec_lo, exec_lo, s9
	s_cbranch_execz .LBB17_82
; %bb.81:                               ;   in Loop: Header=BB17_2 Depth=1
	s_wait_dscnt 0x0
	v_lshlrev_b32_e32 v68, 2, v69
	ds_load_b32 v71, v68 offset:4
	v_mov_b32_e32 v68, v64
.LBB17_82:                              ;   in Loop: Header=BB17_2 Depth=1
	s_or_b32 exec_lo, exec_lo, s9
	v_add_nc_u32_e32 v72, 1, v70
	v_add_nc_u32_e32 v73, 1, v69
	v_cndmask_b32_e64 v66, v66, v67, s7
	v_cndmask_b32_e64 v62, v63, v62, s6
	s_wait_dscnt 0x0
	v_cmp_lt_i32_e64 s9, v71, v68
	v_cndmask_b32_e64 v67, v72, v70, s8
	v_cndmask_b32_e64 v63, v69, v73, s8
	;; [unrolled: 1-line block ×3, first 2 shown]
	s_wait_loadcnt 0x0
	s_barrier_signal -1
	v_cmp_ge_i32_e64 s10, v67, v23
	v_cmp_lt_i32_e64 s11, v63, v24
	s_barrier_wait -1
	global_inv scope:SCOPE_SE
	ds_store_2addr_b32 v1, v54, v55 offset1:1
	ds_store_2addr_b32 v1, v56, v57 offset0:2 offset1:3
	s_or_b32 s9, s10, s9
	v_lshlrev_b32_e32 v55, 2, v62
	s_wait_alu 0xfffe
	s_and_b32 s9, s11, s9
	v_lshlrev_b32_e32 v56, 2, v66
	s_wait_alu 0xfffe
	v_cndmask_b32_e64 v54, v67, v63, s9
	v_lshlrev_b32_e32 v57, 2, v74
	s_wait_loadcnt_dscnt 0x0
	s_barrier_signal -1
	s_barrier_wait -1
	v_lshlrev_b32_e32 v62, 2, v54
	global_inv scope:SCOPE_SE
	ds_load_b32 v54, v55
	ds_load_b32 v55, v56
	;; [unrolled: 1-line block ×4, first 2 shown]
	v_cndmask_b32_e64 v60, v60, v61, s7
	v_cndmask_b32_e64 v58, v58, v59, s6
	;; [unrolled: 1-line block ×4, first 2 shown]
	s_wait_loadcnt_dscnt 0x0
	s_barrier_signal -1
	s_barrier_wait -1
	global_inv scope:SCOPE_SE
	ds_store_2addr_b32 v1, v58, v60 offset1:1
	ds_store_2addr_b32 v1, v62, v68 offset0:2 offset1:3
	v_mov_b32_e32 v60, v52
	s_wait_loadcnt_dscnt 0x0
	s_barrier_signal -1
	s_barrier_wait -1
	global_inv scope:SCOPE_SE
	s_and_saveexec_b32 s7, s5
	s_cbranch_execz .LBB17_86
; %bb.83:                               ;   in Loop: Header=BB17_2 Depth=1
	v_mov_b32_e32 v60, v52
	v_mov_b32_e32 v58, v46
	s_mov_b32 s8, 0
.LBB17_84:                              ;   Parent Loop BB17_2 Depth=1
                                        ; =>  This Inner Loop Header: Depth=2
	s_delay_alu instid0(VALU_DEP_1) | instskip(NEXT) | instid1(VALU_DEP_1)
	v_sub_nc_u32_e32 v59, v58, v60
	v_lshrrev_b32_e32 v59, 1, v59
	s_delay_alu instid0(VALU_DEP_1) | instskip(NEXT) | instid1(VALU_DEP_1)
	v_add_nc_u32_e32 v59, v59, v60
	v_not_b32_e32 v61, v59
	v_lshl_add_u32 v62, v59, 2, v28
	v_add_nc_u32_e32 v63, 1, v59
	s_delay_alu instid0(VALU_DEP_3)
	v_lshl_add_u32 v61, v61, 2, v40
	ds_load_b32 v62, v62
	ds_load_b32 v61, v61
	s_wait_dscnt 0x0
	v_cmp_lt_i32_e64 s6, v61, v62
	s_wait_alu 0xf1ff
	s_delay_alu instid0(VALU_DEP_1) | instskip(SKIP_1) | instid1(VALU_DEP_1)
	v_cndmask_b32_e64 v58, v58, v59, s6
	v_cndmask_b32_e64 v60, v63, v60, s6
	v_cmp_ge_i32_e64 s6, v60, v58
	s_wait_alu 0xfffe
	s_or_b32 s8, s6, s8
	s_wait_alu 0xfffe
	s_and_not1_b32 exec_lo, exec_lo, s8
	s_cbranch_execnz .LBB17_84
; %bb.85:                               ;   in Loop: Header=BB17_2 Depth=1
	s_or_b32 exec_lo, exec_lo, s8
.LBB17_86:                              ;   in Loop: Header=BB17_2 Depth=1
	s_wait_alu 0xfffe
	s_or_b32 exec_lo, exec_lo, s7
	v_sub_nc_u32_e32 v62, v34, v60
	v_lshl_add_u32 v61, v60, 2, v28
	v_add_nc_u32_e32 v63, v60, v7
                                        ; implicit-def: $vgpr60
	s_delay_alu instid0(VALU_DEP_3) | instskip(SKIP_1) | instid1(VALU_DEP_3)
	v_lshlrev_b32_e32 v64, 2, v62
	v_cmp_gt_i32_e64 s8, v27, v62
	v_cmp_le_i32_e64 s6, v26, v63
	ds_load_b32 v58, v61
	ds_load_b32 v59, v64
	s_wait_dscnt 0x0
	v_cmp_lt_i32_e64 s7, v59, v58
	s_or_b32 s6, s6, s7
	s_wait_alu 0xfffe
	s_and_b32 s6, s8, s6
	s_wait_alu 0xfffe
	s_xor_b32 s7, s6, -1
	s_wait_alu 0xfffe
	s_and_saveexec_b32 s8, s7
	s_wait_alu 0xfffe
	s_xor_b32 s7, exec_lo, s8
; %bb.87:                               ;   in Loop: Header=BB17_2 Depth=1
	ds_load_b32 v60, v61 offset:4
                                        ; implicit-def: $vgpr64
; %bb.88:                               ;   in Loop: Header=BB17_2 Depth=1
	s_wait_alu 0xfffe
	s_or_saveexec_b32 s7, s7
	v_mov_b32_e32 v61, v59
	s_wait_alu 0xfffe
	s_xor_b32 exec_lo, exec_lo, s7
	s_cbranch_execz .LBB17_90
; %bb.89:                               ;   in Loop: Header=BB17_2 Depth=1
	ds_load_b32 v61, v64 offset:4
	s_wait_dscnt 0x1
	v_mov_b32_e32 v60, v58
.LBB17_90:                              ;   in Loop: Header=BB17_2 Depth=1
	s_or_b32 exec_lo, exec_lo, s7
	v_add_nc_u32_e32 v64, 1, v63
	v_add_nc_u32_e32 v65, 1, v62
	s_wait_dscnt 0x0
	v_cmp_lt_i32_e64 s8, v61, v60
	s_delay_alu instid0(VALU_DEP_3) | instskip(NEXT) | instid1(VALU_DEP_3)
	v_cndmask_b32_e64 v66, v64, v63, s6
	v_cndmask_b32_e64 v67, v62, v65, s6
                                        ; implicit-def: $vgpr64
	s_delay_alu instid0(VALU_DEP_2) | instskip(NEXT) | instid1(VALU_DEP_2)
	v_cmp_ge_i32_e64 s7, v66, v26
	v_cmp_lt_i32_e64 s9, v67, v27
	s_or_b32 s7, s7, s8
	s_wait_alu 0xfffe
	s_and_b32 s7, s9, s7
	s_wait_alu 0xfffe
	s_xor_b32 s8, s7, -1
	s_wait_alu 0xfffe
	s_and_saveexec_b32 s9, s8
	s_wait_alu 0xfffe
	s_xor_b32 s8, exec_lo, s9
; %bb.91:                               ;   in Loop: Header=BB17_2 Depth=1
	v_lshlrev_b32_e32 v64, 2, v66
	ds_load_b32 v64, v64 offset:4
; %bb.92:                               ;   in Loop: Header=BB17_2 Depth=1
	s_wait_alu 0xfffe
	s_or_saveexec_b32 s8, s8
	v_mov_b32_e32 v65, v61
	s_wait_alu 0xfffe
	s_xor_b32 exec_lo, exec_lo, s8
	s_cbranch_execz .LBB17_94
; %bb.93:                               ;   in Loop: Header=BB17_2 Depth=1
	s_wait_dscnt 0x0
	v_lshlrev_b32_e32 v64, 2, v67
	ds_load_b32 v65, v64 offset:4
	v_mov_b32_e32 v64, v60
.LBB17_94:                              ;   in Loop: Header=BB17_2 Depth=1
	s_or_b32 exec_lo, exec_lo, s8
	v_add_nc_u32_e32 v68, 1, v66
	v_add_nc_u32_e32 v69, 1, v67
	s_wait_dscnt 0x0
	v_cmp_lt_i32_e64 s9, v65, v64
	s_delay_alu instid0(VALU_DEP_3) | instskip(NEXT) | instid1(VALU_DEP_3)
	v_cndmask_b32_e64 v70, v68, v66, s7
	v_cndmask_b32_e64 v69, v67, v69, s7
                                        ; implicit-def: $vgpr68
	s_delay_alu instid0(VALU_DEP_2) | instskip(NEXT) | instid1(VALU_DEP_2)
	v_cmp_ge_i32_e64 s8, v70, v26
	v_cmp_lt_i32_e64 s10, v69, v27
	s_or_b32 s8, s8, s9
	s_wait_alu 0xfffe
	s_and_b32 s8, s10, s8
	s_wait_alu 0xfffe
	s_xor_b32 s9, s8, -1
	s_wait_alu 0xfffe
	s_and_saveexec_b32 s10, s9
	s_wait_alu 0xfffe
	s_xor_b32 s9, exec_lo, s10
; %bb.95:                               ;   in Loop: Header=BB17_2 Depth=1
	v_lshlrev_b32_e32 v68, 2, v70
	ds_load_b32 v68, v68 offset:4
; %bb.96:                               ;   in Loop: Header=BB17_2 Depth=1
	s_wait_alu 0xfffe
	s_or_saveexec_b32 s9, s9
	v_mov_b32_e32 v71, v65
	s_wait_alu 0xfffe
	s_xor_b32 exec_lo, exec_lo, s9
	s_cbranch_execz .LBB17_98
; %bb.97:                               ;   in Loop: Header=BB17_2 Depth=1
	s_wait_dscnt 0x0
	v_lshlrev_b32_e32 v68, 2, v69
	ds_load_b32 v71, v68 offset:4
	v_mov_b32_e32 v68, v64
.LBB17_98:                              ;   in Loop: Header=BB17_2 Depth=1
	s_or_b32 exec_lo, exec_lo, s9
	v_add_nc_u32_e32 v72, 1, v70
	v_add_nc_u32_e32 v73, 1, v69
	v_cndmask_b32_e64 v66, v66, v67, s7
	v_cndmask_b32_e64 v62, v63, v62, s6
	s_wait_dscnt 0x0
	v_cmp_lt_i32_e64 s9, v71, v68
	v_cndmask_b32_e64 v67, v72, v70, s8
	v_cndmask_b32_e64 v63, v69, v73, s8
	;; [unrolled: 1-line block ×3, first 2 shown]
	s_wait_loadcnt 0x0
	s_barrier_signal -1
	v_cmp_ge_i32_e64 s10, v67, v26
	v_cmp_lt_i32_e64 s11, v63, v27
	s_barrier_wait -1
	global_inv scope:SCOPE_SE
	ds_store_2addr_b32 v1, v54, v55 offset1:1
	ds_store_2addr_b32 v1, v56, v57 offset0:2 offset1:3
	s_or_b32 s9, s10, s9
	v_lshlrev_b32_e32 v55, 2, v62
	s_wait_alu 0xfffe
	s_and_b32 s9, s11, s9
	v_lshlrev_b32_e32 v56, 2, v66
	s_wait_alu 0xfffe
	v_cndmask_b32_e64 v54, v67, v63, s9
	v_lshlrev_b32_e32 v57, 2, v74
	s_wait_loadcnt_dscnt 0x0
	s_barrier_signal -1
	s_barrier_wait -1
	v_lshlrev_b32_e32 v62, 2, v54
	global_inv scope:SCOPE_SE
	ds_load_b32 v54, v55
	ds_load_b32 v55, v56
	;; [unrolled: 1-line block ×4, first 2 shown]
	v_cndmask_b32_e64 v60, v60, v61, s7
	v_cndmask_b32_e64 v58, v58, v59, s6
	v_cndmask_b32_e64 v68, v68, v71, s9
	v_cndmask_b32_e64 v62, v64, v65, s8
	s_wait_loadcnt_dscnt 0x0
	s_barrier_signal -1
	s_barrier_wait -1
	global_inv scope:SCOPE_SE
	ds_store_2addr_b32 v1, v58, v60 offset1:1
	ds_store_2addr_b32 v1, v62, v68 offset0:2 offset1:3
	v_mov_b32_e32 v58, v8
	s_wait_loadcnt_dscnt 0x0
	s_barrier_signal -1
	s_barrier_wait -1
	global_inv scope:SCOPE_SE
	s_and_saveexec_b32 s7, vcc_lo
	s_cbranch_execz .LBB17_102
; %bb.99:                               ;   in Loop: Header=BB17_2 Depth=1
	v_dual_mov_b32 v58, v8 :: v_dual_mov_b32 v59, v9
	s_mov_b32 s8, 0
.LBB17_100:                             ;   Parent Loop BB17_2 Depth=1
                                        ; =>  This Inner Loop Header: Depth=2
	s_delay_alu instid0(VALU_DEP_1) | instskip(NEXT) | instid1(VALU_DEP_1)
	v_sub_nc_u32_e32 v60, v59, v58
	v_lshrrev_b32_e32 v60, 1, v60
	s_delay_alu instid0(VALU_DEP_1) | instskip(NEXT) | instid1(VALU_DEP_1)
	v_add_nc_u32_e32 v60, v60, v58
	v_not_b32_e32 v61, v60
	v_lshlrev_b32_e32 v62, 2, v60
	v_add_nc_u32_e32 v63, 1, v60
	s_delay_alu instid0(VALU_DEP_3)
	v_lshl_add_u32 v61, v61, 2, v53
	ds_load_b32 v62, v62
	ds_load_b32 v61, v61
	s_wait_dscnt 0x0
	v_cmp_lt_i32_e64 s6, v61, v62
	s_wait_alu 0xf1ff
	s_delay_alu instid0(VALU_DEP_1) | instskip(SKIP_1) | instid1(VALU_DEP_1)
	v_cndmask_b32_e64 v59, v59, v60, s6
	v_cndmask_b32_e64 v58, v63, v58, s6
	v_cmp_ge_i32_e64 s6, v58, v59
	s_wait_alu 0xfffe
	s_or_b32 s8, s6, s8
	s_wait_alu 0xfffe
	s_and_not1_b32 exec_lo, exec_lo, s8
	s_cbranch_execnz .LBB17_100
; %bb.101:                              ;   in Loop: Header=BB17_2 Depth=1
	s_or_b32 exec_lo, exec_lo, s8
.LBB17_102:                             ;   in Loop: Header=BB17_2 Depth=1
	s_wait_alu 0xfffe
	s_or_b32 exec_lo, exec_lo, s7
	v_sub_nc_u32_e32 v62, v10, v58
	v_lshlrev_b32_e32 v63, 2, v58
	v_cmp_le_i32_e64 s6, 0x100, v58
                                        ; implicit-def: $vgpr61
	s_delay_alu instid0(VALU_DEP_3)
	v_lshlrev_b32_e32 v64, 2, v62
	v_cmp_gt_i32_e64 s8, 0x200, v62
	ds_load_b32 v59, v63
	ds_load_b32 v60, v64
	s_wait_dscnt 0x0
	v_cmp_lt_i32_e64 s7, v60, v59
	s_or_b32 s6, s6, s7
	s_wait_alu 0xfffe
	s_and_b32 s6, s8, s6
	s_wait_alu 0xfffe
	s_xor_b32 s7, s6, -1
	s_wait_alu 0xfffe
	s_and_saveexec_b32 s8, s7
	s_wait_alu 0xfffe
	s_xor_b32 s7, exec_lo, s8
; %bb.103:                              ;   in Loop: Header=BB17_2 Depth=1
	ds_load_b32 v61, v63 offset:4
                                        ; implicit-def: $vgpr64
; %bb.104:                              ;   in Loop: Header=BB17_2 Depth=1
	s_wait_alu 0xfffe
	s_or_saveexec_b32 s7, s7
	v_mov_b32_e32 v63, v60
	s_wait_alu 0xfffe
	s_xor_b32 exec_lo, exec_lo, s7
	s_cbranch_execz .LBB17_106
; %bb.105:                              ;   in Loop: Header=BB17_2 Depth=1
	ds_load_b32 v63, v64 offset:4
	s_wait_dscnt 0x1
	v_mov_b32_e32 v61, v59
.LBB17_106:                             ;   in Loop: Header=BB17_2 Depth=1
	s_or_b32 exec_lo, exec_lo, s7
	v_add_nc_u32_e32 v64, 1, v58
	v_add_nc_u32_e32 v65, 1, v62
	s_wait_dscnt 0x0
	v_cmp_lt_i32_e64 s8, v63, v61
	s_delay_alu instid0(VALU_DEP_3) | instskip(NEXT) | instid1(VALU_DEP_3)
	v_cndmask_b32_e64 v66, v64, v58, s6
	v_cndmask_b32_e64 v67, v62, v65, s6
                                        ; implicit-def: $vgpr64
	s_delay_alu instid0(VALU_DEP_2) | instskip(NEXT) | instid1(VALU_DEP_2)
	v_cmp_le_i32_e64 s7, 0x100, v66
	v_cmp_gt_i32_e64 s9, 0x200, v67
	s_or_b32 s7, s7, s8
	s_wait_alu 0xfffe
	s_and_b32 s7, s9, s7
	s_wait_alu 0xfffe
	s_xor_b32 s8, s7, -1
	s_wait_alu 0xfffe
	s_and_saveexec_b32 s9, s8
	s_wait_alu 0xfffe
	s_xor_b32 s8, exec_lo, s9
; %bb.107:                              ;   in Loop: Header=BB17_2 Depth=1
	v_lshlrev_b32_e32 v64, 2, v66
	ds_load_b32 v64, v64 offset:4
; %bb.108:                              ;   in Loop: Header=BB17_2 Depth=1
	s_wait_alu 0xfffe
	s_or_saveexec_b32 s8, s8
	v_mov_b32_e32 v65, v63
	s_wait_alu 0xfffe
	s_xor_b32 exec_lo, exec_lo, s8
	s_cbranch_execz .LBB17_110
; %bb.109:                              ;   in Loop: Header=BB17_2 Depth=1
	s_wait_dscnt 0x0
	v_lshlrev_b32_e32 v64, 2, v67
	ds_load_b32 v65, v64 offset:4
	v_mov_b32_e32 v64, v61
.LBB17_110:                             ;   in Loop: Header=BB17_2 Depth=1
	s_or_b32 exec_lo, exec_lo, s8
	v_add_nc_u32_e32 v68, 1, v66
	v_add_nc_u32_e32 v69, 1, v67
	s_wait_dscnt 0x0
	v_cmp_lt_i32_e64 s9, v65, v64
                                        ; implicit-def: $vgpr71
                                        ; implicit-def: $vgpr70
	s_delay_alu instid0(VALU_DEP_3) | instskip(NEXT) | instid1(VALU_DEP_3)
	v_cndmask_b32_e64 v72, v68, v66, s7
	v_cndmask_b32_e64 v68, v67, v69, s7
	s_delay_alu instid0(VALU_DEP_2) | instskip(NEXT) | instid1(VALU_DEP_2)
	v_cmp_le_i32_e64 s8, 0x100, v72
	v_cmp_gt_i32_e64 s10, 0x200, v68
	s_or_b32 s8, s8, s9
	s_wait_alu 0xfffe
	s_and_b32 s8, s10, s8
	s_wait_alu 0xfffe
	s_xor_b32 s9, s8, -1
	s_wait_alu 0xfffe
	s_and_saveexec_b32 s10, s9
	s_wait_alu 0xfffe
	s_xor_b32 s9, exec_lo, s10
; %bb.111:                              ;   in Loop: Header=BB17_2 Depth=1
	v_lshlrev_b32_e32 v69, 2, v72
	v_add_nc_u32_e32 v70, 1, v72
	ds_load_b32 v71, v69 offset:4
; %bb.112:                              ;   in Loop: Header=BB17_2 Depth=1
	s_wait_alu 0xfffe
	s_or_saveexec_b32 s9, s9
	v_mov_b32_e32 v69, v72
	v_mov_b32_e32 v73, v65
	s_wait_alu 0xfffe
	s_xor_b32 exec_lo, exec_lo, s9
	s_cbranch_execz .LBB17_1
; %bb.113:                              ;   in Loop: Header=BB17_2 Depth=1
	v_dual_mov_b32 v70, v72 :: v_dual_lshlrev_b32 v69, 2, v68
	s_wait_dscnt 0x0
	v_add_nc_u32_e32 v71, 1, v68
	ds_load_b32 v73, v69 offset:4
	v_dual_mov_b32 v69, v68 :: v_dual_mov_b32 v68, v71
	v_mov_b32_e32 v71, v64
	s_branch .LBB17_1
.LBB17_114:
	s_wait_dscnt 0x3
	v_add_nc_u32_e32 v1, v60, v56
	v_lshlrev_b32_e32 v0, 2, v0
	s_wait_dscnt 0x2
	v_add_nc_u32_e32 v2, v61, v57
	s_wait_dscnt 0x1
	v_add_nc_u32_e32 v3, v59, v54
	;; [unrolled: 2-line block ×3, first 2 shown]
	s_add_nc_u64 s[0:1], s[18:19], s[20:21]
	s_clause 0x3
	global_store_b32 v0, v1, s[0:1]
	global_store_b32 v0, v2, s[0:1] offset:512
	global_store_b32 v0, v3, s[0:1] offset:1024
	;; [unrolled: 1-line block ×3, first 2 shown]
	s_endpgm
	.section	.rodata,"a",@progbits
	.p2align	6, 0x0
	.amdhsa_kernel _Z17sort_pairs_kernelIiLj128ELj4EN10test_utils4lessELj10EEvPKT_PS2_T2_
		.amdhsa_group_segment_fixed_size 2052
		.amdhsa_private_segment_fixed_size 0
		.amdhsa_kernarg_size 20
		.amdhsa_user_sgpr_count 2
		.amdhsa_user_sgpr_dispatch_ptr 0
		.amdhsa_user_sgpr_queue_ptr 0
		.amdhsa_user_sgpr_kernarg_segment_ptr 1
		.amdhsa_user_sgpr_dispatch_id 0
		.amdhsa_user_sgpr_private_segment_size 0
		.amdhsa_wavefront_size32 1
		.amdhsa_uses_dynamic_stack 0
		.amdhsa_enable_private_segment 0
		.amdhsa_system_sgpr_workgroup_id_x 1
		.amdhsa_system_sgpr_workgroup_id_y 0
		.amdhsa_system_sgpr_workgroup_id_z 0
		.amdhsa_system_sgpr_workgroup_info 0
		.amdhsa_system_vgpr_workitem_id 0
		.amdhsa_next_free_vgpr 76
		.amdhsa_next_free_sgpr 24
		.amdhsa_reserve_vcc 1
		.amdhsa_float_round_mode_32 0
		.amdhsa_float_round_mode_16_64 0
		.amdhsa_float_denorm_mode_32 3
		.amdhsa_float_denorm_mode_16_64 3
		.amdhsa_fp16_overflow 0
		.amdhsa_workgroup_processor_mode 1
		.amdhsa_memory_ordered 1
		.amdhsa_forward_progress 1
		.amdhsa_inst_pref_size 60
		.amdhsa_round_robin_scheduling 0
		.amdhsa_exception_fp_ieee_invalid_op 0
		.amdhsa_exception_fp_denorm_src 0
		.amdhsa_exception_fp_ieee_div_zero 0
		.amdhsa_exception_fp_ieee_overflow 0
		.amdhsa_exception_fp_ieee_underflow 0
		.amdhsa_exception_fp_ieee_inexact 0
		.amdhsa_exception_int_div_zero 0
	.end_amdhsa_kernel
	.section	.text._Z17sort_pairs_kernelIiLj128ELj4EN10test_utils4lessELj10EEvPKT_PS2_T2_,"axG",@progbits,_Z17sort_pairs_kernelIiLj128ELj4EN10test_utils4lessELj10EEvPKT_PS2_T2_,comdat
.Lfunc_end17:
	.size	_Z17sort_pairs_kernelIiLj128ELj4EN10test_utils4lessELj10EEvPKT_PS2_T2_, .Lfunc_end17-_Z17sort_pairs_kernelIiLj128ELj4EN10test_utils4lessELj10EEvPKT_PS2_T2_
                                        ; -- End function
	.set _Z17sort_pairs_kernelIiLj128ELj4EN10test_utils4lessELj10EEvPKT_PS2_T2_.num_vgpr, 76
	.set _Z17sort_pairs_kernelIiLj128ELj4EN10test_utils4lessELj10EEvPKT_PS2_T2_.num_agpr, 0
	.set _Z17sort_pairs_kernelIiLj128ELj4EN10test_utils4lessELj10EEvPKT_PS2_T2_.numbered_sgpr, 24
	.set _Z17sort_pairs_kernelIiLj128ELj4EN10test_utils4lessELj10EEvPKT_PS2_T2_.num_named_barrier, 0
	.set _Z17sort_pairs_kernelIiLj128ELj4EN10test_utils4lessELj10EEvPKT_PS2_T2_.private_seg_size, 0
	.set _Z17sort_pairs_kernelIiLj128ELj4EN10test_utils4lessELj10EEvPKT_PS2_T2_.uses_vcc, 1
	.set _Z17sort_pairs_kernelIiLj128ELj4EN10test_utils4lessELj10EEvPKT_PS2_T2_.uses_flat_scratch, 0
	.set _Z17sort_pairs_kernelIiLj128ELj4EN10test_utils4lessELj10EEvPKT_PS2_T2_.has_dyn_sized_stack, 0
	.set _Z17sort_pairs_kernelIiLj128ELj4EN10test_utils4lessELj10EEvPKT_PS2_T2_.has_recursion, 0
	.set _Z17sort_pairs_kernelIiLj128ELj4EN10test_utils4lessELj10EEvPKT_PS2_T2_.has_indirect_call, 0
	.section	.AMDGPU.csdata,"",@progbits
; Kernel info:
; codeLenInByte = 7672
; TotalNumSgprs: 26
; NumVgprs: 76
; ScratchSize: 0
; MemoryBound: 0
; FloatMode: 240
; IeeeMode: 1
; LDSByteSize: 2052 bytes/workgroup (compile time only)
; SGPRBlocks: 0
; VGPRBlocks: 9
; NumSGPRsForWavesPerEU: 26
; NumVGPRsForWavesPerEU: 76
; Occupancy: 16
; WaveLimiterHint : 1
; COMPUTE_PGM_RSRC2:SCRATCH_EN: 0
; COMPUTE_PGM_RSRC2:USER_SGPR: 2
; COMPUTE_PGM_RSRC2:TRAP_HANDLER: 0
; COMPUTE_PGM_RSRC2:TGID_X_EN: 1
; COMPUTE_PGM_RSRC2:TGID_Y_EN: 0
; COMPUTE_PGM_RSRC2:TGID_Z_EN: 0
; COMPUTE_PGM_RSRC2:TIDIG_COMP_CNT: 0
	.section	.text._Z16sort_keys_kernelIiLj128ELj8EN10test_utils4lessELj10EEvPKT_PS2_T2_,"axG",@progbits,_Z16sort_keys_kernelIiLj128ELj8EN10test_utils4lessELj10EEvPKT_PS2_T2_,comdat
	.protected	_Z16sort_keys_kernelIiLj128ELj8EN10test_utils4lessELj10EEvPKT_PS2_T2_ ; -- Begin function _Z16sort_keys_kernelIiLj128ELj8EN10test_utils4lessELj10EEvPKT_PS2_T2_
	.globl	_Z16sort_keys_kernelIiLj128ELj8EN10test_utils4lessELj10EEvPKT_PS2_T2_
	.p2align	8
	.type	_Z16sort_keys_kernelIiLj128ELj8EN10test_utils4lessELj10EEvPKT_PS2_T2_,@function
_Z16sort_keys_kernelIiLj128ELj8EN10test_utils4lessELj10EEvPKT_PS2_T2_: ; @_Z16sort_keys_kernelIiLj128ELj8EN10test_utils4lessELj10EEvPKT_PS2_T2_
; %bb.0:
	s_load_b128 s[16:19], s[0:1], 0x0
	s_lshl_b32 s14, ttmp9, 10
	s_mov_b32 s15, 0
	v_lshlrev_b32_e32 v1, 2, v0
	s_lshl_b64 s[20:21], s[14:15], 2
	v_lshlrev_b32_e32 v46, 3, v0
	v_lshlrev_b32_e32 v5, 5, v0
	s_delay_alu instid0(VALU_DEP_2)
	v_and_b32_e32 v18, 0x380, v46
	v_and_b32_e32 v50, 0x78, v46
	;; [unrolled: 1-line block ×5, first 2 shown]
	v_or_b32_e32 v20, 64, v18
	v_add_nc_u32_e32 v21, 0x80, v18
	v_or_b32_e32 v6, 16, v4
	v_add_nc_u32_e32 v7, 32, v4
	v_or_b32_e32 v13, 32, v11
	s_wait_kmcnt 0x0
	s_add_nc_u64 s[0:1], s[16:17], s[20:21]
	v_sub_nc_u32_e32 v29, v21, v20
	s_clause 0x7
	global_load_b32 v60, v1, s[0:1]
	global_load_b32 v61, v1, s[0:1] offset:512
	global_load_b32 v56, v1, s[0:1] offset:1024
	;; [unrolled: 1-line block ×7, first 2 shown]
	v_and_b32_e32 v1, 0x3f0, v46
	v_add_nc_u32_e32 v14, 64, v11
	v_or_b32_e32 v27, 0x80, v25
	v_sub_nc_u32_e32 v30, v50, v29
	v_cmp_ge_i32_e64 s2, v50, v29
	v_or_b32_e32 v2, 8, v1
	v_add_nc_u32_e32 v3, 16, v1
	v_add_nc_u32_e32 v28, 0x100, v25
	v_and_b32_e32 v45, 8, v46
	v_cndmask_b32_e64 v29, 0, v30, s2
	v_and_b32_e32 v30, 0x200, v46
	v_sub_nc_u32_e32 v8, v3, v2
	v_and_b32_e32 v48, 24, v46
	v_sub_nc_u32_e32 v15, v7, v6
	v_and_b32_e32 v49, 56, v46
	v_or_b32_e32 v33, 0x100, v30
	v_add_nc_u32_e32 v34, 0x200, v30
	v_sub_nc_u32_e32 v22, v14, v13
	v_and_b32_e32 v51, 0xf8, v46
	v_sub_nc_u32_e32 v35, v28, v27
	v_and_b32_e32 v52, 0x1f8, v46
	v_sub_nc_u32_e32 v40, v34, v33
	v_sub_nc_u32_e32 v9, v45, v8
	;; [unrolled: 1-line block ×3, first 2 shown]
	v_cmp_ge_i32_e32 vcc_lo, v45, v8
	v_sub_nc_u32_e32 v16, v48, v15
	v_sub_nc_u32_e32 v17, v6, v4
	v_cmp_ge_i32_e64 s0, v48, v15
	v_sub_nc_u32_e32 v23, v49, v22
	v_sub_nc_u32_e32 v24, v13, v11
	v_cmp_ge_i32_e64 s1, v49, v22
	v_sub_nc_u32_e32 v31, v20, v18
	v_sub_nc_u32_e32 v36, v51, v35
	;; [unrolled: 1-line block ×3, first 2 shown]
	v_cmp_ge_i32_e64 s3, v51, v35
	v_sub_nc_u32_e32 v41, v52, v40
	v_sub_nc_u32_e32 v42, v33, v30
	v_cmp_ge_i32_e64 s4, v52, v40
	v_cndmask_b32_e32 v8, 0, v9, vcc_lo
	v_min_i32_e32 v9, v45, v10
	v_add_nc_u32_e32 v12, v2, v45
	v_cndmask_b32_e64 v15, 0, v16, s0
	v_min_i32_e32 v16, v48, v17
	v_add_nc_u32_e32 v19, v6, v48
	v_cndmask_b32_e64 v22, 0, v23, s1
	v_min_i32_e32 v23, v49, v24
	v_add_nc_u32_e32 v26, v13, v49
	v_min_i32_e32 v31, v50, v31
	s_wait_alu 0xf1ff
	v_cndmask_b32_e64 v35, 0, v36, s3
	v_min_i32_e32 v36, v51, v37
	v_add_nc_u32_e32 v37, v20, v50
	v_add_nc_u32_e32 v39, v27, v51
	v_cndmask_b32_e64 v40, 0, v41, s4
	v_min_i32_e32 v41, v52, v42
	v_subrev_nc_u32_e64 v42, 0x200, v46 clamp
	v_min_i32_e32 v43, 0x200, v46
	v_lshlrev_b32_e32 v47, 2, v45
	v_add_nc_u32_e32 v45, v33, v52
	v_lshlrev_b32_e32 v48, 2, v48
	v_lshlrev_b32_e32 v49, 2, v49
	;; [unrolled: 1-line block ×7, first 2 shown]
	v_cmp_lt_i32_e64 s0, v15, v16
	v_lshlrev_b32_e32 v24, 2, v11
	v_cmp_lt_i32_e64 s1, v22, v23
	v_lshlrev_b32_e32 v32, 2, v18
	;; [unrolled: 2-line block ×4, first 2 shown]
	v_cmp_lt_i32_e64 s4, v40, v41
	v_cmp_lt_i32_e64 s5, v42, v43
	v_add_nc_u32_e32 v46, 0x200, v46
	v_lshl_add_u32 v47, v2, 2, v47
	v_lshl_add_u32 v48, v6, 2, v48
	;; [unrolled: 1-line block ×6, first 2 shown]
	v_add_nc_u32_e32 v53, 0x800, v5
	v_cmp_lt_i32_e32 vcc_lo, v8, v9
	s_branch .LBB18_2
.LBB18_1:                               ;   in Loop: Header=BB18_2 Depth=1
	s_or_b32 exec_lo, exec_lo, s13
	v_cndmask_b32_e64 v60, v54, v55, s6
	v_cndmask_b32_e64 v61, v56, v57, s7
	v_cmp_le_i32_e64 s6, 0x200, v72
	s_wait_dscnt 0x0
	v_cmp_lt_i32_e64 s7, v73, v71
	v_cndmask_b32_e64 v56, v58, v59, s8
	v_cmp_gt_i32_e64 s8, 0x400, v70
	v_cndmask_b32_e64 v59, v62, v63, s9
	v_cndmask_b32_e64 v57, v64, v65, s10
	s_or_b32 s6, s6, s7
	v_cndmask_b32_e64 v58, v66, v67, s11
	s_wait_alu 0xfffe
	s_and_b32 s6, s8, s6
	v_cndmask_b32_e64 v54, v68, v69, s12
	s_wait_alu 0xfffe
	v_cndmask_b32_e64 v55, v71, v73, s6
	s_add_co_i32 s15, s15, 1
	s_delay_alu instid0(SALU_CYCLE_1)
	s_cmp_eq_u32 s15, 10
	s_cbranch_scc1 .LBB18_226
.LBB18_2:                               ; =>This Loop Header: Depth=1
                                        ;     Child Loop BB18_4 Depth 2
                                        ;     Child Loop BB18_36 Depth 2
	;; [unrolled: 1-line block ×7, first 2 shown]
	s_wait_loadcnt 0x6
	v_cmp_lt_i32_e64 s6, v61, v60
	v_min_i32_e32 v63, v61, v60
	s_wait_loadcnt 0x4
	v_cmp_lt_i32_e64 s7, v59, v56
	v_max_i32_e32 v64, v61, v60
	v_max_i32_e32 v66, v59, v56
	s_wait_alu 0xf1ff
	v_cndmask_b32_e64 v62, v60, v61, s6
	v_cndmask_b32_e64 v60, v61, v60, s6
	s_wait_loadcnt 0x2
	v_cmp_lt_i32_e64 s6, v58, v57
	v_cndmask_b32_e64 v61, v59, v56, s7
	v_cndmask_b32_e64 v65, v56, v59, s7
	v_min_i32_e32 v56, v59, v56
	v_max_i32_e32 v68, v58, v57
	s_wait_alu 0xf1ff
	v_cndmask_b32_e64 v59, v58, v57, s6
	v_cndmask_b32_e64 v67, v57, v58, s6
	s_wait_loadcnt 0x0
	v_cmp_lt_i32_e64 s6, v55, v54
	v_min_i32_e32 v57, v58, v57
	v_cmp_lt_i32_e64 s7, v56, v64
	v_max_i32_e32 v70, v55, v54
	s_wait_alu 0xf1ff
	v_cndmask_b32_e64 v58, v55, v54, s6
	v_cndmask_b32_e64 v69, v54, v55, s6
	v_min_i32_e32 v54, v55, v54
	v_cmp_lt_i32_e64 s6, v57, v66
	v_cndmask_b32_e64 v55, v65, v64, s7
	v_cndmask_b32_e64 v60, v60, v56, s7
	v_max_i32_e32 v65, v56, v64
	v_cmp_lt_i32_e64 s7, v54, v68
	s_wait_alu 0xf1ff
	v_cndmask_b32_e64 v61, v61, v57, s6
	v_max_i32_e32 v71, v57, v66
	v_min_i32_e32 v57, v57, v66
	v_min_i32_e32 v64, v56, v64
	v_cndmask_b32_e64 v67, v67, v66, s6
	v_cndmask_b32_e64 v59, v59, v54, s7
	v_cmp_lt_i32_e64 s6, v56, v63
	v_max_i32_e32 v56, v54, v68
	v_min_i32_e32 v54, v54, v68
	v_cndmask_b32_e64 v66, v69, v68, s7
	v_cmp_lt_i32_e64 s7, v57, v65
	s_wait_alu 0xf1ff
	v_cndmask_b32_e64 v62, v62, v64, s6
	v_cndmask_b32_e64 v60, v60, v63, s6
	;; [unrolled: 1-line block ×4, first 2 shown]
	v_cmp_lt_i32_e64 s6, v54, v71
	v_cndmask_b32_e64 v61, v61, v65, s7
	v_cndmask_b32_e64 v55, v55, v57, s7
	v_max_i32_e32 v64, v57, v65
	v_min_i32_e32 v57, v57, v65
	v_cmp_gt_i32_e64 s7, v68, v70
	s_wait_alu 0xf1ff
	v_cndmask_b32_e64 v65, v67, v54, s6
	v_max_i32_e32 v67, v54, v71
	v_min_i32_e32 v54, v54, v71
	v_cndmask_b32_e64 v59, v59, v71, s6
	v_cndmask_b32_e64 v58, v58, v56, s7
	v_cmp_lt_i32_e64 s6, v57, v63
	v_cndmask_b32_e64 v68, v70, v56, s7
	v_cndmask_b32_e64 v56, v56, v70, s7
	v_cndmask_b32_e64 v66, v66, v70, s7
	v_cmp_lt_i32_e64 s7, v54, v64
	s_wait_alu 0xf1ff
	v_cndmask_b32_e64 v55, v55, v63, s6
	v_cndmask_b32_e64 v60, v60, v57, s6
	v_max_i32_e32 v70, v57, v63
	v_min_i32_e32 v57, v57, v63
	v_cmp_lt_i32_e64 s6, v56, v67
	v_cndmask_b32_e64 v63, v65, v64, s7
	v_cndmask_b32_e64 v61, v61, v54, s7
	v_max_i32_e32 v65, v54, v64
	v_min_i32_e32 v54, v54, v64
	s_wait_alu 0xf1ff
	v_cndmask_b32_e64 v64, v66, v67, s6
	v_cmp_lt_i32_e64 s7, v57, v69
	v_cndmask_b32_e64 v59, v59, v56, s6
	v_max_i32_e32 v66, v56, v67
	v_min_i32_e32 v56, v56, v67
	v_cmp_lt_i32_e64 s6, v54, v70
	s_wait_alu 0xf1ff
	v_cndmask_b32_e64 v62, v62, v57, s7
	v_cndmask_b32_e64 v60, v60, v69, s7
	v_min_i32_e32 v67, v57, v69
	v_cmp_lt_i32_e64 s7, v56, v65
	v_max_i32_e32 v57, v57, v69
	v_cndmask_b32_e64 v61, v61, v70, s6
	v_cndmask_b32_e64 v55, v55, v54, s6
	v_max_i32_e32 v69, v54, v70
	v_min_i32_e32 v54, v54, v70
	v_cmp_lt_i32_e64 s6, v68, v66
	s_wait_alu 0xf1ff
	v_cndmask_b32_e64 v63, v63, v56, s7
	v_max_i32_e32 v70, v56, v65
	v_min_i32_e32 v56, v56, v65
	v_cndmask_b32_e64 v59, v59, v65, s7
	v_cndmask_b32_e64 v58, v58, v66, s6
	v_cmp_lt_i32_e64 s7, v54, v57
	v_max_i32_e32 v65, v68, v66
	v_min_i32_e32 v66, v68, v66
	v_cndmask_b32_e64 v64, v64, v68, s6
	v_cmp_lt_i32_e64 s6, v56, v69
	s_wait_alu 0xf1ff
	v_cndmask_b32_e64 v60, v60, v54, s7
	v_cndmask_b32_e64 v55, v55, v57, s7
	v_cmp_lt_i32_e64 s7, v66, v70
	v_max_i32_e32 v68, v54, v57
	v_cndmask_b32_e64 v61, v61, v56, s6
	v_max_i32_e32 v71, v56, v69
	v_min_i32_e32 v56, v56, v69
	v_min_i32_e32 v57, v54, v57
	v_cndmask_b32_e64 v63, v63, v69, s6
	s_wait_alu 0xf1ff
	v_cndmask_b32_e64 v59, v59, v66, s7
	v_cmp_lt_i32_e64 s6, v54, v67
	v_max_i32_e32 v54, v66, v70
	v_min_i32_e32 v66, v66, v70
	v_cndmask_b32_e64 v64, v64, v70, s7
	v_cmp_lt_i32_e64 s7, v56, v68
	s_wait_alu 0xf1ff
	v_cndmask_b32_e64 v62, v62, v57, s6
	v_cndmask_b32_e64 v60, v60, v67, s6
	;; [unrolled: 1-line block ×3, first 2 shown]
	v_cmp_lt_i32_e64 s6, v66, v71
	v_cndmask_b32_e64 v55, v55, v56, s7
	v_cndmask_b32_e64 v61, v61, v68, s7
	v_cmp_gt_i32_e64 s7, v70, v65
	v_max_i32_e32 v67, v56, v68
	v_min_i32_e32 v56, v56, v68
	s_wait_alu 0xf1ff
	v_cndmask_b32_e64 v63, v63, v66, s6
	v_max_i32_e32 v68, v66, v71
	v_min_i32_e32 v66, v66, v71
	v_cndmask_b32_e64 v58, v58, v54, s7
	v_cndmask_b32_e64 v54, v54, v65, s7
	;; [unrolled: 1-line block ×3, first 2 shown]
	v_cmp_lt_i32_e64 s6, v56, v57
	v_cndmask_b32_e64 v64, v64, v65, s7
	v_cmp_lt_i32_e64 s7, v66, v67
	v_cmp_lt_i32_e64 s8, v54, v68
	s_barrier_signal -1
	s_wait_alu 0xf1ff
	v_cndmask_b32_e64 v56, v60, v56, s6
	v_cndmask_b32_e64 v55, v55, v57, s6
	;; [unrolled: 1-line block ×6, first 2 shown]
	s_barrier_wait -1
	global_inv scope:SCOPE_SE
	ds_store_2addr_b32 v5, v62, v56 offset1:1
	ds_store_2addr_b32 v5, v55, v60 offset0:2 offset1:3
	ds_store_2addr_b32 v5, v57, v54 offset0:4 offset1:5
	;; [unrolled: 1-line block ×3, first 2 shown]
	v_mov_b32_e32 v56, v8
	s_wait_loadcnt_dscnt 0x0
	s_barrier_signal -1
	s_barrier_wait -1
	global_inv scope:SCOPE_SE
	s_and_saveexec_b32 s7, vcc_lo
	s_cbranch_execz .LBB18_6
; %bb.3:                                ;   in Loop: Header=BB18_2 Depth=1
	v_mov_b32_e32 v56, v8
	v_mov_b32_e32 v54, v9
	s_mov_b32 s8, 0
.LBB18_4:                               ;   Parent Loop BB18_2 Depth=1
                                        ; =>  This Inner Loop Header: Depth=2
	s_delay_alu instid0(VALU_DEP_1) | instskip(NEXT) | instid1(VALU_DEP_1)
	v_sub_nc_u32_e32 v55, v54, v56
	v_lshrrev_b32_e32 v55, 1, v55
	s_delay_alu instid0(VALU_DEP_1) | instskip(NEXT) | instid1(VALU_DEP_1)
	v_add_nc_u32_e32 v55, v55, v56
	v_not_b32_e32 v57, v55
	v_lshl_add_u32 v58, v55, 2, v10
	v_add_nc_u32_e32 v59, 1, v55
	s_delay_alu instid0(VALU_DEP_3)
	v_lshl_add_u32 v57, v57, 2, v47
	ds_load_b32 v58, v58
	ds_load_b32 v57, v57
	s_wait_dscnt 0x0
	v_cmp_lt_i32_e64 s6, v57, v58
	s_wait_alu 0xf1ff
	s_delay_alu instid0(VALU_DEP_1) | instskip(SKIP_1) | instid1(VALU_DEP_1)
	v_cndmask_b32_e64 v54, v54, v55, s6
	v_cndmask_b32_e64 v56, v59, v56, s6
	v_cmp_ge_i32_e64 s6, v56, v54
	s_wait_alu 0xfffe
	s_or_b32 s8, s6, s8
	s_wait_alu 0xfffe
	s_and_not1_b32 exec_lo, exec_lo, s8
	s_cbranch_execnz .LBB18_4
; %bb.5:                                ;   in Loop: Header=BB18_2 Depth=1
	s_or_b32 exec_lo, exec_lo, s8
.LBB18_6:                               ;   in Loop: Header=BB18_2 Depth=1
	s_wait_alu 0xfffe
	s_or_b32 exec_lo, exec_lo, s7
	v_sub_nc_u32_e32 v58, v12, v56
	v_lshl_add_u32 v57, v56, 2, v10
	v_add_nc_u32_e32 v59, v56, v1
                                        ; implicit-def: $vgpr56
	s_delay_alu instid0(VALU_DEP_3) | instskip(SKIP_1) | instid1(VALU_DEP_3)
	v_lshlrev_b32_e32 v60, 2, v58
	v_cmp_gt_i32_e64 s8, v3, v58
	v_cmp_le_i32_e64 s6, v2, v59
	ds_load_b32 v54, v57
	ds_load_b32 v55, v60
	s_wait_dscnt 0x0
	v_cmp_lt_i32_e64 s7, v55, v54
	s_or_b32 s6, s6, s7
	s_wait_alu 0xfffe
	s_and_b32 s6, s8, s6
	s_wait_alu 0xfffe
	s_xor_b32 s7, s6, -1
	s_wait_alu 0xfffe
	s_and_saveexec_b32 s8, s7
	s_wait_alu 0xfffe
	s_xor_b32 s7, exec_lo, s8
; %bb.7:                                ;   in Loop: Header=BB18_2 Depth=1
	ds_load_b32 v56, v57 offset:4
                                        ; implicit-def: $vgpr60
; %bb.8:                                ;   in Loop: Header=BB18_2 Depth=1
	s_wait_alu 0xfffe
	s_or_saveexec_b32 s7, s7
	v_mov_b32_e32 v57, v55
	s_wait_alu 0xfffe
	s_xor_b32 exec_lo, exec_lo, s7
	s_cbranch_execz .LBB18_10
; %bb.9:                                ;   in Loop: Header=BB18_2 Depth=1
	ds_load_b32 v57, v60 offset:4
	s_wait_dscnt 0x1
	v_mov_b32_e32 v56, v54
.LBB18_10:                              ;   in Loop: Header=BB18_2 Depth=1
	s_or_b32 exec_lo, exec_lo, s7
	v_add_nc_u32_e32 v60, 1, v59
	v_add_nc_u32_e32 v62, 1, v58
	s_wait_dscnt 0x0
	v_cmp_lt_i32_e64 s8, v57, v56
	s_delay_alu instid0(VALU_DEP_3) | instskip(NEXT) | instid1(VALU_DEP_3)
	v_cndmask_b32_e64 v61, v60, v59, s6
	v_cndmask_b32_e64 v60, v58, v62, s6
                                        ; implicit-def: $vgpr58
	s_delay_alu instid0(VALU_DEP_2) | instskip(NEXT) | instid1(VALU_DEP_2)
	v_cmp_ge_i32_e64 s7, v61, v2
	v_cmp_lt_i32_e64 s9, v60, v3
	s_or_b32 s7, s7, s8
	s_wait_alu 0xfffe
	s_and_b32 s7, s9, s7
	s_wait_alu 0xfffe
	s_xor_b32 s8, s7, -1
	s_wait_alu 0xfffe
	s_and_saveexec_b32 s9, s8
	s_wait_alu 0xfffe
	s_xor_b32 s8, exec_lo, s9
; %bb.11:                               ;   in Loop: Header=BB18_2 Depth=1
	v_lshlrev_b32_e32 v58, 2, v61
	ds_load_b32 v58, v58 offset:4
; %bb.12:                               ;   in Loop: Header=BB18_2 Depth=1
	s_wait_alu 0xfffe
	s_or_saveexec_b32 s8, s8
	v_mov_b32_e32 v59, v57
	s_wait_alu 0xfffe
	s_xor_b32 exec_lo, exec_lo, s8
	s_cbranch_execz .LBB18_14
; %bb.13:                               ;   in Loop: Header=BB18_2 Depth=1
	s_wait_dscnt 0x0
	v_lshlrev_b32_e32 v58, 2, v60
	ds_load_b32 v59, v58 offset:4
	v_mov_b32_e32 v58, v56
.LBB18_14:                              ;   in Loop: Header=BB18_2 Depth=1
	s_or_b32 exec_lo, exec_lo, s8
	v_add_nc_u32_e32 v62, 1, v61
	v_add_nc_u32_e32 v64, 1, v60
	s_wait_dscnt 0x0
	v_cmp_lt_i32_e64 s9, v59, v58
	s_delay_alu instid0(VALU_DEP_3) | instskip(NEXT) | instid1(VALU_DEP_3)
	v_cndmask_b32_e64 v63, v62, v61, s7
	v_cndmask_b32_e64 v62, v60, v64, s7
                                        ; implicit-def: $vgpr60
	s_delay_alu instid0(VALU_DEP_2) | instskip(NEXT) | instid1(VALU_DEP_2)
	v_cmp_ge_i32_e64 s8, v63, v2
	v_cmp_lt_i32_e64 s10, v62, v3
	s_or_b32 s8, s8, s9
	s_wait_alu 0xfffe
	s_and_b32 s8, s10, s8
	s_wait_alu 0xfffe
	s_xor_b32 s9, s8, -1
	s_wait_alu 0xfffe
	s_and_saveexec_b32 s10, s9
	s_wait_alu 0xfffe
	s_xor_b32 s9, exec_lo, s10
; %bb.15:                               ;   in Loop: Header=BB18_2 Depth=1
	v_lshlrev_b32_e32 v60, 2, v63
	ds_load_b32 v60, v60 offset:4
; %bb.16:                               ;   in Loop: Header=BB18_2 Depth=1
	s_wait_alu 0xfffe
	s_or_saveexec_b32 s9, s9
	v_mov_b32_e32 v61, v59
	s_wait_alu 0xfffe
	s_xor_b32 exec_lo, exec_lo, s9
	s_cbranch_execz .LBB18_18
; %bb.17:                               ;   in Loop: Header=BB18_2 Depth=1
	s_wait_dscnt 0x0
	v_lshlrev_b32_e32 v60, 2, v62
	ds_load_b32 v61, v60 offset:4
	v_mov_b32_e32 v60, v58
.LBB18_18:                              ;   in Loop: Header=BB18_2 Depth=1
	s_or_b32 exec_lo, exec_lo, s9
	v_add_nc_u32_e32 v64, 1, v63
	v_add_nc_u32_e32 v66, 1, v62
	s_wait_dscnt 0x0
	v_cmp_lt_i32_e64 s10, v61, v60
	s_delay_alu instid0(VALU_DEP_3) | instskip(NEXT) | instid1(VALU_DEP_3)
	v_cndmask_b32_e64 v65, v64, v63, s8
	v_cndmask_b32_e64 v64, v62, v66, s8
                                        ; implicit-def: $vgpr62
	s_delay_alu instid0(VALU_DEP_2) | instskip(NEXT) | instid1(VALU_DEP_2)
	v_cmp_ge_i32_e64 s9, v65, v2
	v_cmp_lt_i32_e64 s11, v64, v3
	s_or_b32 s9, s9, s10
	s_wait_alu 0xfffe
	s_and_b32 s9, s11, s9
	s_wait_alu 0xfffe
	s_xor_b32 s10, s9, -1
	s_wait_alu 0xfffe
	s_and_saveexec_b32 s11, s10
	s_wait_alu 0xfffe
	s_xor_b32 s10, exec_lo, s11
; %bb.19:                               ;   in Loop: Header=BB18_2 Depth=1
	v_lshlrev_b32_e32 v62, 2, v65
	ds_load_b32 v62, v62 offset:4
; %bb.20:                               ;   in Loop: Header=BB18_2 Depth=1
	s_wait_alu 0xfffe
	s_or_saveexec_b32 s10, s10
	v_mov_b32_e32 v63, v61
	s_wait_alu 0xfffe
	s_xor_b32 exec_lo, exec_lo, s10
	s_cbranch_execz .LBB18_22
; %bb.21:                               ;   in Loop: Header=BB18_2 Depth=1
	s_wait_dscnt 0x0
	v_lshlrev_b32_e32 v62, 2, v64
	ds_load_b32 v63, v62 offset:4
	v_mov_b32_e32 v62, v60
.LBB18_22:                              ;   in Loop: Header=BB18_2 Depth=1
	s_or_b32 exec_lo, exec_lo, s10
	v_add_nc_u32_e32 v66, 1, v65
	v_add_nc_u32_e32 v68, 1, v64
	s_wait_dscnt 0x0
	v_cmp_lt_i32_e64 s11, v63, v62
	s_delay_alu instid0(VALU_DEP_3) | instskip(NEXT) | instid1(VALU_DEP_3)
	v_cndmask_b32_e64 v67, v66, v65, s9
	v_cndmask_b32_e64 v66, v64, v68, s9
                                        ; implicit-def: $vgpr64
	s_delay_alu instid0(VALU_DEP_2) | instskip(NEXT) | instid1(VALU_DEP_2)
	v_cmp_ge_i32_e64 s10, v67, v2
	v_cmp_lt_i32_e64 s12, v66, v3
	s_or_b32 s10, s10, s11
	s_wait_alu 0xfffe
	s_and_b32 s10, s12, s10
	s_wait_alu 0xfffe
	s_xor_b32 s11, s10, -1
	s_wait_alu 0xfffe
	s_and_saveexec_b32 s12, s11
	s_wait_alu 0xfffe
	s_xor_b32 s11, exec_lo, s12
; %bb.23:                               ;   in Loop: Header=BB18_2 Depth=1
	v_lshlrev_b32_e32 v64, 2, v67
	ds_load_b32 v64, v64 offset:4
; %bb.24:                               ;   in Loop: Header=BB18_2 Depth=1
	s_wait_alu 0xfffe
	s_or_saveexec_b32 s11, s11
	v_mov_b32_e32 v65, v63
	s_wait_alu 0xfffe
	s_xor_b32 exec_lo, exec_lo, s11
	s_cbranch_execz .LBB18_26
; %bb.25:                               ;   in Loop: Header=BB18_2 Depth=1
	s_wait_dscnt 0x0
	v_lshlrev_b32_e32 v64, 2, v66
	ds_load_b32 v65, v64 offset:4
	v_mov_b32_e32 v64, v62
.LBB18_26:                              ;   in Loop: Header=BB18_2 Depth=1
	s_or_b32 exec_lo, exec_lo, s11
	v_add_nc_u32_e32 v68, 1, v67
	v_add_nc_u32_e32 v70, 1, v66
	s_wait_dscnt 0x0
	v_cmp_lt_i32_e64 s12, v65, v64
	s_delay_alu instid0(VALU_DEP_3) | instskip(NEXT) | instid1(VALU_DEP_3)
	v_cndmask_b32_e64 v69, v68, v67, s10
	v_cndmask_b32_e64 v68, v66, v70, s10
                                        ; implicit-def: $vgpr66
	s_delay_alu instid0(VALU_DEP_2) | instskip(NEXT) | instid1(VALU_DEP_2)
	v_cmp_ge_i32_e64 s11, v69, v2
	v_cmp_lt_i32_e64 s13, v68, v3
	s_or_b32 s11, s11, s12
	s_wait_alu 0xfffe
	s_and_b32 s11, s13, s11
	s_wait_alu 0xfffe
	s_xor_b32 s12, s11, -1
	s_wait_alu 0xfffe
	s_and_saveexec_b32 s13, s12
	s_wait_alu 0xfffe
	s_xor_b32 s12, exec_lo, s13
; %bb.27:                               ;   in Loop: Header=BB18_2 Depth=1
	v_lshlrev_b32_e32 v66, 2, v69
	ds_load_b32 v66, v66 offset:4
; %bb.28:                               ;   in Loop: Header=BB18_2 Depth=1
	s_wait_alu 0xfffe
	s_or_saveexec_b32 s12, s12
	v_mov_b32_e32 v67, v65
	s_wait_alu 0xfffe
	s_xor_b32 exec_lo, exec_lo, s12
	s_cbranch_execz .LBB18_30
; %bb.29:                               ;   in Loop: Header=BB18_2 Depth=1
	s_wait_dscnt 0x0
	v_lshlrev_b32_e32 v66, 2, v68
	ds_load_b32 v67, v66 offset:4
	v_mov_b32_e32 v66, v64
.LBB18_30:                              ;   in Loop: Header=BB18_2 Depth=1
	s_or_b32 exec_lo, exec_lo, s12
	v_add_nc_u32_e32 v70, 1, v69
	v_add_nc_u32_e32 v71, 1, v68
	s_wait_dscnt 0x0
	v_cmp_lt_i32_e64 s13, v67, v66
	s_delay_alu instid0(VALU_DEP_3) | instskip(NEXT) | instid1(VALU_DEP_3)
	v_cndmask_b32_e64 v70, v70, v69, s11
	v_cndmask_b32_e64 v69, v68, v71, s11
                                        ; implicit-def: $vgpr68
	s_delay_alu instid0(VALU_DEP_2) | instskip(NEXT) | instid1(VALU_DEP_2)
	v_cmp_ge_i32_e64 s12, v70, v2
	v_cmp_lt_i32_e64 s14, v69, v3
	s_or_b32 s12, s12, s13
	s_wait_alu 0xfffe
	s_and_b32 s12, s14, s12
	s_wait_alu 0xfffe
	s_xor_b32 s13, s12, -1
	s_wait_alu 0xfffe
	s_and_saveexec_b32 s14, s13
	s_delay_alu instid0(SALU_CYCLE_1)
	s_xor_b32 s13, exec_lo, s14
; %bb.31:                               ;   in Loop: Header=BB18_2 Depth=1
	v_lshlrev_b32_e32 v68, 2, v70
	ds_load_b32 v68, v68 offset:4
; %bb.32:                               ;   in Loop: Header=BB18_2 Depth=1
	s_wait_alu 0xfffe
	s_or_saveexec_b32 s13, s13
	v_mov_b32_e32 v71, v67
	s_wait_alu 0xfffe
	s_xor_b32 exec_lo, exec_lo, s13
	s_cbranch_execz .LBB18_34
; %bb.33:                               ;   in Loop: Header=BB18_2 Depth=1
	s_wait_dscnt 0x0
	v_lshlrev_b32_e32 v68, 2, v69
	ds_load_b32 v71, v68 offset:4
	v_mov_b32_e32 v68, v66
.LBB18_34:                              ;   in Loop: Header=BB18_2 Depth=1
	s_or_b32 exec_lo, exec_lo, s13
	v_add_nc_u32_e32 v72, 1, v70
	v_add_nc_u32_e32 v73, 1, v69
	v_cndmask_b32_e64 v64, v64, v65, s11
	v_cndmask_b32_e64 v62, v62, v63, s10
	;; [unrolled: 1-line block ×5, first 2 shown]
	s_wait_dscnt 0x0
	v_cmp_lt_i32_e64 s9, v71, v68
	v_cndmask_b32_e64 v58, v58, v59, s8
	v_cndmask_b32_e64 v54, v54, v55, s6
	v_cmp_ge_i32_e64 s10, v65, v2
	v_cmp_lt_i32_e64 s8, v63, v3
	v_cndmask_b32_e64 v56, v56, v57, s7
	v_cndmask_b32_e64 v66, v66, v67, s12
	s_wait_loadcnt 0x0
	s_or_b32 s6, s10, s9
	s_barrier_signal -1
	s_wait_alu 0xfffe
	s_and_b32 s6, s8, s6
	s_barrier_wait -1
	s_wait_alu 0xfffe
	v_cndmask_b32_e64 v55, v68, v71, s6
	global_inv scope:SCOPE_SE
	ds_store_2addr_b32 v5, v54, v56 offset1:1
	ds_store_2addr_b32 v5, v58, v60 offset0:2 offset1:3
	ds_store_2addr_b32 v5, v62, v64 offset0:4 offset1:5
	;; [unrolled: 1-line block ×3, first 2 shown]
	v_mov_b32_e32 v56, v15
	s_wait_loadcnt_dscnt 0x0
	s_barrier_signal -1
	s_barrier_wait -1
	global_inv scope:SCOPE_SE
	s_and_saveexec_b32 s7, s0
	s_cbranch_execz .LBB18_38
; %bb.35:                               ;   in Loop: Header=BB18_2 Depth=1
	v_mov_b32_e32 v56, v15
	v_mov_b32_e32 v54, v16
	s_mov_b32 s8, 0
.LBB18_36:                              ;   Parent Loop BB18_2 Depth=1
                                        ; =>  This Inner Loop Header: Depth=2
	s_delay_alu instid0(VALU_DEP_1) | instskip(NEXT) | instid1(VALU_DEP_1)
	v_sub_nc_u32_e32 v55, v54, v56
	v_lshrrev_b32_e32 v55, 1, v55
	s_delay_alu instid0(VALU_DEP_1) | instskip(NEXT) | instid1(VALU_DEP_1)
	v_add_nc_u32_e32 v55, v55, v56
	v_not_b32_e32 v57, v55
	v_lshl_add_u32 v58, v55, 2, v17
	v_add_nc_u32_e32 v59, 1, v55
	s_delay_alu instid0(VALU_DEP_3)
	v_lshl_add_u32 v57, v57, 2, v48
	ds_load_b32 v58, v58
	ds_load_b32 v57, v57
	s_wait_dscnt 0x0
	v_cmp_lt_i32_e64 s6, v57, v58
	s_wait_alu 0xf1ff
	s_delay_alu instid0(VALU_DEP_1) | instskip(SKIP_1) | instid1(VALU_DEP_1)
	v_cndmask_b32_e64 v54, v54, v55, s6
	v_cndmask_b32_e64 v56, v59, v56, s6
	v_cmp_ge_i32_e64 s6, v56, v54
	s_wait_alu 0xfffe
	s_or_b32 s8, s6, s8
	s_wait_alu 0xfffe
	s_and_not1_b32 exec_lo, exec_lo, s8
	s_cbranch_execnz .LBB18_36
; %bb.37:                               ;   in Loop: Header=BB18_2 Depth=1
	s_or_b32 exec_lo, exec_lo, s8
.LBB18_38:                              ;   in Loop: Header=BB18_2 Depth=1
	s_wait_alu 0xfffe
	s_or_b32 exec_lo, exec_lo, s7
	v_sub_nc_u32_e32 v58, v19, v56
	v_lshl_add_u32 v57, v56, 2, v17
	v_add_nc_u32_e32 v59, v56, v4
                                        ; implicit-def: $vgpr56
	s_delay_alu instid0(VALU_DEP_3) | instskip(SKIP_1) | instid1(VALU_DEP_3)
	v_lshlrev_b32_e32 v60, 2, v58
	v_cmp_gt_i32_e64 s8, v7, v58
	v_cmp_le_i32_e64 s6, v6, v59
	ds_load_b32 v54, v57
	ds_load_b32 v55, v60
	s_wait_dscnt 0x0
	v_cmp_lt_i32_e64 s7, v55, v54
	s_or_b32 s6, s6, s7
	s_wait_alu 0xfffe
	s_and_b32 s6, s8, s6
	s_wait_alu 0xfffe
	s_xor_b32 s7, s6, -1
	s_wait_alu 0xfffe
	s_and_saveexec_b32 s8, s7
	s_wait_alu 0xfffe
	s_xor_b32 s7, exec_lo, s8
; %bb.39:                               ;   in Loop: Header=BB18_2 Depth=1
	ds_load_b32 v56, v57 offset:4
                                        ; implicit-def: $vgpr60
; %bb.40:                               ;   in Loop: Header=BB18_2 Depth=1
	s_wait_alu 0xfffe
	s_or_saveexec_b32 s7, s7
	v_mov_b32_e32 v57, v55
	s_wait_alu 0xfffe
	s_xor_b32 exec_lo, exec_lo, s7
	s_cbranch_execz .LBB18_42
; %bb.41:                               ;   in Loop: Header=BB18_2 Depth=1
	ds_load_b32 v57, v60 offset:4
	s_wait_dscnt 0x1
	v_mov_b32_e32 v56, v54
.LBB18_42:                              ;   in Loop: Header=BB18_2 Depth=1
	s_or_b32 exec_lo, exec_lo, s7
	v_add_nc_u32_e32 v60, 1, v59
	v_add_nc_u32_e32 v62, 1, v58
	s_wait_dscnt 0x0
	v_cmp_lt_i32_e64 s8, v57, v56
	s_delay_alu instid0(VALU_DEP_3) | instskip(NEXT) | instid1(VALU_DEP_3)
	v_cndmask_b32_e64 v61, v60, v59, s6
	v_cndmask_b32_e64 v60, v58, v62, s6
                                        ; implicit-def: $vgpr58
	s_delay_alu instid0(VALU_DEP_2) | instskip(NEXT) | instid1(VALU_DEP_2)
	v_cmp_ge_i32_e64 s7, v61, v6
	v_cmp_lt_i32_e64 s9, v60, v7
	s_or_b32 s7, s7, s8
	s_wait_alu 0xfffe
	s_and_b32 s7, s9, s7
	s_wait_alu 0xfffe
	s_xor_b32 s8, s7, -1
	s_wait_alu 0xfffe
	s_and_saveexec_b32 s9, s8
	s_wait_alu 0xfffe
	s_xor_b32 s8, exec_lo, s9
; %bb.43:                               ;   in Loop: Header=BB18_2 Depth=1
	v_lshlrev_b32_e32 v58, 2, v61
	ds_load_b32 v58, v58 offset:4
; %bb.44:                               ;   in Loop: Header=BB18_2 Depth=1
	s_wait_alu 0xfffe
	s_or_saveexec_b32 s8, s8
	v_mov_b32_e32 v59, v57
	s_wait_alu 0xfffe
	s_xor_b32 exec_lo, exec_lo, s8
	s_cbranch_execz .LBB18_46
; %bb.45:                               ;   in Loop: Header=BB18_2 Depth=1
	s_wait_dscnt 0x0
	v_lshlrev_b32_e32 v58, 2, v60
	ds_load_b32 v59, v58 offset:4
	v_mov_b32_e32 v58, v56
.LBB18_46:                              ;   in Loop: Header=BB18_2 Depth=1
	s_or_b32 exec_lo, exec_lo, s8
	v_add_nc_u32_e32 v62, 1, v61
	v_add_nc_u32_e32 v64, 1, v60
	s_wait_dscnt 0x0
	v_cmp_lt_i32_e64 s9, v59, v58
	s_delay_alu instid0(VALU_DEP_3) | instskip(NEXT) | instid1(VALU_DEP_3)
	v_cndmask_b32_e64 v63, v62, v61, s7
	v_cndmask_b32_e64 v62, v60, v64, s7
                                        ; implicit-def: $vgpr60
	s_delay_alu instid0(VALU_DEP_2) | instskip(NEXT) | instid1(VALU_DEP_2)
	v_cmp_ge_i32_e64 s8, v63, v6
	v_cmp_lt_i32_e64 s10, v62, v7
	s_or_b32 s8, s8, s9
	s_wait_alu 0xfffe
	s_and_b32 s8, s10, s8
	s_wait_alu 0xfffe
	s_xor_b32 s9, s8, -1
	s_wait_alu 0xfffe
	s_and_saveexec_b32 s10, s9
	s_wait_alu 0xfffe
	s_xor_b32 s9, exec_lo, s10
; %bb.47:                               ;   in Loop: Header=BB18_2 Depth=1
	v_lshlrev_b32_e32 v60, 2, v63
	ds_load_b32 v60, v60 offset:4
; %bb.48:                               ;   in Loop: Header=BB18_2 Depth=1
	s_wait_alu 0xfffe
	s_or_saveexec_b32 s9, s9
	v_mov_b32_e32 v61, v59
	s_wait_alu 0xfffe
	s_xor_b32 exec_lo, exec_lo, s9
	s_cbranch_execz .LBB18_50
; %bb.49:                               ;   in Loop: Header=BB18_2 Depth=1
	s_wait_dscnt 0x0
	v_lshlrev_b32_e32 v60, 2, v62
	ds_load_b32 v61, v60 offset:4
	v_mov_b32_e32 v60, v58
.LBB18_50:                              ;   in Loop: Header=BB18_2 Depth=1
	s_or_b32 exec_lo, exec_lo, s9
	v_add_nc_u32_e32 v64, 1, v63
	v_add_nc_u32_e32 v66, 1, v62
	s_wait_dscnt 0x0
	v_cmp_lt_i32_e64 s10, v61, v60
	s_delay_alu instid0(VALU_DEP_3) | instskip(NEXT) | instid1(VALU_DEP_3)
	v_cndmask_b32_e64 v65, v64, v63, s8
	v_cndmask_b32_e64 v64, v62, v66, s8
                                        ; implicit-def: $vgpr62
	s_delay_alu instid0(VALU_DEP_2) | instskip(NEXT) | instid1(VALU_DEP_2)
	v_cmp_ge_i32_e64 s9, v65, v6
	v_cmp_lt_i32_e64 s11, v64, v7
	s_or_b32 s9, s9, s10
	s_wait_alu 0xfffe
	s_and_b32 s9, s11, s9
	s_wait_alu 0xfffe
	s_xor_b32 s10, s9, -1
	s_wait_alu 0xfffe
	s_and_saveexec_b32 s11, s10
	s_wait_alu 0xfffe
	s_xor_b32 s10, exec_lo, s11
; %bb.51:                               ;   in Loop: Header=BB18_2 Depth=1
	v_lshlrev_b32_e32 v62, 2, v65
	ds_load_b32 v62, v62 offset:4
; %bb.52:                               ;   in Loop: Header=BB18_2 Depth=1
	s_wait_alu 0xfffe
	s_or_saveexec_b32 s10, s10
	v_mov_b32_e32 v63, v61
	s_wait_alu 0xfffe
	s_xor_b32 exec_lo, exec_lo, s10
	s_cbranch_execz .LBB18_54
; %bb.53:                               ;   in Loop: Header=BB18_2 Depth=1
	s_wait_dscnt 0x0
	v_lshlrev_b32_e32 v62, 2, v64
	ds_load_b32 v63, v62 offset:4
	v_mov_b32_e32 v62, v60
.LBB18_54:                              ;   in Loop: Header=BB18_2 Depth=1
	s_or_b32 exec_lo, exec_lo, s10
	v_add_nc_u32_e32 v66, 1, v65
	v_add_nc_u32_e32 v68, 1, v64
	s_wait_dscnt 0x0
	v_cmp_lt_i32_e64 s11, v63, v62
	s_delay_alu instid0(VALU_DEP_3) | instskip(NEXT) | instid1(VALU_DEP_3)
	v_cndmask_b32_e64 v67, v66, v65, s9
	v_cndmask_b32_e64 v66, v64, v68, s9
                                        ; implicit-def: $vgpr64
	s_delay_alu instid0(VALU_DEP_2) | instskip(NEXT) | instid1(VALU_DEP_2)
	v_cmp_ge_i32_e64 s10, v67, v6
	v_cmp_lt_i32_e64 s12, v66, v7
	s_or_b32 s10, s10, s11
	s_wait_alu 0xfffe
	s_and_b32 s10, s12, s10
	s_wait_alu 0xfffe
	s_xor_b32 s11, s10, -1
	s_wait_alu 0xfffe
	s_and_saveexec_b32 s12, s11
	s_wait_alu 0xfffe
	s_xor_b32 s11, exec_lo, s12
; %bb.55:                               ;   in Loop: Header=BB18_2 Depth=1
	v_lshlrev_b32_e32 v64, 2, v67
	ds_load_b32 v64, v64 offset:4
; %bb.56:                               ;   in Loop: Header=BB18_2 Depth=1
	s_wait_alu 0xfffe
	s_or_saveexec_b32 s11, s11
	v_mov_b32_e32 v65, v63
	s_wait_alu 0xfffe
	s_xor_b32 exec_lo, exec_lo, s11
	s_cbranch_execz .LBB18_58
; %bb.57:                               ;   in Loop: Header=BB18_2 Depth=1
	s_wait_dscnt 0x0
	v_lshlrev_b32_e32 v64, 2, v66
	ds_load_b32 v65, v64 offset:4
	v_mov_b32_e32 v64, v62
.LBB18_58:                              ;   in Loop: Header=BB18_2 Depth=1
	s_or_b32 exec_lo, exec_lo, s11
	v_add_nc_u32_e32 v68, 1, v67
	v_add_nc_u32_e32 v70, 1, v66
	s_wait_dscnt 0x0
	v_cmp_lt_i32_e64 s12, v65, v64
	s_delay_alu instid0(VALU_DEP_3) | instskip(NEXT) | instid1(VALU_DEP_3)
	v_cndmask_b32_e64 v69, v68, v67, s10
	v_cndmask_b32_e64 v68, v66, v70, s10
                                        ; implicit-def: $vgpr66
	s_delay_alu instid0(VALU_DEP_2) | instskip(NEXT) | instid1(VALU_DEP_2)
	v_cmp_ge_i32_e64 s11, v69, v6
	v_cmp_lt_i32_e64 s13, v68, v7
	s_or_b32 s11, s11, s12
	s_wait_alu 0xfffe
	s_and_b32 s11, s13, s11
	s_wait_alu 0xfffe
	s_xor_b32 s12, s11, -1
	s_wait_alu 0xfffe
	s_and_saveexec_b32 s13, s12
	s_wait_alu 0xfffe
	s_xor_b32 s12, exec_lo, s13
; %bb.59:                               ;   in Loop: Header=BB18_2 Depth=1
	v_lshlrev_b32_e32 v66, 2, v69
	ds_load_b32 v66, v66 offset:4
; %bb.60:                               ;   in Loop: Header=BB18_2 Depth=1
	s_wait_alu 0xfffe
	s_or_saveexec_b32 s12, s12
	v_mov_b32_e32 v67, v65
	s_wait_alu 0xfffe
	s_xor_b32 exec_lo, exec_lo, s12
	s_cbranch_execz .LBB18_62
; %bb.61:                               ;   in Loop: Header=BB18_2 Depth=1
	s_wait_dscnt 0x0
	v_lshlrev_b32_e32 v66, 2, v68
	ds_load_b32 v67, v66 offset:4
	v_mov_b32_e32 v66, v64
.LBB18_62:                              ;   in Loop: Header=BB18_2 Depth=1
	s_or_b32 exec_lo, exec_lo, s12
	v_add_nc_u32_e32 v70, 1, v69
	v_add_nc_u32_e32 v71, 1, v68
	s_wait_dscnt 0x0
	v_cmp_lt_i32_e64 s13, v67, v66
	s_delay_alu instid0(VALU_DEP_3) | instskip(NEXT) | instid1(VALU_DEP_3)
	v_cndmask_b32_e64 v70, v70, v69, s11
	v_cndmask_b32_e64 v69, v68, v71, s11
                                        ; implicit-def: $vgpr68
	s_delay_alu instid0(VALU_DEP_2) | instskip(NEXT) | instid1(VALU_DEP_2)
	v_cmp_ge_i32_e64 s12, v70, v6
	v_cmp_lt_i32_e64 s14, v69, v7
	s_or_b32 s12, s12, s13
	s_wait_alu 0xfffe
	s_and_b32 s12, s14, s12
	s_wait_alu 0xfffe
	s_xor_b32 s13, s12, -1
	s_wait_alu 0xfffe
	s_and_saveexec_b32 s14, s13
	s_delay_alu instid0(SALU_CYCLE_1)
	s_xor_b32 s13, exec_lo, s14
; %bb.63:                               ;   in Loop: Header=BB18_2 Depth=1
	v_lshlrev_b32_e32 v68, 2, v70
	ds_load_b32 v68, v68 offset:4
; %bb.64:                               ;   in Loop: Header=BB18_2 Depth=1
	s_wait_alu 0xfffe
	s_or_saveexec_b32 s13, s13
	v_mov_b32_e32 v71, v67
	s_wait_alu 0xfffe
	s_xor_b32 exec_lo, exec_lo, s13
	s_cbranch_execz .LBB18_66
; %bb.65:                               ;   in Loop: Header=BB18_2 Depth=1
	s_wait_dscnt 0x0
	v_lshlrev_b32_e32 v68, 2, v69
	ds_load_b32 v71, v68 offset:4
	v_mov_b32_e32 v68, v66
.LBB18_66:                              ;   in Loop: Header=BB18_2 Depth=1
	s_or_b32 exec_lo, exec_lo, s13
	v_add_nc_u32_e32 v72, 1, v70
	v_add_nc_u32_e32 v73, 1, v69
	v_cndmask_b32_e64 v64, v64, v65, s11
	v_cndmask_b32_e64 v62, v62, v63, s10
	;; [unrolled: 1-line block ×5, first 2 shown]
	s_wait_dscnt 0x0
	v_cmp_lt_i32_e64 s9, v71, v68
	v_cndmask_b32_e64 v58, v58, v59, s8
	v_cndmask_b32_e64 v54, v54, v55, s6
	v_cmp_ge_i32_e64 s10, v65, v6
	v_cmp_lt_i32_e64 s8, v63, v7
	v_cndmask_b32_e64 v56, v56, v57, s7
	v_cndmask_b32_e64 v66, v66, v67, s12
	s_wait_loadcnt 0x0
	s_or_b32 s6, s10, s9
	s_barrier_signal -1
	s_wait_alu 0xfffe
	s_and_b32 s6, s8, s6
	s_barrier_wait -1
	s_wait_alu 0xfffe
	v_cndmask_b32_e64 v55, v68, v71, s6
	global_inv scope:SCOPE_SE
	ds_store_2addr_b32 v5, v54, v56 offset1:1
	ds_store_2addr_b32 v5, v58, v60 offset0:2 offset1:3
	ds_store_2addr_b32 v5, v62, v64 offset0:4 offset1:5
	ds_store_2addr_b32 v5, v66, v55 offset0:6 offset1:7
	v_mov_b32_e32 v56, v22
	s_wait_loadcnt_dscnt 0x0
	s_barrier_signal -1
	s_barrier_wait -1
	global_inv scope:SCOPE_SE
	s_and_saveexec_b32 s7, s1
	s_cbranch_execz .LBB18_70
; %bb.67:                               ;   in Loop: Header=BB18_2 Depth=1
	v_mov_b32_e32 v56, v22
	v_mov_b32_e32 v54, v23
	s_mov_b32 s8, 0
.LBB18_68:                              ;   Parent Loop BB18_2 Depth=1
                                        ; =>  This Inner Loop Header: Depth=2
	s_delay_alu instid0(VALU_DEP_1) | instskip(NEXT) | instid1(VALU_DEP_1)
	v_sub_nc_u32_e32 v55, v54, v56
	v_lshrrev_b32_e32 v55, 1, v55
	s_delay_alu instid0(VALU_DEP_1) | instskip(NEXT) | instid1(VALU_DEP_1)
	v_add_nc_u32_e32 v55, v55, v56
	v_not_b32_e32 v57, v55
	v_lshl_add_u32 v58, v55, 2, v24
	v_add_nc_u32_e32 v59, 1, v55
	s_delay_alu instid0(VALU_DEP_3)
	v_lshl_add_u32 v57, v57, 2, v49
	ds_load_b32 v58, v58
	ds_load_b32 v57, v57
	s_wait_dscnt 0x0
	v_cmp_lt_i32_e64 s6, v57, v58
	s_wait_alu 0xf1ff
	s_delay_alu instid0(VALU_DEP_1) | instskip(SKIP_1) | instid1(VALU_DEP_1)
	v_cndmask_b32_e64 v54, v54, v55, s6
	v_cndmask_b32_e64 v56, v59, v56, s6
	v_cmp_ge_i32_e64 s6, v56, v54
	s_wait_alu 0xfffe
	s_or_b32 s8, s6, s8
	s_wait_alu 0xfffe
	s_and_not1_b32 exec_lo, exec_lo, s8
	s_cbranch_execnz .LBB18_68
; %bb.69:                               ;   in Loop: Header=BB18_2 Depth=1
	s_or_b32 exec_lo, exec_lo, s8
.LBB18_70:                              ;   in Loop: Header=BB18_2 Depth=1
	s_wait_alu 0xfffe
	s_or_b32 exec_lo, exec_lo, s7
	v_sub_nc_u32_e32 v58, v26, v56
	v_lshl_add_u32 v57, v56, 2, v24
	v_add_nc_u32_e32 v59, v56, v11
                                        ; implicit-def: $vgpr56
	s_delay_alu instid0(VALU_DEP_3) | instskip(SKIP_1) | instid1(VALU_DEP_3)
	v_lshlrev_b32_e32 v60, 2, v58
	v_cmp_gt_i32_e64 s8, v14, v58
	v_cmp_le_i32_e64 s6, v13, v59
	ds_load_b32 v54, v57
	ds_load_b32 v55, v60
	s_wait_dscnt 0x0
	v_cmp_lt_i32_e64 s7, v55, v54
	s_or_b32 s6, s6, s7
	s_wait_alu 0xfffe
	s_and_b32 s6, s8, s6
	s_wait_alu 0xfffe
	s_xor_b32 s7, s6, -1
	s_wait_alu 0xfffe
	s_and_saveexec_b32 s8, s7
	s_wait_alu 0xfffe
	s_xor_b32 s7, exec_lo, s8
; %bb.71:                               ;   in Loop: Header=BB18_2 Depth=1
	ds_load_b32 v56, v57 offset:4
                                        ; implicit-def: $vgpr60
; %bb.72:                               ;   in Loop: Header=BB18_2 Depth=1
	s_wait_alu 0xfffe
	s_or_saveexec_b32 s7, s7
	v_mov_b32_e32 v57, v55
	s_wait_alu 0xfffe
	s_xor_b32 exec_lo, exec_lo, s7
	s_cbranch_execz .LBB18_74
; %bb.73:                               ;   in Loop: Header=BB18_2 Depth=1
	ds_load_b32 v57, v60 offset:4
	s_wait_dscnt 0x1
	v_mov_b32_e32 v56, v54
.LBB18_74:                              ;   in Loop: Header=BB18_2 Depth=1
	s_or_b32 exec_lo, exec_lo, s7
	v_add_nc_u32_e32 v60, 1, v59
	v_add_nc_u32_e32 v62, 1, v58
	s_wait_dscnt 0x0
	v_cmp_lt_i32_e64 s8, v57, v56
	s_delay_alu instid0(VALU_DEP_3) | instskip(NEXT) | instid1(VALU_DEP_3)
	v_cndmask_b32_e64 v61, v60, v59, s6
	v_cndmask_b32_e64 v60, v58, v62, s6
                                        ; implicit-def: $vgpr58
	s_delay_alu instid0(VALU_DEP_2) | instskip(NEXT) | instid1(VALU_DEP_2)
	v_cmp_ge_i32_e64 s7, v61, v13
	v_cmp_lt_i32_e64 s9, v60, v14
	s_or_b32 s7, s7, s8
	s_wait_alu 0xfffe
	s_and_b32 s7, s9, s7
	s_wait_alu 0xfffe
	s_xor_b32 s8, s7, -1
	s_wait_alu 0xfffe
	s_and_saveexec_b32 s9, s8
	s_wait_alu 0xfffe
	s_xor_b32 s8, exec_lo, s9
; %bb.75:                               ;   in Loop: Header=BB18_2 Depth=1
	v_lshlrev_b32_e32 v58, 2, v61
	ds_load_b32 v58, v58 offset:4
; %bb.76:                               ;   in Loop: Header=BB18_2 Depth=1
	s_wait_alu 0xfffe
	s_or_saveexec_b32 s8, s8
	v_mov_b32_e32 v59, v57
	s_wait_alu 0xfffe
	s_xor_b32 exec_lo, exec_lo, s8
	s_cbranch_execz .LBB18_78
; %bb.77:                               ;   in Loop: Header=BB18_2 Depth=1
	s_wait_dscnt 0x0
	v_lshlrev_b32_e32 v58, 2, v60
	ds_load_b32 v59, v58 offset:4
	v_mov_b32_e32 v58, v56
.LBB18_78:                              ;   in Loop: Header=BB18_2 Depth=1
	s_or_b32 exec_lo, exec_lo, s8
	v_add_nc_u32_e32 v62, 1, v61
	v_add_nc_u32_e32 v64, 1, v60
	s_wait_dscnt 0x0
	v_cmp_lt_i32_e64 s9, v59, v58
	s_delay_alu instid0(VALU_DEP_3) | instskip(NEXT) | instid1(VALU_DEP_3)
	v_cndmask_b32_e64 v63, v62, v61, s7
	v_cndmask_b32_e64 v62, v60, v64, s7
                                        ; implicit-def: $vgpr60
	s_delay_alu instid0(VALU_DEP_2) | instskip(NEXT) | instid1(VALU_DEP_2)
	v_cmp_ge_i32_e64 s8, v63, v13
	v_cmp_lt_i32_e64 s10, v62, v14
	s_or_b32 s8, s8, s9
	s_wait_alu 0xfffe
	s_and_b32 s8, s10, s8
	s_wait_alu 0xfffe
	s_xor_b32 s9, s8, -1
	s_wait_alu 0xfffe
	s_and_saveexec_b32 s10, s9
	s_wait_alu 0xfffe
	s_xor_b32 s9, exec_lo, s10
; %bb.79:                               ;   in Loop: Header=BB18_2 Depth=1
	v_lshlrev_b32_e32 v60, 2, v63
	ds_load_b32 v60, v60 offset:4
; %bb.80:                               ;   in Loop: Header=BB18_2 Depth=1
	s_wait_alu 0xfffe
	s_or_saveexec_b32 s9, s9
	v_mov_b32_e32 v61, v59
	s_wait_alu 0xfffe
	s_xor_b32 exec_lo, exec_lo, s9
	s_cbranch_execz .LBB18_82
; %bb.81:                               ;   in Loop: Header=BB18_2 Depth=1
	s_wait_dscnt 0x0
	v_lshlrev_b32_e32 v60, 2, v62
	ds_load_b32 v61, v60 offset:4
	v_mov_b32_e32 v60, v58
.LBB18_82:                              ;   in Loop: Header=BB18_2 Depth=1
	s_or_b32 exec_lo, exec_lo, s9
	v_add_nc_u32_e32 v64, 1, v63
	v_add_nc_u32_e32 v66, 1, v62
	s_wait_dscnt 0x0
	v_cmp_lt_i32_e64 s10, v61, v60
	s_delay_alu instid0(VALU_DEP_3) | instskip(NEXT) | instid1(VALU_DEP_3)
	v_cndmask_b32_e64 v65, v64, v63, s8
	v_cndmask_b32_e64 v64, v62, v66, s8
                                        ; implicit-def: $vgpr62
	s_delay_alu instid0(VALU_DEP_2) | instskip(NEXT) | instid1(VALU_DEP_2)
	v_cmp_ge_i32_e64 s9, v65, v13
	v_cmp_lt_i32_e64 s11, v64, v14
	s_or_b32 s9, s9, s10
	s_wait_alu 0xfffe
	s_and_b32 s9, s11, s9
	s_wait_alu 0xfffe
	s_xor_b32 s10, s9, -1
	s_wait_alu 0xfffe
	s_and_saveexec_b32 s11, s10
	s_wait_alu 0xfffe
	s_xor_b32 s10, exec_lo, s11
; %bb.83:                               ;   in Loop: Header=BB18_2 Depth=1
	v_lshlrev_b32_e32 v62, 2, v65
	ds_load_b32 v62, v62 offset:4
; %bb.84:                               ;   in Loop: Header=BB18_2 Depth=1
	s_wait_alu 0xfffe
	s_or_saveexec_b32 s10, s10
	v_mov_b32_e32 v63, v61
	s_wait_alu 0xfffe
	s_xor_b32 exec_lo, exec_lo, s10
	s_cbranch_execz .LBB18_86
; %bb.85:                               ;   in Loop: Header=BB18_2 Depth=1
	s_wait_dscnt 0x0
	v_lshlrev_b32_e32 v62, 2, v64
	ds_load_b32 v63, v62 offset:4
	v_mov_b32_e32 v62, v60
.LBB18_86:                              ;   in Loop: Header=BB18_2 Depth=1
	s_or_b32 exec_lo, exec_lo, s10
	v_add_nc_u32_e32 v66, 1, v65
	v_add_nc_u32_e32 v68, 1, v64
	s_wait_dscnt 0x0
	v_cmp_lt_i32_e64 s11, v63, v62
	s_delay_alu instid0(VALU_DEP_3) | instskip(NEXT) | instid1(VALU_DEP_3)
	v_cndmask_b32_e64 v67, v66, v65, s9
	v_cndmask_b32_e64 v66, v64, v68, s9
                                        ; implicit-def: $vgpr64
	s_delay_alu instid0(VALU_DEP_2) | instskip(NEXT) | instid1(VALU_DEP_2)
	v_cmp_ge_i32_e64 s10, v67, v13
	v_cmp_lt_i32_e64 s12, v66, v14
	s_or_b32 s10, s10, s11
	s_wait_alu 0xfffe
	s_and_b32 s10, s12, s10
	s_wait_alu 0xfffe
	s_xor_b32 s11, s10, -1
	s_wait_alu 0xfffe
	s_and_saveexec_b32 s12, s11
	s_wait_alu 0xfffe
	s_xor_b32 s11, exec_lo, s12
; %bb.87:                               ;   in Loop: Header=BB18_2 Depth=1
	v_lshlrev_b32_e32 v64, 2, v67
	ds_load_b32 v64, v64 offset:4
; %bb.88:                               ;   in Loop: Header=BB18_2 Depth=1
	s_wait_alu 0xfffe
	s_or_saveexec_b32 s11, s11
	v_mov_b32_e32 v65, v63
	s_wait_alu 0xfffe
	s_xor_b32 exec_lo, exec_lo, s11
	s_cbranch_execz .LBB18_90
; %bb.89:                               ;   in Loop: Header=BB18_2 Depth=1
	s_wait_dscnt 0x0
	v_lshlrev_b32_e32 v64, 2, v66
	ds_load_b32 v65, v64 offset:4
	v_mov_b32_e32 v64, v62
.LBB18_90:                              ;   in Loop: Header=BB18_2 Depth=1
	s_or_b32 exec_lo, exec_lo, s11
	v_add_nc_u32_e32 v68, 1, v67
	v_add_nc_u32_e32 v70, 1, v66
	s_wait_dscnt 0x0
	v_cmp_lt_i32_e64 s12, v65, v64
	s_delay_alu instid0(VALU_DEP_3) | instskip(NEXT) | instid1(VALU_DEP_3)
	v_cndmask_b32_e64 v69, v68, v67, s10
	v_cndmask_b32_e64 v68, v66, v70, s10
                                        ; implicit-def: $vgpr66
	s_delay_alu instid0(VALU_DEP_2) | instskip(NEXT) | instid1(VALU_DEP_2)
	v_cmp_ge_i32_e64 s11, v69, v13
	v_cmp_lt_i32_e64 s13, v68, v14
	s_or_b32 s11, s11, s12
	s_wait_alu 0xfffe
	s_and_b32 s11, s13, s11
	s_wait_alu 0xfffe
	s_xor_b32 s12, s11, -1
	s_wait_alu 0xfffe
	s_and_saveexec_b32 s13, s12
	s_wait_alu 0xfffe
	s_xor_b32 s12, exec_lo, s13
; %bb.91:                               ;   in Loop: Header=BB18_2 Depth=1
	v_lshlrev_b32_e32 v66, 2, v69
	ds_load_b32 v66, v66 offset:4
; %bb.92:                               ;   in Loop: Header=BB18_2 Depth=1
	s_wait_alu 0xfffe
	s_or_saveexec_b32 s12, s12
	v_mov_b32_e32 v67, v65
	s_wait_alu 0xfffe
	s_xor_b32 exec_lo, exec_lo, s12
	s_cbranch_execz .LBB18_94
; %bb.93:                               ;   in Loop: Header=BB18_2 Depth=1
	s_wait_dscnt 0x0
	v_lshlrev_b32_e32 v66, 2, v68
	ds_load_b32 v67, v66 offset:4
	v_mov_b32_e32 v66, v64
.LBB18_94:                              ;   in Loop: Header=BB18_2 Depth=1
	s_or_b32 exec_lo, exec_lo, s12
	v_add_nc_u32_e32 v70, 1, v69
	v_add_nc_u32_e32 v71, 1, v68
	s_wait_dscnt 0x0
	v_cmp_lt_i32_e64 s13, v67, v66
	s_delay_alu instid0(VALU_DEP_3) | instskip(NEXT) | instid1(VALU_DEP_3)
	v_cndmask_b32_e64 v70, v70, v69, s11
	v_cndmask_b32_e64 v69, v68, v71, s11
                                        ; implicit-def: $vgpr68
	s_delay_alu instid0(VALU_DEP_2) | instskip(NEXT) | instid1(VALU_DEP_2)
	v_cmp_ge_i32_e64 s12, v70, v13
	v_cmp_lt_i32_e64 s14, v69, v14
	s_or_b32 s12, s12, s13
	s_wait_alu 0xfffe
	s_and_b32 s12, s14, s12
	s_wait_alu 0xfffe
	s_xor_b32 s13, s12, -1
	s_wait_alu 0xfffe
	s_and_saveexec_b32 s14, s13
	s_delay_alu instid0(SALU_CYCLE_1)
	s_xor_b32 s13, exec_lo, s14
; %bb.95:                               ;   in Loop: Header=BB18_2 Depth=1
	v_lshlrev_b32_e32 v68, 2, v70
	ds_load_b32 v68, v68 offset:4
; %bb.96:                               ;   in Loop: Header=BB18_2 Depth=1
	s_wait_alu 0xfffe
	s_or_saveexec_b32 s13, s13
	v_mov_b32_e32 v71, v67
	s_wait_alu 0xfffe
	s_xor_b32 exec_lo, exec_lo, s13
	s_cbranch_execz .LBB18_98
; %bb.97:                               ;   in Loop: Header=BB18_2 Depth=1
	s_wait_dscnt 0x0
	v_lshlrev_b32_e32 v68, 2, v69
	ds_load_b32 v71, v68 offset:4
	v_mov_b32_e32 v68, v66
.LBB18_98:                              ;   in Loop: Header=BB18_2 Depth=1
	s_or_b32 exec_lo, exec_lo, s13
	v_add_nc_u32_e32 v72, 1, v70
	v_add_nc_u32_e32 v73, 1, v69
	v_cndmask_b32_e64 v64, v64, v65, s11
	v_cndmask_b32_e64 v62, v62, v63, s10
	;; [unrolled: 1-line block ×5, first 2 shown]
	s_wait_dscnt 0x0
	v_cmp_lt_i32_e64 s9, v71, v68
	v_cndmask_b32_e64 v58, v58, v59, s8
	v_cndmask_b32_e64 v54, v54, v55, s6
	v_cmp_ge_i32_e64 s10, v65, v13
	v_cmp_lt_i32_e64 s8, v63, v14
	v_cndmask_b32_e64 v56, v56, v57, s7
	v_cndmask_b32_e64 v66, v66, v67, s12
	s_wait_loadcnt 0x0
	s_or_b32 s6, s10, s9
	s_barrier_signal -1
	s_wait_alu 0xfffe
	s_and_b32 s6, s8, s6
	s_barrier_wait -1
	s_wait_alu 0xfffe
	v_cndmask_b32_e64 v55, v68, v71, s6
	global_inv scope:SCOPE_SE
	ds_store_2addr_b32 v5, v54, v56 offset1:1
	ds_store_2addr_b32 v5, v58, v60 offset0:2 offset1:3
	ds_store_2addr_b32 v5, v62, v64 offset0:4 offset1:5
	;; [unrolled: 1-line block ×3, first 2 shown]
	v_mov_b32_e32 v56, v29
	s_wait_loadcnt_dscnt 0x0
	s_barrier_signal -1
	s_barrier_wait -1
	global_inv scope:SCOPE_SE
	s_and_saveexec_b32 s7, s2
	s_cbranch_execz .LBB18_102
; %bb.99:                               ;   in Loop: Header=BB18_2 Depth=1
	v_mov_b32_e32 v56, v29
	v_mov_b32_e32 v54, v31
	s_mov_b32 s8, 0
.LBB18_100:                             ;   Parent Loop BB18_2 Depth=1
                                        ; =>  This Inner Loop Header: Depth=2
	s_delay_alu instid0(VALU_DEP_1) | instskip(NEXT) | instid1(VALU_DEP_1)
	v_sub_nc_u32_e32 v55, v54, v56
	v_lshrrev_b32_e32 v55, 1, v55
	s_delay_alu instid0(VALU_DEP_1) | instskip(NEXT) | instid1(VALU_DEP_1)
	v_add_nc_u32_e32 v55, v55, v56
	v_not_b32_e32 v57, v55
	v_lshl_add_u32 v58, v55, 2, v32
	v_add_nc_u32_e32 v59, 1, v55
	s_delay_alu instid0(VALU_DEP_3)
	v_lshl_add_u32 v57, v57, 2, v50
	ds_load_b32 v58, v58
	ds_load_b32 v57, v57
	s_wait_dscnt 0x0
	v_cmp_lt_i32_e64 s6, v57, v58
	s_wait_alu 0xf1ff
	s_delay_alu instid0(VALU_DEP_1) | instskip(SKIP_1) | instid1(VALU_DEP_1)
	v_cndmask_b32_e64 v54, v54, v55, s6
	v_cndmask_b32_e64 v56, v59, v56, s6
	v_cmp_ge_i32_e64 s6, v56, v54
	s_wait_alu 0xfffe
	s_or_b32 s8, s6, s8
	s_wait_alu 0xfffe
	s_and_not1_b32 exec_lo, exec_lo, s8
	s_cbranch_execnz .LBB18_100
; %bb.101:                              ;   in Loop: Header=BB18_2 Depth=1
	s_or_b32 exec_lo, exec_lo, s8
.LBB18_102:                             ;   in Loop: Header=BB18_2 Depth=1
	s_wait_alu 0xfffe
	s_or_b32 exec_lo, exec_lo, s7
	v_sub_nc_u32_e32 v58, v37, v56
	v_lshl_add_u32 v57, v56, 2, v32
	v_add_nc_u32_e32 v59, v56, v18
                                        ; implicit-def: $vgpr56
	s_delay_alu instid0(VALU_DEP_3) | instskip(SKIP_1) | instid1(VALU_DEP_3)
	v_lshlrev_b32_e32 v60, 2, v58
	v_cmp_gt_i32_e64 s8, v21, v58
	v_cmp_le_i32_e64 s6, v20, v59
	ds_load_b32 v54, v57
	ds_load_b32 v55, v60
	s_wait_dscnt 0x0
	v_cmp_lt_i32_e64 s7, v55, v54
	s_or_b32 s6, s6, s7
	s_wait_alu 0xfffe
	s_and_b32 s6, s8, s6
	s_wait_alu 0xfffe
	s_xor_b32 s7, s6, -1
	s_wait_alu 0xfffe
	s_and_saveexec_b32 s8, s7
	s_wait_alu 0xfffe
	s_xor_b32 s7, exec_lo, s8
; %bb.103:                              ;   in Loop: Header=BB18_2 Depth=1
	ds_load_b32 v56, v57 offset:4
                                        ; implicit-def: $vgpr60
; %bb.104:                              ;   in Loop: Header=BB18_2 Depth=1
	s_wait_alu 0xfffe
	s_or_saveexec_b32 s7, s7
	v_mov_b32_e32 v57, v55
	s_wait_alu 0xfffe
	s_xor_b32 exec_lo, exec_lo, s7
	s_cbranch_execz .LBB18_106
; %bb.105:                              ;   in Loop: Header=BB18_2 Depth=1
	ds_load_b32 v57, v60 offset:4
	s_wait_dscnt 0x1
	v_mov_b32_e32 v56, v54
.LBB18_106:                             ;   in Loop: Header=BB18_2 Depth=1
	s_or_b32 exec_lo, exec_lo, s7
	v_add_nc_u32_e32 v60, 1, v59
	v_add_nc_u32_e32 v62, 1, v58
	s_wait_dscnt 0x0
	v_cmp_lt_i32_e64 s8, v57, v56
	s_delay_alu instid0(VALU_DEP_3) | instskip(NEXT) | instid1(VALU_DEP_3)
	v_cndmask_b32_e64 v61, v60, v59, s6
	v_cndmask_b32_e64 v60, v58, v62, s6
                                        ; implicit-def: $vgpr58
	s_delay_alu instid0(VALU_DEP_2) | instskip(NEXT) | instid1(VALU_DEP_2)
	v_cmp_ge_i32_e64 s7, v61, v20
	v_cmp_lt_i32_e64 s9, v60, v21
	s_or_b32 s7, s7, s8
	s_wait_alu 0xfffe
	s_and_b32 s7, s9, s7
	s_wait_alu 0xfffe
	s_xor_b32 s8, s7, -1
	s_wait_alu 0xfffe
	s_and_saveexec_b32 s9, s8
	s_wait_alu 0xfffe
	s_xor_b32 s8, exec_lo, s9
; %bb.107:                              ;   in Loop: Header=BB18_2 Depth=1
	v_lshlrev_b32_e32 v58, 2, v61
	ds_load_b32 v58, v58 offset:4
; %bb.108:                              ;   in Loop: Header=BB18_2 Depth=1
	s_wait_alu 0xfffe
	s_or_saveexec_b32 s8, s8
	v_mov_b32_e32 v59, v57
	s_wait_alu 0xfffe
	s_xor_b32 exec_lo, exec_lo, s8
	s_cbranch_execz .LBB18_110
; %bb.109:                              ;   in Loop: Header=BB18_2 Depth=1
	s_wait_dscnt 0x0
	v_lshlrev_b32_e32 v58, 2, v60
	ds_load_b32 v59, v58 offset:4
	v_mov_b32_e32 v58, v56
.LBB18_110:                             ;   in Loop: Header=BB18_2 Depth=1
	s_or_b32 exec_lo, exec_lo, s8
	v_add_nc_u32_e32 v62, 1, v61
	v_add_nc_u32_e32 v64, 1, v60
	s_wait_dscnt 0x0
	v_cmp_lt_i32_e64 s9, v59, v58
	s_delay_alu instid0(VALU_DEP_3) | instskip(NEXT) | instid1(VALU_DEP_3)
	v_cndmask_b32_e64 v63, v62, v61, s7
	v_cndmask_b32_e64 v62, v60, v64, s7
                                        ; implicit-def: $vgpr60
	s_delay_alu instid0(VALU_DEP_2) | instskip(NEXT) | instid1(VALU_DEP_2)
	v_cmp_ge_i32_e64 s8, v63, v20
	v_cmp_lt_i32_e64 s10, v62, v21
	s_or_b32 s8, s8, s9
	s_wait_alu 0xfffe
	s_and_b32 s8, s10, s8
	s_wait_alu 0xfffe
	s_xor_b32 s9, s8, -1
	s_wait_alu 0xfffe
	s_and_saveexec_b32 s10, s9
	s_wait_alu 0xfffe
	s_xor_b32 s9, exec_lo, s10
; %bb.111:                              ;   in Loop: Header=BB18_2 Depth=1
	v_lshlrev_b32_e32 v60, 2, v63
	ds_load_b32 v60, v60 offset:4
; %bb.112:                              ;   in Loop: Header=BB18_2 Depth=1
	s_wait_alu 0xfffe
	s_or_saveexec_b32 s9, s9
	v_mov_b32_e32 v61, v59
	s_wait_alu 0xfffe
	s_xor_b32 exec_lo, exec_lo, s9
	s_cbranch_execz .LBB18_114
; %bb.113:                              ;   in Loop: Header=BB18_2 Depth=1
	s_wait_dscnt 0x0
	v_lshlrev_b32_e32 v60, 2, v62
	ds_load_b32 v61, v60 offset:4
	v_mov_b32_e32 v60, v58
.LBB18_114:                             ;   in Loop: Header=BB18_2 Depth=1
	s_or_b32 exec_lo, exec_lo, s9
	v_add_nc_u32_e32 v64, 1, v63
	v_add_nc_u32_e32 v66, 1, v62
	s_wait_dscnt 0x0
	v_cmp_lt_i32_e64 s10, v61, v60
	s_delay_alu instid0(VALU_DEP_3) | instskip(NEXT) | instid1(VALU_DEP_3)
	v_cndmask_b32_e64 v65, v64, v63, s8
	v_cndmask_b32_e64 v64, v62, v66, s8
                                        ; implicit-def: $vgpr62
	s_delay_alu instid0(VALU_DEP_2) | instskip(NEXT) | instid1(VALU_DEP_2)
	v_cmp_ge_i32_e64 s9, v65, v20
	v_cmp_lt_i32_e64 s11, v64, v21
	s_or_b32 s9, s9, s10
	s_wait_alu 0xfffe
	s_and_b32 s9, s11, s9
	s_wait_alu 0xfffe
	s_xor_b32 s10, s9, -1
	s_wait_alu 0xfffe
	s_and_saveexec_b32 s11, s10
	s_wait_alu 0xfffe
	s_xor_b32 s10, exec_lo, s11
; %bb.115:                              ;   in Loop: Header=BB18_2 Depth=1
	v_lshlrev_b32_e32 v62, 2, v65
	ds_load_b32 v62, v62 offset:4
; %bb.116:                              ;   in Loop: Header=BB18_2 Depth=1
	s_wait_alu 0xfffe
	s_or_saveexec_b32 s10, s10
	v_mov_b32_e32 v63, v61
	s_wait_alu 0xfffe
	s_xor_b32 exec_lo, exec_lo, s10
	s_cbranch_execz .LBB18_118
; %bb.117:                              ;   in Loop: Header=BB18_2 Depth=1
	s_wait_dscnt 0x0
	v_lshlrev_b32_e32 v62, 2, v64
	ds_load_b32 v63, v62 offset:4
	v_mov_b32_e32 v62, v60
.LBB18_118:                             ;   in Loop: Header=BB18_2 Depth=1
	s_or_b32 exec_lo, exec_lo, s10
	v_add_nc_u32_e32 v66, 1, v65
	v_add_nc_u32_e32 v68, 1, v64
	s_wait_dscnt 0x0
	v_cmp_lt_i32_e64 s11, v63, v62
	s_delay_alu instid0(VALU_DEP_3) | instskip(NEXT) | instid1(VALU_DEP_3)
	v_cndmask_b32_e64 v67, v66, v65, s9
	v_cndmask_b32_e64 v66, v64, v68, s9
                                        ; implicit-def: $vgpr64
	s_delay_alu instid0(VALU_DEP_2) | instskip(NEXT) | instid1(VALU_DEP_2)
	v_cmp_ge_i32_e64 s10, v67, v20
	v_cmp_lt_i32_e64 s12, v66, v21
	s_or_b32 s10, s10, s11
	s_wait_alu 0xfffe
	s_and_b32 s10, s12, s10
	s_wait_alu 0xfffe
	s_xor_b32 s11, s10, -1
	s_wait_alu 0xfffe
	s_and_saveexec_b32 s12, s11
	s_wait_alu 0xfffe
	s_xor_b32 s11, exec_lo, s12
; %bb.119:                              ;   in Loop: Header=BB18_2 Depth=1
	v_lshlrev_b32_e32 v64, 2, v67
	ds_load_b32 v64, v64 offset:4
; %bb.120:                              ;   in Loop: Header=BB18_2 Depth=1
	s_wait_alu 0xfffe
	s_or_saveexec_b32 s11, s11
	v_mov_b32_e32 v65, v63
	s_wait_alu 0xfffe
	s_xor_b32 exec_lo, exec_lo, s11
	s_cbranch_execz .LBB18_122
; %bb.121:                              ;   in Loop: Header=BB18_2 Depth=1
	s_wait_dscnt 0x0
	v_lshlrev_b32_e32 v64, 2, v66
	ds_load_b32 v65, v64 offset:4
	v_mov_b32_e32 v64, v62
.LBB18_122:                             ;   in Loop: Header=BB18_2 Depth=1
	s_or_b32 exec_lo, exec_lo, s11
	v_add_nc_u32_e32 v68, 1, v67
	v_add_nc_u32_e32 v70, 1, v66
	s_wait_dscnt 0x0
	v_cmp_lt_i32_e64 s12, v65, v64
	s_delay_alu instid0(VALU_DEP_3) | instskip(NEXT) | instid1(VALU_DEP_3)
	v_cndmask_b32_e64 v69, v68, v67, s10
	v_cndmask_b32_e64 v68, v66, v70, s10
                                        ; implicit-def: $vgpr66
	s_delay_alu instid0(VALU_DEP_2) | instskip(NEXT) | instid1(VALU_DEP_2)
	v_cmp_ge_i32_e64 s11, v69, v20
	v_cmp_lt_i32_e64 s13, v68, v21
	s_or_b32 s11, s11, s12
	s_wait_alu 0xfffe
	s_and_b32 s11, s13, s11
	s_wait_alu 0xfffe
	s_xor_b32 s12, s11, -1
	s_wait_alu 0xfffe
	s_and_saveexec_b32 s13, s12
	s_wait_alu 0xfffe
	s_xor_b32 s12, exec_lo, s13
; %bb.123:                              ;   in Loop: Header=BB18_2 Depth=1
	v_lshlrev_b32_e32 v66, 2, v69
	ds_load_b32 v66, v66 offset:4
; %bb.124:                              ;   in Loop: Header=BB18_2 Depth=1
	s_wait_alu 0xfffe
	s_or_saveexec_b32 s12, s12
	v_mov_b32_e32 v67, v65
	s_wait_alu 0xfffe
	s_xor_b32 exec_lo, exec_lo, s12
	s_cbranch_execz .LBB18_126
; %bb.125:                              ;   in Loop: Header=BB18_2 Depth=1
	s_wait_dscnt 0x0
	v_lshlrev_b32_e32 v66, 2, v68
	ds_load_b32 v67, v66 offset:4
	v_mov_b32_e32 v66, v64
.LBB18_126:                             ;   in Loop: Header=BB18_2 Depth=1
	s_or_b32 exec_lo, exec_lo, s12
	v_add_nc_u32_e32 v70, 1, v69
	v_add_nc_u32_e32 v71, 1, v68
	s_wait_dscnt 0x0
	v_cmp_lt_i32_e64 s13, v67, v66
	s_delay_alu instid0(VALU_DEP_3) | instskip(NEXT) | instid1(VALU_DEP_3)
	v_cndmask_b32_e64 v70, v70, v69, s11
	v_cndmask_b32_e64 v69, v68, v71, s11
                                        ; implicit-def: $vgpr68
	s_delay_alu instid0(VALU_DEP_2) | instskip(NEXT) | instid1(VALU_DEP_2)
	v_cmp_ge_i32_e64 s12, v70, v20
	v_cmp_lt_i32_e64 s14, v69, v21
	s_or_b32 s12, s12, s13
	s_wait_alu 0xfffe
	s_and_b32 s12, s14, s12
	s_wait_alu 0xfffe
	s_xor_b32 s13, s12, -1
	s_wait_alu 0xfffe
	s_and_saveexec_b32 s14, s13
	s_delay_alu instid0(SALU_CYCLE_1)
	s_xor_b32 s13, exec_lo, s14
; %bb.127:                              ;   in Loop: Header=BB18_2 Depth=1
	v_lshlrev_b32_e32 v68, 2, v70
	ds_load_b32 v68, v68 offset:4
; %bb.128:                              ;   in Loop: Header=BB18_2 Depth=1
	s_wait_alu 0xfffe
	s_or_saveexec_b32 s13, s13
	v_mov_b32_e32 v71, v67
	s_wait_alu 0xfffe
	s_xor_b32 exec_lo, exec_lo, s13
	s_cbranch_execz .LBB18_130
; %bb.129:                              ;   in Loop: Header=BB18_2 Depth=1
	s_wait_dscnt 0x0
	v_lshlrev_b32_e32 v68, 2, v69
	ds_load_b32 v71, v68 offset:4
	v_mov_b32_e32 v68, v66
.LBB18_130:                             ;   in Loop: Header=BB18_2 Depth=1
	s_or_b32 exec_lo, exec_lo, s13
	v_add_nc_u32_e32 v72, 1, v70
	v_add_nc_u32_e32 v73, 1, v69
	v_cndmask_b32_e64 v64, v64, v65, s11
	v_cndmask_b32_e64 v62, v62, v63, s10
	;; [unrolled: 1-line block ×5, first 2 shown]
	s_wait_dscnt 0x0
	v_cmp_lt_i32_e64 s9, v71, v68
	v_cndmask_b32_e64 v58, v58, v59, s8
	v_cndmask_b32_e64 v54, v54, v55, s6
	v_cmp_ge_i32_e64 s10, v65, v20
	v_cmp_lt_i32_e64 s8, v63, v21
	v_cndmask_b32_e64 v56, v56, v57, s7
	v_cndmask_b32_e64 v66, v66, v67, s12
	s_wait_loadcnt 0x0
	s_or_b32 s6, s10, s9
	s_barrier_signal -1
	s_wait_alu 0xfffe
	s_and_b32 s6, s8, s6
	s_barrier_wait -1
	s_wait_alu 0xfffe
	v_cndmask_b32_e64 v55, v68, v71, s6
	global_inv scope:SCOPE_SE
	ds_store_2addr_b32 v5, v54, v56 offset1:1
	ds_store_2addr_b32 v5, v58, v60 offset0:2 offset1:3
	ds_store_2addr_b32 v5, v62, v64 offset0:4 offset1:5
	ds_store_2addr_b32 v5, v66, v55 offset0:6 offset1:7
	v_mov_b32_e32 v56, v35
	s_wait_loadcnt_dscnt 0x0
	s_barrier_signal -1
	s_barrier_wait -1
	global_inv scope:SCOPE_SE
	s_and_saveexec_b32 s7, s3
	s_cbranch_execz .LBB18_134
; %bb.131:                              ;   in Loop: Header=BB18_2 Depth=1
	v_mov_b32_e32 v56, v35
	v_mov_b32_e32 v54, v36
	s_mov_b32 s8, 0
.LBB18_132:                             ;   Parent Loop BB18_2 Depth=1
                                        ; =>  This Inner Loop Header: Depth=2
	s_delay_alu instid0(VALU_DEP_1) | instskip(NEXT) | instid1(VALU_DEP_1)
	v_sub_nc_u32_e32 v55, v54, v56
	v_lshrrev_b32_e32 v55, 1, v55
	s_delay_alu instid0(VALU_DEP_1) | instskip(NEXT) | instid1(VALU_DEP_1)
	v_add_nc_u32_e32 v55, v55, v56
	v_not_b32_e32 v57, v55
	v_lshl_add_u32 v58, v55, 2, v38
	v_add_nc_u32_e32 v59, 1, v55
	s_delay_alu instid0(VALU_DEP_3)
	v_lshl_add_u32 v57, v57, 2, v51
	ds_load_b32 v58, v58
	ds_load_b32 v57, v57
	s_wait_dscnt 0x0
	v_cmp_lt_i32_e64 s6, v57, v58
	s_wait_alu 0xf1ff
	s_delay_alu instid0(VALU_DEP_1) | instskip(SKIP_1) | instid1(VALU_DEP_1)
	v_cndmask_b32_e64 v54, v54, v55, s6
	v_cndmask_b32_e64 v56, v59, v56, s6
	v_cmp_ge_i32_e64 s6, v56, v54
	s_wait_alu 0xfffe
	s_or_b32 s8, s6, s8
	s_wait_alu 0xfffe
	s_and_not1_b32 exec_lo, exec_lo, s8
	s_cbranch_execnz .LBB18_132
; %bb.133:                              ;   in Loop: Header=BB18_2 Depth=1
	s_or_b32 exec_lo, exec_lo, s8
.LBB18_134:                             ;   in Loop: Header=BB18_2 Depth=1
	s_wait_alu 0xfffe
	s_or_b32 exec_lo, exec_lo, s7
	v_sub_nc_u32_e32 v58, v39, v56
	v_lshl_add_u32 v57, v56, 2, v38
	v_add_nc_u32_e32 v59, v56, v25
                                        ; implicit-def: $vgpr56
	s_delay_alu instid0(VALU_DEP_3) | instskip(SKIP_1) | instid1(VALU_DEP_3)
	v_lshlrev_b32_e32 v60, 2, v58
	v_cmp_gt_i32_e64 s8, v28, v58
	v_cmp_le_i32_e64 s6, v27, v59
	ds_load_b32 v54, v57
	ds_load_b32 v55, v60
	s_wait_dscnt 0x0
	v_cmp_lt_i32_e64 s7, v55, v54
	s_or_b32 s6, s6, s7
	s_wait_alu 0xfffe
	s_and_b32 s6, s8, s6
	s_wait_alu 0xfffe
	s_xor_b32 s7, s6, -1
	s_wait_alu 0xfffe
	s_and_saveexec_b32 s8, s7
	s_wait_alu 0xfffe
	s_xor_b32 s7, exec_lo, s8
; %bb.135:                              ;   in Loop: Header=BB18_2 Depth=1
	ds_load_b32 v56, v57 offset:4
                                        ; implicit-def: $vgpr60
; %bb.136:                              ;   in Loop: Header=BB18_2 Depth=1
	s_wait_alu 0xfffe
	s_or_saveexec_b32 s7, s7
	v_mov_b32_e32 v57, v55
	s_wait_alu 0xfffe
	s_xor_b32 exec_lo, exec_lo, s7
	s_cbranch_execz .LBB18_138
; %bb.137:                              ;   in Loop: Header=BB18_2 Depth=1
	ds_load_b32 v57, v60 offset:4
	s_wait_dscnt 0x1
	v_mov_b32_e32 v56, v54
.LBB18_138:                             ;   in Loop: Header=BB18_2 Depth=1
	s_or_b32 exec_lo, exec_lo, s7
	v_add_nc_u32_e32 v60, 1, v59
	v_add_nc_u32_e32 v62, 1, v58
	s_wait_dscnt 0x0
	v_cmp_lt_i32_e64 s8, v57, v56
	s_delay_alu instid0(VALU_DEP_3) | instskip(NEXT) | instid1(VALU_DEP_3)
	v_cndmask_b32_e64 v61, v60, v59, s6
	v_cndmask_b32_e64 v60, v58, v62, s6
                                        ; implicit-def: $vgpr58
	s_delay_alu instid0(VALU_DEP_2) | instskip(NEXT) | instid1(VALU_DEP_2)
	v_cmp_ge_i32_e64 s7, v61, v27
	v_cmp_lt_i32_e64 s9, v60, v28
	s_or_b32 s7, s7, s8
	s_wait_alu 0xfffe
	s_and_b32 s7, s9, s7
	s_wait_alu 0xfffe
	s_xor_b32 s8, s7, -1
	s_wait_alu 0xfffe
	s_and_saveexec_b32 s9, s8
	s_wait_alu 0xfffe
	s_xor_b32 s8, exec_lo, s9
; %bb.139:                              ;   in Loop: Header=BB18_2 Depth=1
	v_lshlrev_b32_e32 v58, 2, v61
	ds_load_b32 v58, v58 offset:4
; %bb.140:                              ;   in Loop: Header=BB18_2 Depth=1
	s_wait_alu 0xfffe
	s_or_saveexec_b32 s8, s8
	v_mov_b32_e32 v59, v57
	s_wait_alu 0xfffe
	s_xor_b32 exec_lo, exec_lo, s8
	s_cbranch_execz .LBB18_142
; %bb.141:                              ;   in Loop: Header=BB18_2 Depth=1
	s_wait_dscnt 0x0
	v_lshlrev_b32_e32 v58, 2, v60
	ds_load_b32 v59, v58 offset:4
	v_mov_b32_e32 v58, v56
.LBB18_142:                             ;   in Loop: Header=BB18_2 Depth=1
	s_or_b32 exec_lo, exec_lo, s8
	v_add_nc_u32_e32 v62, 1, v61
	v_add_nc_u32_e32 v64, 1, v60
	s_wait_dscnt 0x0
	v_cmp_lt_i32_e64 s9, v59, v58
	s_delay_alu instid0(VALU_DEP_3) | instskip(NEXT) | instid1(VALU_DEP_3)
	v_cndmask_b32_e64 v63, v62, v61, s7
	v_cndmask_b32_e64 v62, v60, v64, s7
                                        ; implicit-def: $vgpr60
	s_delay_alu instid0(VALU_DEP_2) | instskip(NEXT) | instid1(VALU_DEP_2)
	v_cmp_ge_i32_e64 s8, v63, v27
	v_cmp_lt_i32_e64 s10, v62, v28
	s_or_b32 s8, s8, s9
	s_wait_alu 0xfffe
	s_and_b32 s8, s10, s8
	s_wait_alu 0xfffe
	s_xor_b32 s9, s8, -1
	s_wait_alu 0xfffe
	s_and_saveexec_b32 s10, s9
	s_wait_alu 0xfffe
	s_xor_b32 s9, exec_lo, s10
; %bb.143:                              ;   in Loop: Header=BB18_2 Depth=1
	v_lshlrev_b32_e32 v60, 2, v63
	ds_load_b32 v60, v60 offset:4
; %bb.144:                              ;   in Loop: Header=BB18_2 Depth=1
	s_wait_alu 0xfffe
	s_or_saveexec_b32 s9, s9
	v_mov_b32_e32 v61, v59
	s_wait_alu 0xfffe
	s_xor_b32 exec_lo, exec_lo, s9
	s_cbranch_execz .LBB18_146
; %bb.145:                              ;   in Loop: Header=BB18_2 Depth=1
	s_wait_dscnt 0x0
	v_lshlrev_b32_e32 v60, 2, v62
	ds_load_b32 v61, v60 offset:4
	v_mov_b32_e32 v60, v58
.LBB18_146:                             ;   in Loop: Header=BB18_2 Depth=1
	s_or_b32 exec_lo, exec_lo, s9
	v_add_nc_u32_e32 v64, 1, v63
	v_add_nc_u32_e32 v66, 1, v62
	s_wait_dscnt 0x0
	v_cmp_lt_i32_e64 s10, v61, v60
	s_delay_alu instid0(VALU_DEP_3) | instskip(NEXT) | instid1(VALU_DEP_3)
	v_cndmask_b32_e64 v65, v64, v63, s8
	v_cndmask_b32_e64 v64, v62, v66, s8
                                        ; implicit-def: $vgpr62
	s_delay_alu instid0(VALU_DEP_2) | instskip(NEXT) | instid1(VALU_DEP_2)
	v_cmp_ge_i32_e64 s9, v65, v27
	v_cmp_lt_i32_e64 s11, v64, v28
	s_or_b32 s9, s9, s10
	s_wait_alu 0xfffe
	s_and_b32 s9, s11, s9
	s_wait_alu 0xfffe
	s_xor_b32 s10, s9, -1
	s_wait_alu 0xfffe
	s_and_saveexec_b32 s11, s10
	s_wait_alu 0xfffe
	s_xor_b32 s10, exec_lo, s11
; %bb.147:                              ;   in Loop: Header=BB18_2 Depth=1
	v_lshlrev_b32_e32 v62, 2, v65
	ds_load_b32 v62, v62 offset:4
; %bb.148:                              ;   in Loop: Header=BB18_2 Depth=1
	s_wait_alu 0xfffe
	s_or_saveexec_b32 s10, s10
	v_mov_b32_e32 v63, v61
	s_wait_alu 0xfffe
	s_xor_b32 exec_lo, exec_lo, s10
	s_cbranch_execz .LBB18_150
; %bb.149:                              ;   in Loop: Header=BB18_2 Depth=1
	s_wait_dscnt 0x0
	v_lshlrev_b32_e32 v62, 2, v64
	ds_load_b32 v63, v62 offset:4
	v_mov_b32_e32 v62, v60
.LBB18_150:                             ;   in Loop: Header=BB18_2 Depth=1
	s_or_b32 exec_lo, exec_lo, s10
	v_add_nc_u32_e32 v66, 1, v65
	v_add_nc_u32_e32 v68, 1, v64
	s_wait_dscnt 0x0
	v_cmp_lt_i32_e64 s11, v63, v62
	s_delay_alu instid0(VALU_DEP_3) | instskip(NEXT) | instid1(VALU_DEP_3)
	v_cndmask_b32_e64 v67, v66, v65, s9
	v_cndmask_b32_e64 v66, v64, v68, s9
                                        ; implicit-def: $vgpr64
	s_delay_alu instid0(VALU_DEP_2) | instskip(NEXT) | instid1(VALU_DEP_2)
	v_cmp_ge_i32_e64 s10, v67, v27
	v_cmp_lt_i32_e64 s12, v66, v28
	s_or_b32 s10, s10, s11
	s_wait_alu 0xfffe
	s_and_b32 s10, s12, s10
	s_wait_alu 0xfffe
	s_xor_b32 s11, s10, -1
	s_wait_alu 0xfffe
	s_and_saveexec_b32 s12, s11
	s_wait_alu 0xfffe
	s_xor_b32 s11, exec_lo, s12
; %bb.151:                              ;   in Loop: Header=BB18_2 Depth=1
	v_lshlrev_b32_e32 v64, 2, v67
	ds_load_b32 v64, v64 offset:4
; %bb.152:                              ;   in Loop: Header=BB18_2 Depth=1
	s_wait_alu 0xfffe
	s_or_saveexec_b32 s11, s11
	v_mov_b32_e32 v65, v63
	s_wait_alu 0xfffe
	s_xor_b32 exec_lo, exec_lo, s11
	s_cbranch_execz .LBB18_154
; %bb.153:                              ;   in Loop: Header=BB18_2 Depth=1
	s_wait_dscnt 0x0
	v_lshlrev_b32_e32 v64, 2, v66
	ds_load_b32 v65, v64 offset:4
	v_mov_b32_e32 v64, v62
.LBB18_154:                             ;   in Loop: Header=BB18_2 Depth=1
	s_or_b32 exec_lo, exec_lo, s11
	v_add_nc_u32_e32 v68, 1, v67
	v_add_nc_u32_e32 v70, 1, v66
	s_wait_dscnt 0x0
	v_cmp_lt_i32_e64 s12, v65, v64
	s_delay_alu instid0(VALU_DEP_3) | instskip(NEXT) | instid1(VALU_DEP_3)
	v_cndmask_b32_e64 v69, v68, v67, s10
	v_cndmask_b32_e64 v68, v66, v70, s10
                                        ; implicit-def: $vgpr66
	s_delay_alu instid0(VALU_DEP_2) | instskip(NEXT) | instid1(VALU_DEP_2)
	v_cmp_ge_i32_e64 s11, v69, v27
	v_cmp_lt_i32_e64 s13, v68, v28
	s_or_b32 s11, s11, s12
	s_wait_alu 0xfffe
	s_and_b32 s11, s13, s11
	s_wait_alu 0xfffe
	s_xor_b32 s12, s11, -1
	s_wait_alu 0xfffe
	s_and_saveexec_b32 s13, s12
	s_wait_alu 0xfffe
	s_xor_b32 s12, exec_lo, s13
; %bb.155:                              ;   in Loop: Header=BB18_2 Depth=1
	v_lshlrev_b32_e32 v66, 2, v69
	ds_load_b32 v66, v66 offset:4
; %bb.156:                              ;   in Loop: Header=BB18_2 Depth=1
	s_wait_alu 0xfffe
	s_or_saveexec_b32 s12, s12
	v_mov_b32_e32 v67, v65
	s_wait_alu 0xfffe
	s_xor_b32 exec_lo, exec_lo, s12
	s_cbranch_execz .LBB18_158
; %bb.157:                              ;   in Loop: Header=BB18_2 Depth=1
	s_wait_dscnt 0x0
	v_lshlrev_b32_e32 v66, 2, v68
	ds_load_b32 v67, v66 offset:4
	v_mov_b32_e32 v66, v64
.LBB18_158:                             ;   in Loop: Header=BB18_2 Depth=1
	s_or_b32 exec_lo, exec_lo, s12
	v_add_nc_u32_e32 v70, 1, v69
	v_add_nc_u32_e32 v71, 1, v68
	s_wait_dscnt 0x0
	v_cmp_lt_i32_e64 s13, v67, v66
	s_delay_alu instid0(VALU_DEP_3) | instskip(NEXT) | instid1(VALU_DEP_3)
	v_cndmask_b32_e64 v70, v70, v69, s11
	v_cndmask_b32_e64 v69, v68, v71, s11
                                        ; implicit-def: $vgpr68
	s_delay_alu instid0(VALU_DEP_2) | instskip(NEXT) | instid1(VALU_DEP_2)
	v_cmp_ge_i32_e64 s12, v70, v27
	v_cmp_lt_i32_e64 s14, v69, v28
	s_or_b32 s12, s12, s13
	s_wait_alu 0xfffe
	s_and_b32 s12, s14, s12
	s_wait_alu 0xfffe
	s_xor_b32 s13, s12, -1
	s_wait_alu 0xfffe
	s_and_saveexec_b32 s14, s13
	s_delay_alu instid0(SALU_CYCLE_1)
	s_xor_b32 s13, exec_lo, s14
; %bb.159:                              ;   in Loop: Header=BB18_2 Depth=1
	v_lshlrev_b32_e32 v68, 2, v70
	ds_load_b32 v68, v68 offset:4
; %bb.160:                              ;   in Loop: Header=BB18_2 Depth=1
	s_wait_alu 0xfffe
	s_or_saveexec_b32 s13, s13
	v_mov_b32_e32 v71, v67
	s_wait_alu 0xfffe
	s_xor_b32 exec_lo, exec_lo, s13
	s_cbranch_execz .LBB18_162
; %bb.161:                              ;   in Loop: Header=BB18_2 Depth=1
	s_wait_dscnt 0x0
	v_lshlrev_b32_e32 v68, 2, v69
	ds_load_b32 v71, v68 offset:4
	v_mov_b32_e32 v68, v66
.LBB18_162:                             ;   in Loop: Header=BB18_2 Depth=1
	s_or_b32 exec_lo, exec_lo, s13
	v_add_nc_u32_e32 v72, 1, v70
	v_add_nc_u32_e32 v73, 1, v69
	v_cndmask_b32_e64 v64, v64, v65, s11
	v_cndmask_b32_e64 v62, v62, v63, s10
	;; [unrolled: 1-line block ×5, first 2 shown]
	s_wait_dscnt 0x0
	v_cmp_lt_i32_e64 s9, v71, v68
	v_cndmask_b32_e64 v58, v58, v59, s8
	v_cndmask_b32_e64 v54, v54, v55, s6
	v_cmp_ge_i32_e64 s10, v65, v27
	v_cmp_lt_i32_e64 s8, v63, v28
	v_cndmask_b32_e64 v56, v56, v57, s7
	v_cndmask_b32_e64 v66, v66, v67, s12
	s_wait_loadcnt 0x0
	s_or_b32 s6, s10, s9
	s_barrier_signal -1
	s_wait_alu 0xfffe
	s_and_b32 s6, s8, s6
	s_barrier_wait -1
	s_wait_alu 0xfffe
	v_cndmask_b32_e64 v55, v68, v71, s6
	global_inv scope:SCOPE_SE
	ds_store_2addr_b32 v5, v54, v56 offset1:1
	ds_store_2addr_b32 v5, v58, v60 offset0:2 offset1:3
	ds_store_2addr_b32 v5, v62, v64 offset0:4 offset1:5
	;; [unrolled: 1-line block ×3, first 2 shown]
	v_mov_b32_e32 v56, v40
	s_wait_loadcnt_dscnt 0x0
	s_barrier_signal -1
	s_barrier_wait -1
	global_inv scope:SCOPE_SE
	s_and_saveexec_b32 s7, s4
	s_cbranch_execz .LBB18_166
; %bb.163:                              ;   in Loop: Header=BB18_2 Depth=1
	v_mov_b32_e32 v56, v40
	v_mov_b32_e32 v54, v41
	s_mov_b32 s8, 0
.LBB18_164:                             ;   Parent Loop BB18_2 Depth=1
                                        ; =>  This Inner Loop Header: Depth=2
	s_delay_alu instid0(VALU_DEP_1) | instskip(NEXT) | instid1(VALU_DEP_1)
	v_sub_nc_u32_e32 v55, v54, v56
	v_lshrrev_b32_e32 v55, 1, v55
	s_delay_alu instid0(VALU_DEP_1) | instskip(NEXT) | instid1(VALU_DEP_1)
	v_add_nc_u32_e32 v55, v55, v56
	v_not_b32_e32 v57, v55
	v_lshl_add_u32 v58, v55, 2, v44
	v_add_nc_u32_e32 v59, 1, v55
	s_delay_alu instid0(VALU_DEP_3)
	v_lshl_add_u32 v57, v57, 2, v52
	ds_load_b32 v58, v58
	ds_load_b32 v57, v57
	s_wait_dscnt 0x0
	v_cmp_lt_i32_e64 s6, v57, v58
	s_wait_alu 0xf1ff
	s_delay_alu instid0(VALU_DEP_1) | instskip(SKIP_1) | instid1(VALU_DEP_1)
	v_cndmask_b32_e64 v54, v54, v55, s6
	v_cndmask_b32_e64 v56, v59, v56, s6
	v_cmp_ge_i32_e64 s6, v56, v54
	s_wait_alu 0xfffe
	s_or_b32 s8, s6, s8
	s_wait_alu 0xfffe
	s_and_not1_b32 exec_lo, exec_lo, s8
	s_cbranch_execnz .LBB18_164
; %bb.165:                              ;   in Loop: Header=BB18_2 Depth=1
	s_or_b32 exec_lo, exec_lo, s8
.LBB18_166:                             ;   in Loop: Header=BB18_2 Depth=1
	s_wait_alu 0xfffe
	s_or_b32 exec_lo, exec_lo, s7
	v_sub_nc_u32_e32 v58, v45, v56
	v_lshl_add_u32 v57, v56, 2, v44
	v_add_nc_u32_e32 v59, v56, v30
                                        ; implicit-def: $vgpr56
	s_delay_alu instid0(VALU_DEP_3) | instskip(SKIP_1) | instid1(VALU_DEP_3)
	v_lshlrev_b32_e32 v60, 2, v58
	v_cmp_gt_i32_e64 s8, v34, v58
	v_cmp_le_i32_e64 s6, v33, v59
	ds_load_b32 v54, v57
	ds_load_b32 v55, v60
	s_wait_dscnt 0x0
	v_cmp_lt_i32_e64 s7, v55, v54
	s_or_b32 s6, s6, s7
	s_wait_alu 0xfffe
	s_and_b32 s6, s8, s6
	s_wait_alu 0xfffe
	s_xor_b32 s7, s6, -1
	s_wait_alu 0xfffe
	s_and_saveexec_b32 s8, s7
	s_wait_alu 0xfffe
	s_xor_b32 s7, exec_lo, s8
; %bb.167:                              ;   in Loop: Header=BB18_2 Depth=1
	ds_load_b32 v56, v57 offset:4
                                        ; implicit-def: $vgpr60
; %bb.168:                              ;   in Loop: Header=BB18_2 Depth=1
	s_wait_alu 0xfffe
	s_or_saveexec_b32 s7, s7
	v_mov_b32_e32 v57, v55
	s_wait_alu 0xfffe
	s_xor_b32 exec_lo, exec_lo, s7
	s_cbranch_execz .LBB18_170
; %bb.169:                              ;   in Loop: Header=BB18_2 Depth=1
	ds_load_b32 v57, v60 offset:4
	s_wait_dscnt 0x1
	v_mov_b32_e32 v56, v54
.LBB18_170:                             ;   in Loop: Header=BB18_2 Depth=1
	s_or_b32 exec_lo, exec_lo, s7
	v_add_nc_u32_e32 v60, 1, v59
	v_add_nc_u32_e32 v62, 1, v58
	s_wait_dscnt 0x0
	v_cmp_lt_i32_e64 s8, v57, v56
	s_delay_alu instid0(VALU_DEP_3) | instskip(NEXT) | instid1(VALU_DEP_3)
	v_cndmask_b32_e64 v61, v60, v59, s6
	v_cndmask_b32_e64 v60, v58, v62, s6
                                        ; implicit-def: $vgpr58
	s_delay_alu instid0(VALU_DEP_2) | instskip(NEXT) | instid1(VALU_DEP_2)
	v_cmp_ge_i32_e64 s7, v61, v33
	v_cmp_lt_i32_e64 s9, v60, v34
	s_or_b32 s7, s7, s8
	s_wait_alu 0xfffe
	s_and_b32 s7, s9, s7
	s_wait_alu 0xfffe
	s_xor_b32 s8, s7, -1
	s_wait_alu 0xfffe
	s_and_saveexec_b32 s9, s8
	s_wait_alu 0xfffe
	s_xor_b32 s8, exec_lo, s9
; %bb.171:                              ;   in Loop: Header=BB18_2 Depth=1
	v_lshlrev_b32_e32 v58, 2, v61
	ds_load_b32 v58, v58 offset:4
; %bb.172:                              ;   in Loop: Header=BB18_2 Depth=1
	s_wait_alu 0xfffe
	s_or_saveexec_b32 s8, s8
	v_mov_b32_e32 v59, v57
	s_wait_alu 0xfffe
	s_xor_b32 exec_lo, exec_lo, s8
	s_cbranch_execz .LBB18_174
; %bb.173:                              ;   in Loop: Header=BB18_2 Depth=1
	s_wait_dscnt 0x0
	v_lshlrev_b32_e32 v58, 2, v60
	ds_load_b32 v59, v58 offset:4
	v_mov_b32_e32 v58, v56
.LBB18_174:                             ;   in Loop: Header=BB18_2 Depth=1
	s_or_b32 exec_lo, exec_lo, s8
	v_add_nc_u32_e32 v62, 1, v61
	v_add_nc_u32_e32 v64, 1, v60
	s_wait_dscnt 0x0
	v_cmp_lt_i32_e64 s9, v59, v58
	s_delay_alu instid0(VALU_DEP_3) | instskip(NEXT) | instid1(VALU_DEP_3)
	v_cndmask_b32_e64 v63, v62, v61, s7
	v_cndmask_b32_e64 v62, v60, v64, s7
                                        ; implicit-def: $vgpr60
	s_delay_alu instid0(VALU_DEP_2) | instskip(NEXT) | instid1(VALU_DEP_2)
	v_cmp_ge_i32_e64 s8, v63, v33
	v_cmp_lt_i32_e64 s10, v62, v34
	s_or_b32 s8, s8, s9
	s_wait_alu 0xfffe
	s_and_b32 s8, s10, s8
	s_wait_alu 0xfffe
	s_xor_b32 s9, s8, -1
	s_wait_alu 0xfffe
	s_and_saveexec_b32 s10, s9
	s_wait_alu 0xfffe
	s_xor_b32 s9, exec_lo, s10
; %bb.175:                              ;   in Loop: Header=BB18_2 Depth=1
	v_lshlrev_b32_e32 v60, 2, v63
	ds_load_b32 v60, v60 offset:4
; %bb.176:                              ;   in Loop: Header=BB18_2 Depth=1
	s_wait_alu 0xfffe
	s_or_saveexec_b32 s9, s9
	v_mov_b32_e32 v61, v59
	s_wait_alu 0xfffe
	s_xor_b32 exec_lo, exec_lo, s9
	s_cbranch_execz .LBB18_178
; %bb.177:                              ;   in Loop: Header=BB18_2 Depth=1
	s_wait_dscnt 0x0
	v_lshlrev_b32_e32 v60, 2, v62
	ds_load_b32 v61, v60 offset:4
	v_mov_b32_e32 v60, v58
.LBB18_178:                             ;   in Loop: Header=BB18_2 Depth=1
	s_or_b32 exec_lo, exec_lo, s9
	v_add_nc_u32_e32 v64, 1, v63
	v_add_nc_u32_e32 v66, 1, v62
	s_wait_dscnt 0x0
	v_cmp_lt_i32_e64 s10, v61, v60
	s_delay_alu instid0(VALU_DEP_3) | instskip(NEXT) | instid1(VALU_DEP_3)
	v_cndmask_b32_e64 v65, v64, v63, s8
	v_cndmask_b32_e64 v64, v62, v66, s8
                                        ; implicit-def: $vgpr62
	s_delay_alu instid0(VALU_DEP_2) | instskip(NEXT) | instid1(VALU_DEP_2)
	v_cmp_ge_i32_e64 s9, v65, v33
	v_cmp_lt_i32_e64 s11, v64, v34
	s_or_b32 s9, s9, s10
	s_wait_alu 0xfffe
	s_and_b32 s9, s11, s9
	s_wait_alu 0xfffe
	s_xor_b32 s10, s9, -1
	s_wait_alu 0xfffe
	s_and_saveexec_b32 s11, s10
	s_wait_alu 0xfffe
	s_xor_b32 s10, exec_lo, s11
; %bb.179:                              ;   in Loop: Header=BB18_2 Depth=1
	v_lshlrev_b32_e32 v62, 2, v65
	ds_load_b32 v62, v62 offset:4
; %bb.180:                              ;   in Loop: Header=BB18_2 Depth=1
	s_wait_alu 0xfffe
	s_or_saveexec_b32 s10, s10
	v_mov_b32_e32 v63, v61
	s_wait_alu 0xfffe
	s_xor_b32 exec_lo, exec_lo, s10
	s_cbranch_execz .LBB18_182
; %bb.181:                              ;   in Loop: Header=BB18_2 Depth=1
	s_wait_dscnt 0x0
	v_lshlrev_b32_e32 v62, 2, v64
	ds_load_b32 v63, v62 offset:4
	v_mov_b32_e32 v62, v60
.LBB18_182:                             ;   in Loop: Header=BB18_2 Depth=1
	s_or_b32 exec_lo, exec_lo, s10
	v_add_nc_u32_e32 v66, 1, v65
	v_add_nc_u32_e32 v68, 1, v64
	s_wait_dscnt 0x0
	v_cmp_lt_i32_e64 s11, v63, v62
	s_delay_alu instid0(VALU_DEP_3) | instskip(NEXT) | instid1(VALU_DEP_3)
	v_cndmask_b32_e64 v67, v66, v65, s9
	v_cndmask_b32_e64 v66, v64, v68, s9
                                        ; implicit-def: $vgpr64
	s_delay_alu instid0(VALU_DEP_2) | instskip(NEXT) | instid1(VALU_DEP_2)
	v_cmp_ge_i32_e64 s10, v67, v33
	v_cmp_lt_i32_e64 s12, v66, v34
	s_or_b32 s10, s10, s11
	s_wait_alu 0xfffe
	s_and_b32 s10, s12, s10
	s_wait_alu 0xfffe
	s_xor_b32 s11, s10, -1
	s_wait_alu 0xfffe
	s_and_saveexec_b32 s12, s11
	s_wait_alu 0xfffe
	s_xor_b32 s11, exec_lo, s12
; %bb.183:                              ;   in Loop: Header=BB18_2 Depth=1
	v_lshlrev_b32_e32 v64, 2, v67
	ds_load_b32 v64, v64 offset:4
; %bb.184:                              ;   in Loop: Header=BB18_2 Depth=1
	s_wait_alu 0xfffe
	s_or_saveexec_b32 s11, s11
	v_mov_b32_e32 v65, v63
	s_wait_alu 0xfffe
	s_xor_b32 exec_lo, exec_lo, s11
	s_cbranch_execz .LBB18_186
; %bb.185:                              ;   in Loop: Header=BB18_2 Depth=1
	s_wait_dscnt 0x0
	v_lshlrev_b32_e32 v64, 2, v66
	ds_load_b32 v65, v64 offset:4
	v_mov_b32_e32 v64, v62
.LBB18_186:                             ;   in Loop: Header=BB18_2 Depth=1
	s_or_b32 exec_lo, exec_lo, s11
	v_add_nc_u32_e32 v68, 1, v67
	v_add_nc_u32_e32 v70, 1, v66
	s_wait_dscnt 0x0
	v_cmp_lt_i32_e64 s12, v65, v64
	s_delay_alu instid0(VALU_DEP_3) | instskip(NEXT) | instid1(VALU_DEP_3)
	v_cndmask_b32_e64 v69, v68, v67, s10
	v_cndmask_b32_e64 v68, v66, v70, s10
                                        ; implicit-def: $vgpr66
	s_delay_alu instid0(VALU_DEP_2) | instskip(NEXT) | instid1(VALU_DEP_2)
	v_cmp_ge_i32_e64 s11, v69, v33
	v_cmp_lt_i32_e64 s13, v68, v34
	s_or_b32 s11, s11, s12
	s_wait_alu 0xfffe
	s_and_b32 s11, s13, s11
	s_wait_alu 0xfffe
	s_xor_b32 s12, s11, -1
	s_wait_alu 0xfffe
	s_and_saveexec_b32 s13, s12
	s_wait_alu 0xfffe
	s_xor_b32 s12, exec_lo, s13
; %bb.187:                              ;   in Loop: Header=BB18_2 Depth=1
	v_lshlrev_b32_e32 v66, 2, v69
	ds_load_b32 v66, v66 offset:4
; %bb.188:                              ;   in Loop: Header=BB18_2 Depth=1
	s_wait_alu 0xfffe
	s_or_saveexec_b32 s12, s12
	v_mov_b32_e32 v67, v65
	s_wait_alu 0xfffe
	s_xor_b32 exec_lo, exec_lo, s12
	s_cbranch_execz .LBB18_190
; %bb.189:                              ;   in Loop: Header=BB18_2 Depth=1
	s_wait_dscnt 0x0
	v_lshlrev_b32_e32 v66, 2, v68
	ds_load_b32 v67, v66 offset:4
	v_mov_b32_e32 v66, v64
.LBB18_190:                             ;   in Loop: Header=BB18_2 Depth=1
	s_or_b32 exec_lo, exec_lo, s12
	v_add_nc_u32_e32 v70, 1, v69
	v_add_nc_u32_e32 v71, 1, v68
	s_wait_dscnt 0x0
	v_cmp_lt_i32_e64 s13, v67, v66
	s_delay_alu instid0(VALU_DEP_3) | instskip(NEXT) | instid1(VALU_DEP_3)
	v_cndmask_b32_e64 v70, v70, v69, s11
	v_cndmask_b32_e64 v69, v68, v71, s11
                                        ; implicit-def: $vgpr68
	s_delay_alu instid0(VALU_DEP_2) | instskip(NEXT) | instid1(VALU_DEP_2)
	v_cmp_ge_i32_e64 s12, v70, v33
	v_cmp_lt_i32_e64 s14, v69, v34
	s_or_b32 s12, s12, s13
	s_wait_alu 0xfffe
	s_and_b32 s12, s14, s12
	s_wait_alu 0xfffe
	s_xor_b32 s13, s12, -1
	s_wait_alu 0xfffe
	s_and_saveexec_b32 s14, s13
	s_delay_alu instid0(SALU_CYCLE_1)
	s_xor_b32 s13, exec_lo, s14
; %bb.191:                              ;   in Loop: Header=BB18_2 Depth=1
	v_lshlrev_b32_e32 v68, 2, v70
	ds_load_b32 v68, v68 offset:4
; %bb.192:                              ;   in Loop: Header=BB18_2 Depth=1
	s_wait_alu 0xfffe
	s_or_saveexec_b32 s13, s13
	v_mov_b32_e32 v71, v67
	s_wait_alu 0xfffe
	s_xor_b32 exec_lo, exec_lo, s13
	s_cbranch_execz .LBB18_194
; %bb.193:                              ;   in Loop: Header=BB18_2 Depth=1
	s_wait_dscnt 0x0
	v_lshlrev_b32_e32 v68, 2, v69
	ds_load_b32 v71, v68 offset:4
	v_mov_b32_e32 v68, v66
.LBB18_194:                             ;   in Loop: Header=BB18_2 Depth=1
	s_or_b32 exec_lo, exec_lo, s13
	v_add_nc_u32_e32 v72, 1, v70
	v_add_nc_u32_e32 v73, 1, v69
	v_cndmask_b32_e64 v64, v64, v65, s11
	v_cndmask_b32_e64 v62, v62, v63, s10
	;; [unrolled: 1-line block ×5, first 2 shown]
	s_wait_dscnt 0x0
	v_cmp_lt_i32_e64 s9, v71, v68
	v_cndmask_b32_e64 v58, v58, v59, s8
	v_cndmask_b32_e64 v54, v54, v55, s6
	v_cmp_ge_i32_e64 s10, v65, v33
	v_cmp_lt_i32_e64 s8, v63, v34
	v_cndmask_b32_e64 v56, v56, v57, s7
	v_cndmask_b32_e64 v66, v66, v67, s12
	s_wait_loadcnt 0x0
	s_or_b32 s6, s10, s9
	s_barrier_signal -1
	s_wait_alu 0xfffe
	s_and_b32 s6, s8, s6
	s_barrier_wait -1
	s_wait_alu 0xfffe
	v_cndmask_b32_e64 v55, v68, v71, s6
	global_inv scope:SCOPE_SE
	ds_store_2addr_b32 v5, v54, v56 offset1:1
	ds_store_2addr_b32 v5, v58, v60 offset0:2 offset1:3
	ds_store_2addr_b32 v5, v62, v64 offset0:4 offset1:5
	;; [unrolled: 1-line block ×3, first 2 shown]
	v_mov_b32_e32 v58, v42
	s_wait_loadcnt_dscnt 0x0
	s_barrier_signal -1
	s_barrier_wait -1
	global_inv scope:SCOPE_SE
	s_and_saveexec_b32 s7, s5
	s_cbranch_execz .LBB18_198
; %bb.195:                              ;   in Loop: Header=BB18_2 Depth=1
	v_mov_b32_e32 v58, v42
	v_mov_b32_e32 v54, v43
	s_mov_b32 s8, 0
.LBB18_196:                             ;   Parent Loop BB18_2 Depth=1
                                        ; =>  This Inner Loop Header: Depth=2
	s_delay_alu instid0(VALU_DEP_1) | instskip(NEXT) | instid1(VALU_DEP_1)
	v_sub_nc_u32_e32 v55, v54, v58
	v_lshrrev_b32_e32 v55, 1, v55
	s_delay_alu instid0(VALU_DEP_1) | instskip(NEXT) | instid1(VALU_DEP_1)
	v_add_nc_u32_e32 v55, v55, v58
	v_not_b32_e32 v56, v55
	v_lshlrev_b32_e32 v57, 2, v55
	v_add_nc_u32_e32 v59, 1, v55
	s_delay_alu instid0(VALU_DEP_3)
	v_lshl_add_u32 v56, v56, 2, v53
	ds_load_b32 v57, v57
	ds_load_b32 v56, v56
	s_wait_dscnt 0x0
	v_cmp_lt_i32_e64 s6, v56, v57
	s_wait_alu 0xf1ff
	s_delay_alu instid0(VALU_DEP_1) | instskip(SKIP_1) | instid1(VALU_DEP_1)
	v_cndmask_b32_e64 v54, v54, v55, s6
	v_cndmask_b32_e64 v58, v59, v58, s6
	v_cmp_ge_i32_e64 s6, v58, v54
	s_wait_alu 0xfffe
	s_or_b32 s8, s6, s8
	s_wait_alu 0xfffe
	s_and_not1_b32 exec_lo, exec_lo, s8
	s_cbranch_execnz .LBB18_196
; %bb.197:                              ;   in Loop: Header=BB18_2 Depth=1
	s_or_b32 exec_lo, exec_lo, s8
.LBB18_198:                             ;   in Loop: Header=BB18_2 Depth=1
	s_wait_alu 0xfffe
	s_or_b32 exec_lo, exec_lo, s7
	v_sub_nc_u32_e32 v59, v46, v58
	v_lshlrev_b32_e32 v57, 2, v58
	v_cmp_le_i32_e64 s6, 0x200, v58
                                        ; implicit-def: $vgpr56
	s_delay_alu instid0(VALU_DEP_3)
	v_lshlrev_b32_e32 v60, 2, v59
	v_cmp_gt_i32_e64 s8, 0x400, v59
	ds_load_b32 v54, v57
	ds_load_b32 v55, v60
	s_wait_dscnt 0x0
	v_cmp_lt_i32_e64 s7, v55, v54
	s_or_b32 s6, s6, s7
	s_wait_alu 0xfffe
	s_and_b32 s6, s8, s6
	s_wait_alu 0xfffe
	s_xor_b32 s7, s6, -1
	s_wait_alu 0xfffe
	s_and_saveexec_b32 s8, s7
	s_wait_alu 0xfffe
	s_xor_b32 s7, exec_lo, s8
; %bb.199:                              ;   in Loop: Header=BB18_2 Depth=1
	ds_load_b32 v56, v57 offset:4
                                        ; implicit-def: $vgpr60
; %bb.200:                              ;   in Loop: Header=BB18_2 Depth=1
	s_wait_alu 0xfffe
	s_or_saveexec_b32 s7, s7
	v_mov_b32_e32 v57, v55
	s_wait_alu 0xfffe
	s_xor_b32 exec_lo, exec_lo, s7
	s_cbranch_execz .LBB18_202
; %bb.201:                              ;   in Loop: Header=BB18_2 Depth=1
	ds_load_b32 v57, v60 offset:4
	s_wait_dscnt 0x1
	v_mov_b32_e32 v56, v54
.LBB18_202:                             ;   in Loop: Header=BB18_2 Depth=1
	s_or_b32 exec_lo, exec_lo, s7
	v_add_nc_u32_e32 v60, 1, v58
	v_add_nc_u32_e32 v62, 1, v59
	s_wait_dscnt 0x0
	v_cmp_lt_i32_e64 s8, v57, v56
	s_delay_alu instid0(VALU_DEP_3) | instskip(NEXT) | instid1(VALU_DEP_3)
	v_cndmask_b32_e64 v61, v60, v58, s6
	v_cndmask_b32_e64 v60, v59, v62, s6
                                        ; implicit-def: $vgpr58
	s_delay_alu instid0(VALU_DEP_2) | instskip(NEXT) | instid1(VALU_DEP_2)
	v_cmp_le_i32_e64 s7, 0x200, v61
	v_cmp_gt_i32_e64 s9, 0x400, v60
	s_or_b32 s7, s7, s8
	s_wait_alu 0xfffe
	s_and_b32 s7, s9, s7
	s_wait_alu 0xfffe
	s_xor_b32 s8, s7, -1
	s_wait_alu 0xfffe
	s_and_saveexec_b32 s9, s8
	s_wait_alu 0xfffe
	s_xor_b32 s8, exec_lo, s9
; %bb.203:                              ;   in Loop: Header=BB18_2 Depth=1
	v_lshlrev_b32_e32 v58, 2, v61
	ds_load_b32 v58, v58 offset:4
; %bb.204:                              ;   in Loop: Header=BB18_2 Depth=1
	s_wait_alu 0xfffe
	s_or_saveexec_b32 s8, s8
	v_mov_b32_e32 v59, v57
	s_wait_alu 0xfffe
	s_xor_b32 exec_lo, exec_lo, s8
	s_cbranch_execz .LBB18_206
; %bb.205:                              ;   in Loop: Header=BB18_2 Depth=1
	s_wait_dscnt 0x0
	v_lshlrev_b32_e32 v58, 2, v60
	ds_load_b32 v59, v58 offset:4
	v_mov_b32_e32 v58, v56
.LBB18_206:                             ;   in Loop: Header=BB18_2 Depth=1
	s_or_b32 exec_lo, exec_lo, s8
	v_add_nc_u32_e32 v62, 1, v61
	v_add_nc_u32_e32 v63, 1, v60
	s_wait_dscnt 0x0
	v_cmp_lt_i32_e64 s9, v59, v58
	s_delay_alu instid0(VALU_DEP_3) | instskip(NEXT) | instid1(VALU_DEP_3)
	v_cndmask_b32_e64 v61, v62, v61, s7
	v_cndmask_b32_e64 v60, v60, v63, s7
                                        ; implicit-def: $vgpr62
	s_delay_alu instid0(VALU_DEP_2) | instskip(NEXT) | instid1(VALU_DEP_2)
	v_cmp_le_i32_e64 s8, 0x200, v61
	v_cmp_gt_i32_e64 s10, 0x400, v60
	s_or_b32 s8, s8, s9
	s_wait_alu 0xfffe
	s_and_b32 s8, s10, s8
	s_wait_alu 0xfffe
	s_xor_b32 s9, s8, -1
	s_wait_alu 0xfffe
	s_and_saveexec_b32 s10, s9
	s_wait_alu 0xfffe
	s_xor_b32 s9, exec_lo, s10
; %bb.207:                              ;   in Loop: Header=BB18_2 Depth=1
	v_lshlrev_b32_e32 v62, 2, v61
	ds_load_b32 v62, v62 offset:4
; %bb.208:                              ;   in Loop: Header=BB18_2 Depth=1
	s_wait_alu 0xfffe
	s_or_saveexec_b32 s9, s9
	v_mov_b32_e32 v63, v59
	s_wait_alu 0xfffe
	s_xor_b32 exec_lo, exec_lo, s9
	s_cbranch_execz .LBB18_210
; %bb.209:                              ;   in Loop: Header=BB18_2 Depth=1
	s_wait_dscnt 0x0
	v_lshlrev_b32_e32 v62, 2, v60
	ds_load_b32 v63, v62 offset:4
	v_mov_b32_e32 v62, v58
.LBB18_210:                             ;   in Loop: Header=BB18_2 Depth=1
	s_or_b32 exec_lo, exec_lo, s9
	v_add_nc_u32_e32 v64, 1, v61
	v_add_nc_u32_e32 v65, 1, v60
	s_wait_dscnt 0x0
	v_cmp_lt_i32_e64 s10, v63, v62
	s_delay_alu instid0(VALU_DEP_3) | instskip(NEXT) | instid1(VALU_DEP_3)
	v_cndmask_b32_e64 v61, v64, v61, s8
	v_cndmask_b32_e64 v60, v60, v65, s8
                                        ; implicit-def: $vgpr64
	s_delay_alu instid0(VALU_DEP_2) | instskip(NEXT) | instid1(VALU_DEP_2)
	v_cmp_le_i32_e64 s9, 0x200, v61
	v_cmp_gt_i32_e64 s11, 0x400, v60
	s_or_b32 s9, s9, s10
	s_wait_alu 0xfffe
	s_and_b32 s9, s11, s9
	s_wait_alu 0xfffe
	s_xor_b32 s10, s9, -1
	s_wait_alu 0xfffe
	s_and_saveexec_b32 s11, s10
	s_wait_alu 0xfffe
	s_xor_b32 s10, exec_lo, s11
; %bb.211:                              ;   in Loop: Header=BB18_2 Depth=1
	v_lshlrev_b32_e32 v64, 2, v61
	ds_load_b32 v64, v64 offset:4
; %bb.212:                              ;   in Loop: Header=BB18_2 Depth=1
	s_wait_alu 0xfffe
	s_or_saveexec_b32 s10, s10
	v_mov_b32_e32 v65, v63
	s_wait_alu 0xfffe
	s_xor_b32 exec_lo, exec_lo, s10
	s_cbranch_execz .LBB18_214
; %bb.213:                              ;   in Loop: Header=BB18_2 Depth=1
	s_wait_dscnt 0x0
	v_lshlrev_b32_e32 v64, 2, v60
	ds_load_b32 v65, v64 offset:4
	v_mov_b32_e32 v64, v62
.LBB18_214:                             ;   in Loop: Header=BB18_2 Depth=1
	s_or_b32 exec_lo, exec_lo, s10
	v_add_nc_u32_e32 v66, 1, v61
	v_add_nc_u32_e32 v67, 1, v60
	s_wait_dscnt 0x0
	v_cmp_lt_i32_e64 s11, v65, v64
	s_delay_alu instid0(VALU_DEP_3) | instskip(NEXT) | instid1(VALU_DEP_3)
	v_cndmask_b32_e64 v61, v66, v61, s9
	v_cndmask_b32_e64 v60, v60, v67, s9
                                        ; implicit-def: $vgpr66
	s_delay_alu instid0(VALU_DEP_2) | instskip(NEXT) | instid1(VALU_DEP_2)
	v_cmp_le_i32_e64 s10, 0x200, v61
	v_cmp_gt_i32_e64 s12, 0x400, v60
	s_or_b32 s10, s10, s11
	s_wait_alu 0xfffe
	s_and_b32 s10, s12, s10
	s_wait_alu 0xfffe
	s_xor_b32 s11, s10, -1
	s_wait_alu 0xfffe
	s_and_saveexec_b32 s12, s11
	s_wait_alu 0xfffe
	s_xor_b32 s11, exec_lo, s12
; %bb.215:                              ;   in Loop: Header=BB18_2 Depth=1
	v_lshlrev_b32_e32 v66, 2, v61
	ds_load_b32 v66, v66 offset:4
; %bb.216:                              ;   in Loop: Header=BB18_2 Depth=1
	s_wait_alu 0xfffe
	s_or_saveexec_b32 s11, s11
	v_mov_b32_e32 v67, v65
	s_wait_alu 0xfffe
	s_xor_b32 exec_lo, exec_lo, s11
	s_cbranch_execz .LBB18_218
; %bb.217:                              ;   in Loop: Header=BB18_2 Depth=1
	s_wait_dscnt 0x0
	v_lshlrev_b32_e32 v66, 2, v60
	ds_load_b32 v67, v66 offset:4
	v_mov_b32_e32 v66, v64
.LBB18_218:                             ;   in Loop: Header=BB18_2 Depth=1
	s_or_b32 exec_lo, exec_lo, s11
	v_add_nc_u32_e32 v68, 1, v61
	v_add_nc_u32_e32 v69, 1, v60
	s_wait_dscnt 0x0
	v_cmp_lt_i32_e64 s12, v67, v66
	s_delay_alu instid0(VALU_DEP_3) | instskip(NEXT) | instid1(VALU_DEP_3)
	v_cndmask_b32_e64 v61, v68, v61, s10
	v_cndmask_b32_e64 v60, v60, v69, s10
                                        ; implicit-def: $vgpr68
	s_delay_alu instid0(VALU_DEP_2) | instskip(NEXT) | instid1(VALU_DEP_2)
	v_cmp_le_i32_e64 s11, 0x200, v61
	v_cmp_gt_i32_e64 s13, 0x400, v60
	s_or_b32 s11, s11, s12
	s_wait_alu 0xfffe
	s_and_b32 s11, s13, s11
	s_wait_alu 0xfffe
	s_xor_b32 s12, s11, -1
	s_wait_alu 0xfffe
	s_and_saveexec_b32 s13, s12
	s_wait_alu 0xfffe
	s_xor_b32 s12, exec_lo, s13
; %bb.219:                              ;   in Loop: Header=BB18_2 Depth=1
	v_lshlrev_b32_e32 v68, 2, v61
	ds_load_b32 v68, v68 offset:4
; %bb.220:                              ;   in Loop: Header=BB18_2 Depth=1
	s_wait_alu 0xfffe
	s_or_saveexec_b32 s12, s12
	v_mov_b32_e32 v69, v67
	s_wait_alu 0xfffe
	s_xor_b32 exec_lo, exec_lo, s12
	s_cbranch_execz .LBB18_222
; %bb.221:                              ;   in Loop: Header=BB18_2 Depth=1
	s_wait_dscnt 0x0
	v_lshlrev_b32_e32 v68, 2, v60
	ds_load_b32 v69, v68 offset:4
	v_mov_b32_e32 v68, v66
.LBB18_222:                             ;   in Loop: Header=BB18_2 Depth=1
	s_or_b32 exec_lo, exec_lo, s12
	v_add_nc_u32_e32 v70, 1, v61
	v_add_nc_u32_e32 v71, 1, v60
	s_wait_dscnt 0x0
	v_cmp_lt_i32_e64 s13, v69, v68
                                        ; implicit-def: $vgpr72
	s_delay_alu instid0(VALU_DEP_3) | instskip(NEXT) | instid1(VALU_DEP_3)
	v_cndmask_b32_e64 v61, v70, v61, s11
	v_cndmask_b32_e64 v70, v60, v71, s11
                                        ; implicit-def: $vgpr71
	s_delay_alu instid0(VALU_DEP_2) | instskip(NEXT) | instid1(VALU_DEP_2)
	v_cmp_le_i32_e64 s12, 0x200, v61
	v_cmp_gt_i32_e64 s14, 0x400, v70
	s_or_b32 s12, s12, s13
	s_wait_alu 0xfffe
	s_and_b32 s12, s14, s12
	s_wait_alu 0xfffe
	s_xor_b32 s13, s12, -1
	s_wait_alu 0xfffe
	s_and_saveexec_b32 s14, s13
	s_delay_alu instid0(SALU_CYCLE_1)
	s_xor_b32 s13, exec_lo, s14
; %bb.223:                              ;   in Loop: Header=BB18_2 Depth=1
	v_lshlrev_b32_e32 v60, 2, v61
	v_add_nc_u32_e32 v72, 1, v61
                                        ; implicit-def: $vgpr61
	ds_load_b32 v71, v60 offset:4
; %bb.224:                              ;   in Loop: Header=BB18_2 Depth=1
	s_wait_alu 0xfffe
	s_or_saveexec_b32 s13, s13
	v_mov_b32_e32 v73, v69
	s_wait_alu 0xfffe
	s_xor_b32 exec_lo, exec_lo, s13
	s_cbranch_execz .LBB18_1
; %bb.225:                              ;   in Loop: Header=BB18_2 Depth=1
	s_wait_dscnt 0x0
	v_dual_mov_b32 v71, v68 :: v_dual_lshlrev_b32 v60, 2, v70
	v_add_nc_u32_e32 v70, 1, v70
	v_mov_b32_e32 v72, v61
	ds_load_b32 v73, v60 offset:4
	s_branch .LBB18_1
.LBB18_226:
	v_lshlrev_b32_e32 v0, 2, v0
	s_add_nc_u64 s[0:1], s[18:19], s[20:21]
	s_clause 0x7
	global_store_b32 v0, v60, s[0:1]
	global_store_b32 v0, v61, s[0:1] offset:512
	global_store_b32 v0, v56, s[0:1] offset:1024
	;; [unrolled: 1-line block ×7, first 2 shown]
	s_endpgm
	.section	.rodata,"a",@progbits
	.p2align	6, 0x0
	.amdhsa_kernel _Z16sort_keys_kernelIiLj128ELj8EN10test_utils4lessELj10EEvPKT_PS2_T2_
		.amdhsa_group_segment_fixed_size 4100
		.amdhsa_private_segment_fixed_size 0
		.amdhsa_kernarg_size 20
		.amdhsa_user_sgpr_count 2
		.amdhsa_user_sgpr_dispatch_ptr 0
		.amdhsa_user_sgpr_queue_ptr 0
		.amdhsa_user_sgpr_kernarg_segment_ptr 1
		.amdhsa_user_sgpr_dispatch_id 0
		.amdhsa_user_sgpr_private_segment_size 0
		.amdhsa_wavefront_size32 1
		.amdhsa_uses_dynamic_stack 0
		.amdhsa_enable_private_segment 0
		.amdhsa_system_sgpr_workgroup_id_x 1
		.amdhsa_system_sgpr_workgroup_id_y 0
		.amdhsa_system_sgpr_workgroup_id_z 0
		.amdhsa_system_sgpr_workgroup_info 0
		.amdhsa_system_vgpr_workitem_id 0
		.amdhsa_next_free_vgpr 74
		.amdhsa_next_free_sgpr 22
		.amdhsa_reserve_vcc 1
		.amdhsa_float_round_mode_32 0
		.amdhsa_float_round_mode_16_64 0
		.amdhsa_float_denorm_mode_32 3
		.amdhsa_float_denorm_mode_16_64 3
		.amdhsa_fp16_overflow 0
		.amdhsa_workgroup_processor_mode 1
		.amdhsa_memory_ordered 1
		.amdhsa_forward_progress 1
		.amdhsa_inst_pref_size 95
		.amdhsa_round_robin_scheduling 0
		.amdhsa_exception_fp_ieee_invalid_op 0
		.amdhsa_exception_fp_denorm_src 0
		.amdhsa_exception_fp_ieee_div_zero 0
		.amdhsa_exception_fp_ieee_overflow 0
		.amdhsa_exception_fp_ieee_underflow 0
		.amdhsa_exception_fp_ieee_inexact 0
		.amdhsa_exception_int_div_zero 0
	.end_amdhsa_kernel
	.section	.text._Z16sort_keys_kernelIiLj128ELj8EN10test_utils4lessELj10EEvPKT_PS2_T2_,"axG",@progbits,_Z16sort_keys_kernelIiLj128ELj8EN10test_utils4lessELj10EEvPKT_PS2_T2_,comdat
.Lfunc_end18:
	.size	_Z16sort_keys_kernelIiLj128ELj8EN10test_utils4lessELj10EEvPKT_PS2_T2_, .Lfunc_end18-_Z16sort_keys_kernelIiLj128ELj8EN10test_utils4lessELj10EEvPKT_PS2_T2_
                                        ; -- End function
	.set _Z16sort_keys_kernelIiLj128ELj8EN10test_utils4lessELj10EEvPKT_PS2_T2_.num_vgpr, 74
	.set _Z16sort_keys_kernelIiLj128ELj8EN10test_utils4lessELj10EEvPKT_PS2_T2_.num_agpr, 0
	.set _Z16sort_keys_kernelIiLj128ELj8EN10test_utils4lessELj10EEvPKT_PS2_T2_.numbered_sgpr, 22
	.set _Z16sort_keys_kernelIiLj128ELj8EN10test_utils4lessELj10EEvPKT_PS2_T2_.num_named_barrier, 0
	.set _Z16sort_keys_kernelIiLj128ELj8EN10test_utils4lessELj10EEvPKT_PS2_T2_.private_seg_size, 0
	.set _Z16sort_keys_kernelIiLj128ELj8EN10test_utils4lessELj10EEvPKT_PS2_T2_.uses_vcc, 1
	.set _Z16sort_keys_kernelIiLj128ELj8EN10test_utils4lessELj10EEvPKT_PS2_T2_.uses_flat_scratch, 0
	.set _Z16sort_keys_kernelIiLj128ELj8EN10test_utils4lessELj10EEvPKT_PS2_T2_.has_dyn_sized_stack, 0
	.set _Z16sort_keys_kernelIiLj128ELj8EN10test_utils4lessELj10EEvPKT_PS2_T2_.has_recursion, 0
	.set _Z16sort_keys_kernelIiLj128ELj8EN10test_utils4lessELj10EEvPKT_PS2_T2_.has_indirect_call, 0
	.section	.AMDGPU.csdata,"",@progbits
; Kernel info:
; codeLenInByte = 12104
; TotalNumSgprs: 24
; NumVgprs: 74
; ScratchSize: 0
; MemoryBound: 0
; FloatMode: 240
; IeeeMode: 1
; LDSByteSize: 4100 bytes/workgroup (compile time only)
; SGPRBlocks: 0
; VGPRBlocks: 9
; NumSGPRsForWavesPerEU: 24
; NumVGPRsForWavesPerEU: 74
; Occupancy: 16
; WaveLimiterHint : 1
; COMPUTE_PGM_RSRC2:SCRATCH_EN: 0
; COMPUTE_PGM_RSRC2:USER_SGPR: 2
; COMPUTE_PGM_RSRC2:TRAP_HANDLER: 0
; COMPUTE_PGM_RSRC2:TGID_X_EN: 1
; COMPUTE_PGM_RSRC2:TGID_Y_EN: 0
; COMPUTE_PGM_RSRC2:TGID_Z_EN: 0
; COMPUTE_PGM_RSRC2:TIDIG_COMP_CNT: 0
	.section	.text._Z17sort_pairs_kernelIiLj128ELj8EN10test_utils4lessELj10EEvPKT_PS2_T2_,"axG",@progbits,_Z17sort_pairs_kernelIiLj128ELj8EN10test_utils4lessELj10EEvPKT_PS2_T2_,comdat
	.protected	_Z17sort_pairs_kernelIiLj128ELj8EN10test_utils4lessELj10EEvPKT_PS2_T2_ ; -- Begin function _Z17sort_pairs_kernelIiLj128ELj8EN10test_utils4lessELj10EEvPKT_PS2_T2_
	.globl	_Z17sort_pairs_kernelIiLj128ELj8EN10test_utils4lessELj10EEvPKT_PS2_T2_
	.p2align	8
	.type	_Z17sort_pairs_kernelIiLj128ELj8EN10test_utils4lessELj10EEvPKT_PS2_T2_,@function
_Z17sort_pairs_kernelIiLj128ELj8EN10test_utils4lessELj10EEvPKT_PS2_T2_: ; @_Z17sort_pairs_kernelIiLj128ELj8EN10test_utils4lessELj10EEvPKT_PS2_T2_
; %bb.0:
	s_load_b128 s[44:47], s[0:1], 0x0
	s_lshl_b32 s50, ttmp9, 10
	s_mov_b32 s51, 0
	v_lshlrev_b32_e32 v1, 2, v0
	s_lshl_b64 s[48:49], s[50:51], 2
	v_lshlrev_b32_e32 v10, 3, v0
	s_delay_alu instid0(VALU_DEP_1)
	v_and_b32_e32 v2, 0x3f0, v10
	v_and_b32_e32 v3, 0x3e0, v10
	;; [unrolled: 1-line block ×5, first 2 shown]
	v_or_b32_e32 v11, 8, v2
	v_add_nc_u32_e32 v12, 16, v2
	v_or_b32_e32 v14, 16, v3
	v_add_nc_u32_e32 v15, 32, v3
	v_and_b32_e32 v5, 0x380, v10
	s_wait_kmcnt 0x0
	s_add_nc_u64 s[0:1], s[44:45], s[48:49]
	v_sub_nc_u32_e32 v53, v12, v11
	s_clause 0x7
	global_load_b32 v70, v1, s[0:1]
	global_load_b32 v71, v1, s[0:1] offset:512
	global_load_b32 v65, v1, s[0:1] offset:1024
	;; [unrolled: 1-line block ×7, first 2 shown]
	v_or_b32_e32 v17, 32, v4
	v_add_nc_u32_e32 v18, 64, v4
	v_sub_nc_u32_e32 v41, v11, v2
	v_sub_nc_u32_e32 v54, v15, v14
	;; [unrolled: 1-line block ×3, first 2 shown]
	v_cmp_ge_i32_e64 s0, v47, v53
	v_and_b32_e32 v49, 56, v10
	v_and_b32_e32 v6, 0x300, v10
	v_or_b32_e32 v20, 64, v5
	v_add_nc_u32_e32 v21, 0x80, v5
	v_lshlrev_b32_e32 v35, 2, v47
	v_add_nc_u32_e32 v29, v11, v47
	v_sub_nc_u32_e32 v42, v14, v3
	v_sub_nc_u32_e32 v55, v18, v17
	v_min_i32_e32 v41, v47, v41
	v_sub_nc_u32_e32 v60, v48, v54
	v_cndmask_b32_e64 v47, 0, v59, s0
	v_cmp_ge_i32_e64 s0, v48, v54
	v_and_b32_e32 v50, 0x78, v10
	v_and_b32_e32 v7, 0x200, v10
	v_or_b32_e32 v23, 0x80, v6
	v_add_nc_u32_e32 v24, 0x100, v6
	v_lshlrev_b32_e32 v36, 2, v48
	v_add_nc_u32_e32 v30, v14, v48
	v_sub_nc_u32_e32 v43, v17, v4
	v_sub_nc_u32_e32 v56, v21, v20
	v_min_i32_e32 v42, v48, v42
	v_sub_nc_u32_e32 v61, v49, v55
	s_wait_alu 0xf1ff
	v_cndmask_b32_e64 v48, 0, v60, s0
	v_cmp_ge_i32_e64 s0, v49, v55
	v_and_b32_e32 v51, 0xf8, v10
	v_or_b32_e32 v26, 0x100, v7
	v_add_nc_u32_e32 v27, 0x200, v7
	v_lshlrev_b32_e32 v37, 2, v49
	v_add_nc_u32_e32 v31, v17, v49
	v_sub_nc_u32_e32 v44, v20, v5
	v_sub_nc_u32_e32 v57, v24, v23
	v_min_i32_e32 v43, v49, v43
	v_sub_nc_u32_e32 v68, v50, v56
	s_wait_alu 0xf1ff
	v_cndmask_b32_e64 v49, 0, v61, s0
	v_cmp_ge_i32_e64 s0, v50, v56
	v_and_b32_e32 v52, 0x1f8, v10
	v_lshlrev_b32_e32 v38, 2, v50
	v_add_nc_u32_e32 v32, v20, v50
	v_sub_nc_u32_e32 v45, v23, v6
	v_sub_nc_u32_e32 v58, v27, v26
	v_min_i32_e32 v44, v50, v44
	v_sub_nc_u32_e32 v69, v51, v57
	s_wait_alu 0xf1ff
	v_cndmask_b32_e64 v50, 0, v68, s0
	v_cmp_ge_i32_e64 s0, v51, v57
	v_lshlrev_b32_e32 v39, 2, v51
	v_add_nc_u32_e32 v33, v23, v51
	v_sub_nc_u32_e32 v46, v26, v7
	v_min_i32_e32 v45, v51, v45
	v_sub_nc_u32_e32 v72, v52, v58
	s_wait_alu 0xf1ff
	v_cndmask_b32_e64 v51, 0, v69, s0
	v_cmp_ge_i32_e64 s0, v52, v58
	v_lshlrev_b32_e32 v1, 5, v0
	v_lshlrev_b32_e32 v40, 2, v52
	v_add_nc_u32_e32 v34, v26, v52
	v_min_i32_e32 v46, v52, v46
	s_wait_alu 0xf1ff
	v_cndmask_b32_e64 v52, 0, v72, s0
	v_subrev_nc_u32_e64 v8, 0x200, v10 clamp
	v_min_i32_e32 v9, 0x200, v10
	v_add_nc_u32_e32 v10, 0x200, v10
	v_lshlrev_b32_e32 v13, 2, v2
	v_lshlrev_b32_e32 v16, 2, v3
	;; [unrolled: 1-line block ×6, first 2 shown]
	v_lshl_add_u32 v35, v11, 2, v35
	v_lshl_add_u32 v36, v14, 2, v36
	;; [unrolled: 1-line block ×6, first 2 shown]
	v_cmp_lt_i32_e64 s0, v47, v41
	v_cmp_lt_i32_e64 s1, v48, v42
	;; [unrolled: 1-line block ×6, first 2 shown]
	v_add_nc_u32_e32 v53, 0x800, v1
	v_cmp_lt_i32_e32 vcc_lo, v8, v9
	s_wait_loadcnt 0x7
	v_add_nc_u32_e32 v57, 1, v70
	s_wait_loadcnt 0x6
	v_add_nc_u32_e32 v60, 1, v71
	s_wait_loadcnt 0x5
	v_add_nc_u32_e32 v58, 1, v65
	s_wait_loadcnt 0x4
	v_add_nc_u32_e32 v61, 1, v67
	s_wait_loadcnt 0x3
	v_add_nc_u32_e32 v59, 1, v66
	s_wait_loadcnt 0x2
	v_add_nc_u32_e32 v56, 1, v64
	s_wait_loadcnt 0x1
	v_add_nc_u32_e32 v54, 1, v63
	s_wait_loadcnt 0x0
	v_add_nc_u32_e32 v55, 1, v62
	s_branch .LBB19_2
.LBB19_1:                               ;   in Loop: Header=BB19_2 Depth=1
	s_or_b32 exec_lo, exec_lo, s13
	v_cmp_le_i32_e64 s13, 0x200, v90
	s_wait_dscnt 0x0
	v_cmp_lt_i32_e64 s14, v93, v91
	v_cmp_gt_i32_e64 s15, 0x400, v88
	v_cndmask_b32_e64 v67, v62, v67, s6
	v_cndmask_b32_e64 v70, v70, v71, s7
	;; [unrolled: 1-line block ×3, first 2 shown]
	s_or_b32 s13, s13, s14
	v_cndmask_b32_e64 v78, v78, v79, s9
	s_wait_alu 0xfffe
	s_and_b32 s13, s15, s13
	v_cndmask_b32_e64 v83, v83, v84, s10
	v_cndmask_b32_e64 v86, v86, v87, s11
	s_wait_alu 0xfffe
	v_cndmask_b32_e64 v71, v90, v88, s13
	s_wait_loadcnt 0x0
	s_barrier_signal -1
	s_barrier_wait -1
	global_inv scope:SCOPE_SE
	ds_store_2addr_b32 v1, v54, v55 offset1:1
	ds_store_2addr_b32 v1, v56, v57 offset0:2 offset1:3
	ds_store_2addr_b32 v1, v58, v59 offset0:4 offset1:5
	;; [unrolled: 1-line block ×3, first 2 shown]
	v_lshlrev_b32_e32 v54, 2, v67
	v_lshlrev_b32_e32 v55, 2, v70
	;; [unrolled: 1-line block ×5, first 2 shown]
	s_wait_loadcnt_dscnt 0x0
	s_barrier_signal -1
	s_barrier_wait -1
	global_inv scope:SCOPE_SE
	v_lshlrev_b32_e32 v70, 2, v86
	v_lshlrev_b32_e32 v74, 2, v89
	;; [unrolled: 1-line block ×3, first 2 shown]
	ds_load_b32 v57, v54
	ds_load_b32 v60, v55
	;; [unrolled: 1-line block ×8, first 2 shown]
	v_cndmask_b32_e64 v62, v91, v93, s13
	v_cndmask_b32_e64 v70, v63, v64, s6
	;; [unrolled: 1-line block ×8, first 2 shown]
	s_add_co_i32 s51, s51, 1
	s_delay_alu instid0(SALU_CYCLE_1)
	s_cmp_eq_u32 s51, 10
	s_cbranch_scc1 .LBB19_226
.LBB19_2:                               ; =>This Loop Header: Depth=1
                                        ;     Child Loop BB19_4 Depth 2
                                        ;     Child Loop BB19_36 Depth 2
	;; [unrolled: 1-line block ×7, first 2 shown]
	v_cmp_lt_i32_e64 s6, v71, v70
	v_cmp_lt_i32_e64 s7, v67, v65
	;; [unrolled: 1-line block ×4, first 2 shown]
	s_wait_alu 0xf1ff
	v_cndmask_b32_e64 v68, v70, v71, s6
	v_cndmask_b32_e64 v69, v67, v65, s7
	;; [unrolled: 1-line block ×8, first 2 shown]
	v_cmp_lt_i32_e64 s10, v65, v70
	s_barrier_signal -1
	v_cmp_lt_i32_e64 s11, v64, v69
	s_barrier_wait -1
	v_cmp_lt_i32_e64 s12, v62, v67
	s_wait_alu 0xf1ff
	v_cndmask_b32_e64 v63, v65, v70, s10
	v_cndmask_b32_e64 v65, v70, v65, s10
	;; [unrolled: 1-line block ×6, first 2 shown]
	v_cmp_lt_i32_e64 s13, v65, v68
	global_inv scope:SCOPE_SE
	v_cmp_lt_i32_e64 s14, v64, v63
	v_cmp_lt_i32_e64 s16, v66, v69
	;; [unrolled: 1-line block ×3, first 2 shown]
	s_wait_alu 0xf1ff
	v_cndmask_b32_e64 v67, v68, v65, s13
	v_cndmask_b32_e64 v65, v65, v68, s13
	;; [unrolled: 1-line block ×8, first 2 shown]
	v_cmp_lt_i32_e64 s17, v63, v65
	s_delay_alu instid0(VALU_DEP_4) | instskip(NEXT) | instid1(VALU_DEP_3)
	v_cmp_lt_i32_e64 s18, v62, v68
	v_cmp_lt_i32_e64 s19, v66, v64
	s_wait_alu 0xf1ff
	s_delay_alu instid0(VALU_DEP_3)
	v_cndmask_b32_e64 v69, v63, v65, s17
	v_cndmask_b32_e64 v63, v65, v63, s17
	;; [unrolled: 1-line block ×6, first 2 shown]
	v_cmp_lt_i32_e64 s20, v63, v67
	s_delay_alu instid0(VALU_DEP_4) | instskip(NEXT) | instid1(VALU_DEP_4)
	v_cmp_lt_i32_e64 s21, v62, v69
	v_cmp_lt_i32_e64 s23, v70, v68
	s_delay_alu instid0(VALU_DEP_4)
	v_cmp_lt_i32_e64 s22, v64, v65
	s_wait_alu 0xf1ff
	v_cndmask_b32_e64 v66, v67, v63, s20
	v_cndmask_b32_e64 v63, v63, v67, s20
	;; [unrolled: 1-line block ×8, first 2 shown]
	v_cmp_lt_i32_e64 s24, v62, v63
	s_delay_alu instid0(VALU_DEP_4) | instskip(NEXT) | instid1(VALU_DEP_3)
	v_cmp_lt_i32_e64 s25, v64, v67
	v_cmp_lt_i32_e64 s26, v68, v69
	s_wait_alu 0xf1ff
	s_delay_alu instid0(VALU_DEP_3)
	v_cndmask_b32_e64 v70, v62, v63, s24
	v_cndmask_b32_e64 v62, v63, v62, s24
	;; [unrolled: 1-line block ×6, first 2 shown]
	v_cmp_lt_i32_e64 s27, v62, v66
	s_delay_alu instid0(VALU_DEP_4) | instskip(NEXT) | instid1(VALU_DEP_4)
	v_cmp_lt_i32_e64 s28, v64, v70
	v_cmp_lt_i32_e64 s33, v65, v67
	s_delay_alu instid0(VALU_DEP_4)
	v_cmp_lt_i32_e64 s30, v68, v63
	s_wait_alu 0xf1ff
	v_cndmask_b32_e64 v69, v66, v62, s27
	v_cndmask_b32_e64 v62, v62, v66, s27
	;; [unrolled: 1-line block ×8, first 2 shown]
	v_cmp_lt_i32_e64 s34, v64, v62
	s_delay_alu instid0(VALU_DEP_4) | instskip(NEXT) | instid1(VALU_DEP_3)
	v_cmp_lt_i32_e64 s29, v63, v66
	v_cmp_lt_i32_e64 s31, v65, v70
	s_wait_alu 0xf1ff
	s_delay_alu instid0(VALU_DEP_3)
	v_cndmask_b32_e64 v67, v64, v62, s34
	v_cndmask_b32_e64 v62, v62, v64, s34
	;; [unrolled: 1-line block ×6, first 2 shown]
	ds_store_2addr_b32 v1, v69, v62 offset1:1
	ds_store_2addr_b32 v1, v67, v63 offset0:2 offset1:3
	ds_store_2addr_b32 v1, v64, v65 offset0:4 offset1:5
	;; [unrolled: 1-line block ×3, first 2 shown]
	v_mov_b32_e32 v64, v47
	s_wait_loadcnt_dscnt 0x0
	s_barrier_signal -1
	s_barrier_wait -1
	global_inv scope:SCOPE_SE
	s_and_saveexec_b32 s36, s0
	s_cbranch_execz .LBB19_6
; %bb.3:                                ;   in Loop: Header=BB19_2 Depth=1
	v_mov_b32_e32 v64, v47
	v_mov_b32_e32 v62, v41
	s_mov_b32 s37, 0
.LBB19_4:                               ;   Parent Loop BB19_2 Depth=1
                                        ; =>  This Inner Loop Header: Depth=2
	s_delay_alu instid0(VALU_DEP_1) | instskip(NEXT) | instid1(VALU_DEP_1)
	v_sub_nc_u32_e32 v63, v62, v64
	v_lshrrev_b32_e32 v63, 1, v63
	s_delay_alu instid0(VALU_DEP_1) | instskip(NEXT) | instid1(VALU_DEP_1)
	v_add_nc_u32_e32 v63, v63, v64
	v_not_b32_e32 v65, v63
	v_lshl_add_u32 v66, v63, 2, v13
	v_add_nc_u32_e32 v67, 1, v63
	s_delay_alu instid0(VALU_DEP_3)
	v_lshl_add_u32 v65, v65, 2, v35
	ds_load_b32 v66, v66
	ds_load_b32 v65, v65
	s_wait_dscnt 0x0
	v_cmp_lt_i32_e64 s35, v65, v66
	s_wait_alu 0xf1ff
	s_delay_alu instid0(VALU_DEP_1) | instskip(SKIP_1) | instid1(VALU_DEP_1)
	v_cndmask_b32_e64 v62, v62, v63, s35
	v_cndmask_b32_e64 v64, v67, v64, s35
	v_cmp_ge_i32_e64 s35, v64, v62
	s_wait_alu 0xfffe
	s_or_b32 s37, s35, s37
	s_wait_alu 0xfffe
	s_and_not1_b32 exec_lo, exec_lo, s37
	s_cbranch_execnz .LBB19_4
; %bb.5:                                ;   in Loop: Header=BB19_2 Depth=1
	s_or_b32 exec_lo, exec_lo, s37
.LBB19_6:                               ;   in Loop: Header=BB19_2 Depth=1
	s_wait_alu 0xfffe
	s_or_b32 exec_lo, exec_lo, s36
	v_sub_nc_u32_e32 v68, v29, v64
	v_lshl_add_u32 v65, v64, 2, v13
	v_add_nc_u32_e32 v70, v64, v2
                                        ; implicit-def: $vgpr64
	s_delay_alu instid0(VALU_DEP_3) | instskip(SKIP_1) | instid1(VALU_DEP_3)
	v_lshlrev_b32_e32 v66, 2, v68
	v_cmp_gt_i32_e64 s37, v12, v68
	v_cmp_le_i32_e64 s35, v11, v70
	ds_load_b32 v62, v65
	ds_load_b32 v63, v66
	s_wait_dscnt 0x0
	v_cmp_lt_i32_e64 s36, v63, v62
	s_or_b32 s35, s35, s36
	s_wait_alu 0xfffe
	s_and_b32 s35, s37, s35
	s_wait_alu 0xfffe
	s_xor_b32 s36, s35, -1
	s_wait_alu 0xfffe
	s_and_saveexec_b32 s37, s36
	s_wait_alu 0xfffe
	s_xor_b32 s36, exec_lo, s37
; %bb.7:                                ;   in Loop: Header=BB19_2 Depth=1
	ds_load_b32 v64, v65 offset:4
                                        ; implicit-def: $vgpr66
; %bb.8:                                ;   in Loop: Header=BB19_2 Depth=1
	s_wait_alu 0xfffe
	s_or_saveexec_b32 s36, s36
	v_mov_b32_e32 v65, v63
	s_wait_alu 0xfffe
	s_xor_b32 exec_lo, exec_lo, s36
	s_cbranch_execz .LBB19_10
; %bb.9:                                ;   in Loop: Header=BB19_2 Depth=1
	ds_load_b32 v65, v66 offset:4
	s_wait_dscnt 0x1
	v_mov_b32_e32 v64, v62
.LBB19_10:                              ;   in Loop: Header=BB19_2 Depth=1
	s_or_b32 exec_lo, exec_lo, s36
	v_add_nc_u32_e32 v66, 1, v70
	v_add_nc_u32_e32 v67, 1, v68
	s_wait_dscnt 0x0
	v_cmp_lt_i32_e64 s37, v65, v64
	s_delay_alu instid0(VALU_DEP_3) | instskip(NEXT) | instid1(VALU_DEP_3)
	v_cndmask_b32_e64 v73, v66, v70, s35
	v_cndmask_b32_e64 v74, v68, v67, s35
                                        ; implicit-def: $vgpr66
	s_delay_alu instid0(VALU_DEP_2) | instskip(NEXT) | instid1(VALU_DEP_2)
	v_cmp_ge_i32_e64 s36, v73, v11
	v_cmp_lt_i32_e64 s38, v74, v12
	s_or_b32 s36, s36, s37
	s_wait_alu 0xfffe
	s_and_b32 s36, s38, s36
	s_wait_alu 0xfffe
	s_xor_b32 s37, s36, -1
	s_wait_alu 0xfffe
	s_and_saveexec_b32 s38, s37
	s_wait_alu 0xfffe
	s_xor_b32 s37, exec_lo, s38
; %bb.11:                               ;   in Loop: Header=BB19_2 Depth=1
	v_lshlrev_b32_e32 v66, 2, v73
	ds_load_b32 v66, v66 offset:4
; %bb.12:                               ;   in Loop: Header=BB19_2 Depth=1
	s_wait_alu 0xfffe
	s_or_saveexec_b32 s37, s37
	v_mov_b32_e32 v67, v65
	s_wait_alu 0xfffe
	s_xor_b32 exec_lo, exec_lo, s37
	s_cbranch_execz .LBB19_14
; %bb.13:                               ;   in Loop: Header=BB19_2 Depth=1
	s_wait_dscnt 0x0
	v_lshlrev_b32_e32 v66, 2, v74
	ds_load_b32 v67, v66 offset:4
	v_mov_b32_e32 v66, v64
.LBB19_14:                              ;   in Loop: Header=BB19_2 Depth=1
	s_or_b32 exec_lo, exec_lo, s37
	v_add_nc_u32_e32 v69, 1, v73
	v_add_nc_u32_e32 v71, 1, v74
	s_wait_dscnt 0x0
	v_cmp_lt_i32_e64 s38, v67, v66
	s_delay_alu instid0(VALU_DEP_3) | instskip(NEXT) | instid1(VALU_DEP_3)
	v_cndmask_b32_e64 v77, v69, v73, s36
	v_cndmask_b32_e64 v78, v74, v71, s36
                                        ; implicit-def: $vgpr69
	s_delay_alu instid0(VALU_DEP_2) | instskip(NEXT) | instid1(VALU_DEP_2)
	v_cmp_ge_i32_e64 s37, v77, v11
	v_cmp_lt_i32_e64 s39, v78, v12
	s_or_b32 s37, s37, s38
	s_wait_alu 0xfffe
	s_and_b32 s37, s39, s37
	s_wait_alu 0xfffe
	s_xor_b32 s38, s37, -1
	s_wait_alu 0xfffe
	s_and_saveexec_b32 s39, s38
	s_wait_alu 0xfffe
	s_xor_b32 s38, exec_lo, s39
; %bb.15:                               ;   in Loop: Header=BB19_2 Depth=1
	v_lshlrev_b32_e32 v69, 2, v77
	ds_load_b32 v69, v69 offset:4
; %bb.16:                               ;   in Loop: Header=BB19_2 Depth=1
	s_wait_alu 0xfffe
	s_or_saveexec_b32 s38, s38
	v_mov_b32_e32 v71, v67
	s_wait_alu 0xfffe
	s_xor_b32 exec_lo, exec_lo, s38
	s_cbranch_execz .LBB19_18
; %bb.17:                               ;   in Loop: Header=BB19_2 Depth=1
	s_wait_dscnt 0x0
	v_lshlrev_b32_e32 v69, 2, v78
	ds_load_b32 v71, v69 offset:4
	v_mov_b32_e32 v69, v66
.LBB19_18:                              ;   in Loop: Header=BB19_2 Depth=1
	s_or_b32 exec_lo, exec_lo, s38
	v_add_nc_u32_e32 v72, 1, v77
	v_add_nc_u32_e32 v75, 1, v78
	s_wait_dscnt 0x0
	v_cmp_lt_i32_e64 s39, v71, v69
	s_delay_alu instid0(VALU_DEP_3) | instskip(NEXT) | instid1(VALU_DEP_3)
	v_cndmask_b32_e64 v80, v72, v77, s37
	v_cndmask_b32_e64 v81, v78, v75, s37
                                        ; implicit-def: $vgpr72
	s_delay_alu instid0(VALU_DEP_2) | instskip(NEXT) | instid1(VALU_DEP_2)
	v_cmp_ge_i32_e64 s38, v80, v11
	v_cmp_lt_i32_e64 s40, v81, v12
	s_or_b32 s38, s38, s39
	s_wait_alu 0xfffe
	s_and_b32 s38, s40, s38
	s_wait_alu 0xfffe
	s_xor_b32 s39, s38, -1
	s_wait_alu 0xfffe
	s_and_saveexec_b32 s40, s39
	s_wait_alu 0xfffe
	s_xor_b32 s39, exec_lo, s40
; %bb.19:                               ;   in Loop: Header=BB19_2 Depth=1
	v_lshlrev_b32_e32 v72, 2, v80
	ds_load_b32 v72, v72 offset:4
; %bb.20:                               ;   in Loop: Header=BB19_2 Depth=1
	s_wait_alu 0xfffe
	s_or_saveexec_b32 s39, s39
	v_mov_b32_e32 v75, v71
	s_wait_alu 0xfffe
	s_xor_b32 exec_lo, exec_lo, s39
	s_cbranch_execz .LBB19_22
; %bb.21:                               ;   in Loop: Header=BB19_2 Depth=1
	s_wait_dscnt 0x0
	v_lshlrev_b32_e32 v72, 2, v81
	ds_load_b32 v75, v72 offset:4
	v_mov_b32_e32 v72, v69
.LBB19_22:                              ;   in Loop: Header=BB19_2 Depth=1
	s_or_b32 exec_lo, exec_lo, s39
	v_add_nc_u32_e32 v76, 1, v80
	v_add_nc_u32_e32 v79, 1, v81
	s_wait_dscnt 0x0
	v_cmp_lt_i32_e64 s40, v75, v72
	s_delay_alu instid0(VALU_DEP_3) | instskip(NEXT) | instid1(VALU_DEP_3)
	v_cndmask_b32_e64 v82, v76, v80, s38
	v_cndmask_b32_e64 v83, v81, v79, s38
                                        ; implicit-def: $vgpr76
	s_delay_alu instid0(VALU_DEP_2) | instskip(NEXT) | instid1(VALU_DEP_2)
	v_cmp_ge_i32_e64 s39, v82, v11
	v_cmp_lt_i32_e64 s41, v83, v12
	s_or_b32 s39, s39, s40
	s_wait_alu 0xfffe
	s_and_b32 s39, s41, s39
	s_wait_alu 0xfffe
	s_xor_b32 s40, s39, -1
	s_wait_alu 0xfffe
	s_and_saveexec_b32 s41, s40
	s_wait_alu 0xfffe
	s_xor_b32 s40, exec_lo, s41
; %bb.23:                               ;   in Loop: Header=BB19_2 Depth=1
	v_lshlrev_b32_e32 v76, 2, v82
	ds_load_b32 v76, v76 offset:4
; %bb.24:                               ;   in Loop: Header=BB19_2 Depth=1
	s_wait_alu 0xfffe
	s_or_saveexec_b32 s40, s40
	v_mov_b32_e32 v79, v75
	s_wait_alu 0xfffe
	s_xor_b32 exec_lo, exec_lo, s40
	s_cbranch_execz .LBB19_26
; %bb.25:                               ;   in Loop: Header=BB19_2 Depth=1
	s_wait_dscnt 0x0
	v_lshlrev_b32_e32 v76, 2, v83
	ds_load_b32 v79, v76 offset:4
	v_mov_b32_e32 v76, v72
.LBB19_26:                              ;   in Loop: Header=BB19_2 Depth=1
	s_or_b32 exec_lo, exec_lo, s40
	v_add_nc_u32_e32 v84, 1, v82
	v_add_nc_u32_e32 v85, 1, v83
	s_wait_dscnt 0x0
	v_cmp_lt_i32_e64 s41, v79, v76
                                        ; implicit-def: $vgpr88
	s_delay_alu instid0(VALU_DEP_3) | instskip(NEXT) | instid1(VALU_DEP_3)
	v_cndmask_b32_e64 v86, v84, v82, s39
	v_cndmask_b32_e64 v87, v83, v85, s39
	s_delay_alu instid0(VALU_DEP_2) | instskip(NEXT) | instid1(VALU_DEP_2)
	v_cmp_ge_i32_e64 s40, v86, v11
	v_cmp_lt_i32_e64 s42, v87, v12
	s_or_b32 s40, s40, s41
	s_wait_alu 0xfffe
	s_and_b32 s40, s42, s40
	s_wait_alu 0xfffe
	s_xor_b32 s41, s40, -1
	s_wait_alu 0xfffe
	s_and_saveexec_b32 s42, s41
	s_delay_alu instid0(SALU_CYCLE_1)
	s_xor_b32 s41, exec_lo, s42
; %bb.27:                               ;   in Loop: Header=BB19_2 Depth=1
	v_lshlrev_b32_e32 v84, 2, v86
	ds_load_b32 v88, v84 offset:4
; %bb.28:                               ;   in Loop: Header=BB19_2 Depth=1
	s_wait_alu 0xfffe
	s_or_saveexec_b32 s41, s41
	v_mov_b32_e32 v89, v79
	s_wait_alu 0xfffe
	s_xor_b32 exec_lo, exec_lo, s41
	s_cbranch_execz .LBB19_30
; %bb.29:                               ;   in Loop: Header=BB19_2 Depth=1
	v_lshlrev_b32_e32 v84, 2, v87
	s_wait_dscnt 0x0
	v_mov_b32_e32 v88, v76
	ds_load_b32 v89, v84 offset:4
.LBB19_30:                              ;   in Loop: Header=BB19_2 Depth=1
	s_or_b32 exec_lo, exec_lo, s41
	v_add_nc_u32_e32 v84, 1, v86
	v_add_nc_u32_e32 v85, 1, v87
	s_wait_dscnt 0x0
	v_cmp_lt_i32_e64 s42, v89, v88
	s_delay_alu instid0(VALU_DEP_3) | instskip(NEXT) | instid1(VALU_DEP_3)
	v_cndmask_b32_e64 v90, v84, v86, s40
	v_cndmask_b32_e64 v91, v87, v85, s40
                                        ; implicit-def: $vgpr84
	s_delay_alu instid0(VALU_DEP_2) | instskip(NEXT) | instid1(VALU_DEP_2)
	v_cmp_ge_i32_e64 s41, v90, v11
	v_cmp_lt_i32_e64 s43, v91, v12
	s_or_b32 s41, s41, s42
	s_wait_alu 0xfffe
	s_and_b32 s41, s43, s41
	s_wait_alu 0xfffe
	s_xor_b32 s42, s41, -1
	s_delay_alu instid0(SALU_CYCLE_1) | instskip(NEXT) | instid1(SALU_CYCLE_1)
	s_and_saveexec_b32 s43, s42
	s_xor_b32 s42, exec_lo, s43
; %bb.31:                               ;   in Loop: Header=BB19_2 Depth=1
	v_lshlrev_b32_e32 v84, 2, v90
	ds_load_b32 v84, v84 offset:4
; %bb.32:                               ;   in Loop: Header=BB19_2 Depth=1
	s_or_saveexec_b32 s42, s42
	v_mov_b32_e32 v85, v89
	s_xor_b32 exec_lo, exec_lo, s42
	s_cbranch_execz .LBB19_34
; %bb.33:                               ;   in Loop: Header=BB19_2 Depth=1
	s_wait_dscnt 0x0
	v_lshlrev_b32_e32 v84, 2, v91
	ds_load_b32 v85, v84 offset:4
	v_mov_b32_e32 v84, v88
.LBB19_34:                              ;   in Loop: Header=BB19_2 Depth=1
	s_or_b32 exec_lo, exec_lo, s42
	v_cndmask_b32_e64 v68, v70, v68, s35
	v_cndmask_b32_e64 v70, v57, v60, s6
	;; [unrolled: 1-line block ×29, first 2 shown]
	v_add_nc_u32_e32 v93, 1, v90
	v_cndmask_b32_e64 v59, v61, v55, s20
	v_cndmask_b32_e64 v55, v55, v61, s20
	;; [unrolled: 1-line block ×8, first 2 shown]
	v_add_nc_u32_e32 v92, 1, v91
	v_cndmask_b32_e64 v88, v88, v89, s41
	v_cndmask_b32_e64 v89, v90, v91, s41
	;; [unrolled: 1-line block ×14, first 2 shown]
	v_cmp_ge_i32_e64 s6, v90, v11
	s_wait_dscnt 0x0
	v_cmp_lt_i32_e64 s7, v85, v84
	v_cndmask_b32_e64 v70, v58, v55, s30
	v_cndmask_b32_e64 v55, v55, v58, s30
	;; [unrolled: 1-line block ×4, first 2 shown]
	v_cmp_lt_i32_e64 s8, v91, v12
	v_cndmask_b32_e64 v61, v56, v54, s34
	v_cndmask_b32_e64 v54, v54, v56, s34
	s_or_b32 s6, s6, s7
	v_cndmask_b32_e64 v73, v73, v74, s36
	v_cndmask_b32_e64 v56, v55, v59, s29
	;; [unrolled: 1-line block ×6, first 2 shown]
	s_wait_alu 0xfffe
	s_and_b32 s6, s8, s6
	v_cndmask_b32_e64 v80, v80, v81, s38
	v_cndmask_b32_e64 v86, v86, v87, s40
	;; [unrolled: 1-line block ×3, first 2 shown]
	s_wait_alu 0xfffe
	v_cndmask_b32_e64 v74, v90, v91, s6
	s_wait_loadcnt 0x0
	s_barrier_signal -1
	s_barrier_wait -1
	global_inv scope:SCOPE_SE
	ds_store_2addr_b32 v1, v60, v54 offset1:1
	ds_store_2addr_b32 v1, v61, v55 offset0:2 offset1:3
	ds_store_2addr_b32 v1, v56, v57 offset0:4 offset1:5
	;; [unrolled: 1-line block ×3, first 2 shown]
	v_lshlrev_b32_e32 v54, 2, v68
	v_lshlrev_b32_e32 v55, 2, v73
	;; [unrolled: 1-line block ×8, first 2 shown]
	s_wait_loadcnt_dscnt 0x0
	s_barrier_signal -1
	s_barrier_wait -1
	global_inv scope:SCOPE_SE
	ds_load_b32 v54, v54
	ds_load_b32 v55, v55
	;; [unrolled: 1-line block ×8, first 2 shown]
	v_cndmask_b32_e64 v64, v64, v65, s36
	v_cndmask_b32_e64 v62, v62, v63, s35
	;; [unrolled: 1-line block ×7, first 2 shown]
	s_wait_loadcnt_dscnt 0x0
	s_barrier_signal -1
	s_barrier_wait -1
	global_inv scope:SCOPE_SE
	ds_store_2addr_b32 v1, v62, v64 offset1:1
	ds_store_2addr_b32 v1, v66, v69 offset0:2 offset1:3
	ds_store_2addr_b32 v1, v72, v68 offset0:4 offset1:5
	;; [unrolled: 1-line block ×3, first 2 shown]
	v_mov_b32_e32 v64, v48
	s_wait_loadcnt_dscnt 0x0
	s_barrier_signal -1
	s_barrier_wait -1
	global_inv scope:SCOPE_SE
	s_and_saveexec_b32 s7, s1
	s_cbranch_execz .LBB19_38
; %bb.35:                               ;   in Loop: Header=BB19_2 Depth=1
	v_mov_b32_e32 v64, v48
	v_mov_b32_e32 v62, v42
	s_mov_b32 s8, 0
.LBB19_36:                              ;   Parent Loop BB19_2 Depth=1
                                        ; =>  This Inner Loop Header: Depth=2
	s_delay_alu instid0(VALU_DEP_1) | instskip(NEXT) | instid1(VALU_DEP_1)
	v_sub_nc_u32_e32 v63, v62, v64
	v_lshrrev_b32_e32 v63, 1, v63
	s_delay_alu instid0(VALU_DEP_1) | instskip(NEXT) | instid1(VALU_DEP_1)
	v_add_nc_u32_e32 v63, v63, v64
	v_not_b32_e32 v65, v63
	v_lshl_add_u32 v66, v63, 2, v16
	v_add_nc_u32_e32 v67, 1, v63
	s_delay_alu instid0(VALU_DEP_3)
	v_lshl_add_u32 v65, v65, 2, v36
	ds_load_b32 v66, v66
	ds_load_b32 v65, v65
	s_wait_dscnt 0x0
	v_cmp_lt_i32_e64 s6, v65, v66
	s_wait_alu 0xf1ff
	s_delay_alu instid0(VALU_DEP_1) | instskip(SKIP_1) | instid1(VALU_DEP_1)
	v_cndmask_b32_e64 v62, v62, v63, s6
	v_cndmask_b32_e64 v64, v67, v64, s6
	v_cmp_ge_i32_e64 s6, v64, v62
	s_wait_alu 0xfffe
	s_or_b32 s8, s6, s8
	s_wait_alu 0xfffe
	s_and_not1_b32 exec_lo, exec_lo, s8
	s_cbranch_execnz .LBB19_36
; %bb.37:                               ;   in Loop: Header=BB19_2 Depth=1
	s_or_b32 exec_lo, exec_lo, s8
.LBB19_38:                              ;   in Loop: Header=BB19_2 Depth=1
	s_wait_alu 0xfffe
	s_or_b32 exec_lo, exec_lo, s7
	v_sub_nc_u32_e32 v66, v30, v64
	v_lshl_add_u32 v65, v64, 2, v16
	v_add_nc_u32_e32 v67, v64, v3
                                        ; implicit-def: $vgpr64
	s_delay_alu instid0(VALU_DEP_3) | instskip(SKIP_1) | instid1(VALU_DEP_3)
	v_lshlrev_b32_e32 v68, 2, v66
	v_cmp_gt_i32_e64 s8, v15, v66
	v_cmp_le_i32_e64 s6, v14, v67
	ds_load_b32 v62, v65
	ds_load_b32 v63, v68
	s_wait_dscnt 0x0
	v_cmp_lt_i32_e64 s7, v63, v62
	s_or_b32 s6, s6, s7
	s_wait_alu 0xfffe
	s_and_b32 s6, s8, s6
	s_wait_alu 0xfffe
	s_xor_b32 s7, s6, -1
	s_wait_alu 0xfffe
	s_and_saveexec_b32 s8, s7
	s_wait_alu 0xfffe
	s_xor_b32 s7, exec_lo, s8
; %bb.39:                               ;   in Loop: Header=BB19_2 Depth=1
	ds_load_b32 v64, v65 offset:4
                                        ; implicit-def: $vgpr68
; %bb.40:                               ;   in Loop: Header=BB19_2 Depth=1
	s_wait_alu 0xfffe
	s_or_saveexec_b32 s7, s7
	v_mov_b32_e32 v65, v63
	s_wait_alu 0xfffe
	s_xor_b32 exec_lo, exec_lo, s7
	s_cbranch_execz .LBB19_42
; %bb.41:                               ;   in Loop: Header=BB19_2 Depth=1
	ds_load_b32 v65, v68 offset:4
	s_wait_dscnt 0x1
	v_mov_b32_e32 v64, v62
.LBB19_42:                              ;   in Loop: Header=BB19_2 Depth=1
	s_or_b32 exec_lo, exec_lo, s7
	v_add_nc_u32_e32 v68, 1, v67
	v_add_nc_u32_e32 v69, 1, v66
	s_wait_dscnt 0x0
	v_cmp_lt_i32_e64 s8, v65, v64
	s_delay_alu instid0(VALU_DEP_3) | instskip(NEXT) | instid1(VALU_DEP_3)
	v_cndmask_b32_e64 v70, v68, v67, s6
	v_cndmask_b32_e64 v71, v66, v69, s6
                                        ; implicit-def: $vgpr68
	s_delay_alu instid0(VALU_DEP_2) | instskip(NEXT) | instid1(VALU_DEP_2)
	v_cmp_ge_i32_e64 s7, v70, v14
	v_cmp_lt_i32_e64 s9, v71, v15
	s_or_b32 s7, s7, s8
	s_wait_alu 0xfffe
	s_and_b32 s7, s9, s7
	s_wait_alu 0xfffe
	s_xor_b32 s8, s7, -1
	s_wait_alu 0xfffe
	s_and_saveexec_b32 s9, s8
	s_wait_alu 0xfffe
	s_xor_b32 s8, exec_lo, s9
; %bb.43:                               ;   in Loop: Header=BB19_2 Depth=1
	v_lshlrev_b32_e32 v68, 2, v70
	ds_load_b32 v68, v68 offset:4
; %bb.44:                               ;   in Loop: Header=BB19_2 Depth=1
	s_wait_alu 0xfffe
	s_or_saveexec_b32 s8, s8
	v_mov_b32_e32 v69, v65
	s_wait_alu 0xfffe
	s_xor_b32 exec_lo, exec_lo, s8
	s_cbranch_execz .LBB19_46
; %bb.45:                               ;   in Loop: Header=BB19_2 Depth=1
	s_wait_dscnt 0x0
	v_lshlrev_b32_e32 v68, 2, v71
	ds_load_b32 v69, v68 offset:4
	v_mov_b32_e32 v68, v64
.LBB19_46:                              ;   in Loop: Header=BB19_2 Depth=1
	s_or_b32 exec_lo, exec_lo, s8
	v_add_nc_u32_e32 v72, 1, v70
	v_add_nc_u32_e32 v73, 1, v71
	s_wait_dscnt 0x0
	v_cmp_lt_i32_e64 s9, v69, v68
	s_delay_alu instid0(VALU_DEP_3) | instskip(NEXT) | instid1(VALU_DEP_3)
	v_cndmask_b32_e64 v74, v72, v70, s7
	v_cndmask_b32_e64 v75, v71, v73, s7
                                        ; implicit-def: $vgpr72
	s_delay_alu instid0(VALU_DEP_2) | instskip(NEXT) | instid1(VALU_DEP_2)
	v_cmp_ge_i32_e64 s8, v74, v14
	v_cmp_lt_i32_e64 s10, v75, v15
	s_or_b32 s8, s8, s9
	s_wait_alu 0xfffe
	s_and_b32 s8, s10, s8
	s_wait_alu 0xfffe
	s_xor_b32 s9, s8, -1
	s_wait_alu 0xfffe
	s_and_saveexec_b32 s10, s9
	s_wait_alu 0xfffe
	s_xor_b32 s9, exec_lo, s10
; %bb.47:                               ;   in Loop: Header=BB19_2 Depth=1
	v_lshlrev_b32_e32 v72, 2, v74
	ds_load_b32 v72, v72 offset:4
; %bb.48:                               ;   in Loop: Header=BB19_2 Depth=1
	s_wait_alu 0xfffe
	s_or_saveexec_b32 s9, s9
	v_mov_b32_e32 v73, v69
	s_wait_alu 0xfffe
	s_xor_b32 exec_lo, exec_lo, s9
	s_cbranch_execz .LBB19_50
; %bb.49:                               ;   in Loop: Header=BB19_2 Depth=1
	s_wait_dscnt 0x0
	v_lshlrev_b32_e32 v72, 2, v75
	ds_load_b32 v73, v72 offset:4
	v_mov_b32_e32 v72, v68
.LBB19_50:                              ;   in Loop: Header=BB19_2 Depth=1
	s_or_b32 exec_lo, exec_lo, s9
	v_add_nc_u32_e32 v76, 1, v74
	v_add_nc_u32_e32 v77, 1, v75
	s_wait_dscnt 0x0
	v_cmp_lt_i32_e64 s10, v73, v72
	s_delay_alu instid0(VALU_DEP_3) | instskip(NEXT) | instid1(VALU_DEP_3)
	v_cndmask_b32_e64 v79, v76, v74, s8
	v_cndmask_b32_e64 v80, v75, v77, s8
                                        ; implicit-def: $vgpr76
	s_delay_alu instid0(VALU_DEP_2) | instskip(NEXT) | instid1(VALU_DEP_2)
	v_cmp_ge_i32_e64 s9, v79, v14
	v_cmp_lt_i32_e64 s11, v80, v15
	s_or_b32 s9, s9, s10
	s_wait_alu 0xfffe
	s_and_b32 s9, s11, s9
	s_wait_alu 0xfffe
	s_xor_b32 s10, s9, -1
	s_wait_alu 0xfffe
	s_and_saveexec_b32 s11, s10
	s_wait_alu 0xfffe
	s_xor_b32 s10, exec_lo, s11
; %bb.51:                               ;   in Loop: Header=BB19_2 Depth=1
	v_lshlrev_b32_e32 v76, 2, v79
	ds_load_b32 v76, v76 offset:4
; %bb.52:                               ;   in Loop: Header=BB19_2 Depth=1
	s_wait_alu 0xfffe
	s_or_saveexec_b32 s10, s10
	v_mov_b32_e32 v77, v73
	s_wait_alu 0xfffe
	s_xor_b32 exec_lo, exec_lo, s10
	s_cbranch_execz .LBB19_54
; %bb.53:                               ;   in Loop: Header=BB19_2 Depth=1
	s_wait_dscnt 0x0
	v_lshlrev_b32_e32 v76, 2, v80
	ds_load_b32 v77, v76 offset:4
	v_mov_b32_e32 v76, v72
.LBB19_54:                              ;   in Loop: Header=BB19_2 Depth=1
	s_or_b32 exec_lo, exec_lo, s10
	v_add_nc_u32_e32 v78, 1, v79
	v_add_nc_u32_e32 v81, 1, v80
	s_wait_dscnt 0x0
	v_cmp_lt_i32_e64 s11, v77, v76
	s_delay_alu instid0(VALU_DEP_3) | instskip(NEXT) | instid1(VALU_DEP_3)
	v_cndmask_b32_e64 v82, v78, v79, s9
	v_cndmask_b32_e64 v83, v80, v81, s9
                                        ; implicit-def: $vgpr78
	s_delay_alu instid0(VALU_DEP_2) | instskip(NEXT) | instid1(VALU_DEP_2)
	v_cmp_ge_i32_e64 s10, v82, v14
	v_cmp_lt_i32_e64 s12, v83, v15
	s_or_b32 s10, s10, s11
	s_wait_alu 0xfffe
	s_and_b32 s10, s12, s10
	s_wait_alu 0xfffe
	s_xor_b32 s11, s10, -1
	s_wait_alu 0xfffe
	s_and_saveexec_b32 s12, s11
	s_wait_alu 0xfffe
	s_xor_b32 s11, exec_lo, s12
; %bb.55:                               ;   in Loop: Header=BB19_2 Depth=1
	v_lshlrev_b32_e32 v78, 2, v82
	ds_load_b32 v78, v78 offset:4
; %bb.56:                               ;   in Loop: Header=BB19_2 Depth=1
	s_wait_alu 0xfffe
	s_or_saveexec_b32 s11, s11
	v_mov_b32_e32 v81, v77
	s_wait_alu 0xfffe
	s_xor_b32 exec_lo, exec_lo, s11
	s_cbranch_execz .LBB19_58
; %bb.57:                               ;   in Loop: Header=BB19_2 Depth=1
	s_wait_dscnt 0x0
	v_lshlrev_b32_e32 v78, 2, v83
	ds_load_b32 v81, v78 offset:4
	v_mov_b32_e32 v78, v76
.LBB19_58:                              ;   in Loop: Header=BB19_2 Depth=1
	s_or_b32 exec_lo, exec_lo, s11
	v_add_nc_u32_e32 v84, 1, v82
	v_add_nc_u32_e32 v85, 1, v83
	s_wait_dscnt 0x0
	v_cmp_lt_i32_e64 s12, v81, v78
                                        ; implicit-def: $vgpr86
	s_delay_alu instid0(VALU_DEP_3) | instskip(NEXT) | instid1(VALU_DEP_3)
	v_cndmask_b32_e64 v84, v84, v82, s10
	v_cndmask_b32_e64 v85, v83, v85, s10
	s_delay_alu instid0(VALU_DEP_2) | instskip(NEXT) | instid1(VALU_DEP_2)
	v_cmp_ge_i32_e64 s11, v84, v14
	v_cmp_lt_i32_e64 s13, v85, v15
	s_or_b32 s11, s11, s12
	s_wait_alu 0xfffe
	s_and_b32 s11, s13, s11
	s_wait_alu 0xfffe
	s_xor_b32 s12, s11, -1
	s_wait_alu 0xfffe
	s_and_saveexec_b32 s13, s12
	s_wait_alu 0xfffe
	s_xor_b32 s12, exec_lo, s13
; %bb.59:                               ;   in Loop: Header=BB19_2 Depth=1
	v_lshlrev_b32_e32 v86, 2, v84
	ds_load_b32 v86, v86 offset:4
; %bb.60:                               ;   in Loop: Header=BB19_2 Depth=1
	s_wait_alu 0xfffe
	s_or_saveexec_b32 s12, s12
	v_mov_b32_e32 v88, v81
	s_wait_alu 0xfffe
	s_xor_b32 exec_lo, exec_lo, s12
	s_cbranch_execz .LBB19_62
; %bb.61:                               ;   in Loop: Header=BB19_2 Depth=1
	s_wait_dscnt 0x0
	v_lshlrev_b32_e32 v86, 2, v85
	ds_load_b32 v88, v86 offset:4
	v_mov_b32_e32 v86, v78
.LBB19_62:                              ;   in Loop: Header=BB19_2 Depth=1
	s_or_b32 exec_lo, exec_lo, s12
	v_add_nc_u32_e32 v87, 1, v84
	v_add_nc_u32_e32 v89, 1, v85
	s_wait_dscnt 0x0
	v_cmp_lt_i32_e64 s13, v88, v86
	s_delay_alu instid0(VALU_DEP_3) | instskip(NEXT) | instid1(VALU_DEP_3)
	v_cndmask_b32_e64 v90, v87, v84, s11
	v_cndmask_b32_e64 v89, v85, v89, s11
                                        ; implicit-def: $vgpr87
	s_delay_alu instid0(VALU_DEP_2) | instskip(NEXT) | instid1(VALU_DEP_2)
	v_cmp_ge_i32_e64 s12, v90, v14
	v_cmp_lt_i32_e64 s14, v89, v15
	s_or_b32 s12, s12, s13
	s_wait_alu 0xfffe
	s_and_b32 s12, s14, s12
	s_wait_alu 0xfffe
	s_xor_b32 s13, s12, -1
	s_wait_alu 0xfffe
	s_and_saveexec_b32 s14, s13
	s_wait_alu 0xfffe
	s_xor_b32 s13, exec_lo, s14
; %bb.63:                               ;   in Loop: Header=BB19_2 Depth=1
	v_lshlrev_b32_e32 v87, 2, v90
	ds_load_b32 v87, v87 offset:4
; %bb.64:                               ;   in Loop: Header=BB19_2 Depth=1
	s_wait_alu 0xfffe
	s_or_saveexec_b32 s13, s13
	v_mov_b32_e32 v91, v88
	s_wait_alu 0xfffe
	s_xor_b32 exec_lo, exec_lo, s13
	s_cbranch_execz .LBB19_66
; %bb.65:                               ;   in Loop: Header=BB19_2 Depth=1
	s_wait_dscnt 0x0
	v_lshlrev_b32_e32 v87, 2, v89
	ds_load_b32 v91, v87 offset:4
	v_mov_b32_e32 v87, v86
.LBB19_66:                              ;   in Loop: Header=BB19_2 Depth=1
	s_or_b32 exec_lo, exec_lo, s13
	v_add_nc_u32_e32 v92, 1, v90
	v_cndmask_b32_e64 v86, v86, v88, s12
	v_add_nc_u32_e32 v88, 1, v89
	v_cndmask_b32_e64 v84, v84, v85, s11
	v_cndmask_b32_e64 v82, v82, v83, s10
	;; [unrolled: 1-line block ×5, first 2 shown]
	s_wait_dscnt 0x0
	v_cmp_lt_i32_e64 s12, v91, v87
	v_cndmask_b32_e64 v66, v67, v66, s6
	v_cmp_ge_i32_e64 s13, v85, v14
	v_cndmask_b32_e64 v70, v70, v71, s7
	v_cmp_lt_i32_e64 s14, v83, v15
	v_cndmask_b32_e64 v74, v74, v75, s8
	v_cndmask_b32_e64 v79, v79, v80, s9
	s_or_b32 s12, s13, s12
	s_wait_loadcnt 0x0
	s_wait_alu 0xfffe
	s_and_b32 s12, s14, s12
	s_barrier_signal -1
	s_wait_alu 0xfffe
	v_cndmask_b32_e64 v71, v85, v83, s12
	s_barrier_wait -1
	global_inv scope:SCOPE_SE
	ds_store_2addr_b32 v1, v54, v55 offset1:1
	ds_store_2addr_b32 v1, v56, v57 offset0:2 offset1:3
	ds_store_2addr_b32 v1, v58, v59 offset0:4 offset1:5
	;; [unrolled: 1-line block ×3, first 2 shown]
	v_lshlrev_b32_e32 v54, 2, v66
	v_lshlrev_b32_e32 v55, 2, v70
	;; [unrolled: 1-line block ×8, first 2 shown]
	s_wait_loadcnt_dscnt 0x0
	s_barrier_signal -1
	s_barrier_wait -1
	global_inv scope:SCOPE_SE
	ds_load_b32 v54, v54
	ds_load_b32 v55, v55
	;; [unrolled: 1-line block ×8, first 2 shown]
	v_cndmask_b32_e64 v64, v64, v65, s7
	v_cndmask_b32_e64 v62, v62, v63, s6
	v_cndmask_b32_e64 v71, v72, v73, s9
	v_cndmask_b32_e64 v68, v68, v69, s8
	v_cndmask_b32_e64 v66, v78, v81, s11
	v_cndmask_b32_e64 v70, v76, v77, s10
	v_cndmask_b32_e64 v67, v87, v91, s12
	s_wait_loadcnt_dscnt 0x0
	s_barrier_signal -1
	s_barrier_wait -1
	global_inv scope:SCOPE_SE
	ds_store_2addr_b32 v1, v62, v64 offset1:1
	ds_store_2addr_b32 v1, v68, v71 offset0:2 offset1:3
	ds_store_2addr_b32 v1, v70, v66 offset0:4 offset1:5
	;; [unrolled: 1-line block ×3, first 2 shown]
	v_mov_b32_e32 v64, v49
	s_wait_loadcnt_dscnt 0x0
	s_barrier_signal -1
	s_barrier_wait -1
	global_inv scope:SCOPE_SE
	s_and_saveexec_b32 s7, s2
	s_cbranch_execz .LBB19_70
; %bb.67:                               ;   in Loop: Header=BB19_2 Depth=1
	v_mov_b32_e32 v64, v49
	v_mov_b32_e32 v62, v43
	s_mov_b32 s8, 0
.LBB19_68:                              ;   Parent Loop BB19_2 Depth=1
                                        ; =>  This Inner Loop Header: Depth=2
	s_delay_alu instid0(VALU_DEP_1) | instskip(NEXT) | instid1(VALU_DEP_1)
	v_sub_nc_u32_e32 v63, v62, v64
	v_lshrrev_b32_e32 v63, 1, v63
	s_delay_alu instid0(VALU_DEP_1) | instskip(NEXT) | instid1(VALU_DEP_1)
	v_add_nc_u32_e32 v63, v63, v64
	v_not_b32_e32 v65, v63
	v_lshl_add_u32 v66, v63, 2, v19
	v_add_nc_u32_e32 v67, 1, v63
	s_delay_alu instid0(VALU_DEP_3)
	v_lshl_add_u32 v65, v65, 2, v37
	ds_load_b32 v66, v66
	ds_load_b32 v65, v65
	s_wait_dscnt 0x0
	v_cmp_lt_i32_e64 s6, v65, v66
	s_wait_alu 0xf1ff
	s_delay_alu instid0(VALU_DEP_1) | instskip(SKIP_1) | instid1(VALU_DEP_1)
	v_cndmask_b32_e64 v62, v62, v63, s6
	v_cndmask_b32_e64 v64, v67, v64, s6
	v_cmp_ge_i32_e64 s6, v64, v62
	s_wait_alu 0xfffe
	s_or_b32 s8, s6, s8
	s_wait_alu 0xfffe
	s_and_not1_b32 exec_lo, exec_lo, s8
	s_cbranch_execnz .LBB19_68
; %bb.69:                               ;   in Loop: Header=BB19_2 Depth=1
	s_or_b32 exec_lo, exec_lo, s8
.LBB19_70:                              ;   in Loop: Header=BB19_2 Depth=1
	s_wait_alu 0xfffe
	s_or_b32 exec_lo, exec_lo, s7
	v_sub_nc_u32_e32 v66, v31, v64
	v_lshl_add_u32 v65, v64, 2, v19
	v_add_nc_u32_e32 v67, v64, v4
                                        ; implicit-def: $vgpr64
	s_delay_alu instid0(VALU_DEP_3) | instskip(SKIP_1) | instid1(VALU_DEP_3)
	v_lshlrev_b32_e32 v68, 2, v66
	v_cmp_gt_i32_e64 s8, v18, v66
	v_cmp_le_i32_e64 s6, v17, v67
	ds_load_b32 v62, v65
	ds_load_b32 v63, v68
	s_wait_dscnt 0x0
	v_cmp_lt_i32_e64 s7, v63, v62
	s_or_b32 s6, s6, s7
	s_wait_alu 0xfffe
	s_and_b32 s6, s8, s6
	s_wait_alu 0xfffe
	s_xor_b32 s7, s6, -1
	s_wait_alu 0xfffe
	s_and_saveexec_b32 s8, s7
	s_wait_alu 0xfffe
	s_xor_b32 s7, exec_lo, s8
; %bb.71:                               ;   in Loop: Header=BB19_2 Depth=1
	ds_load_b32 v64, v65 offset:4
                                        ; implicit-def: $vgpr68
; %bb.72:                               ;   in Loop: Header=BB19_2 Depth=1
	s_wait_alu 0xfffe
	s_or_saveexec_b32 s7, s7
	v_mov_b32_e32 v65, v63
	s_wait_alu 0xfffe
	s_xor_b32 exec_lo, exec_lo, s7
	s_cbranch_execz .LBB19_74
; %bb.73:                               ;   in Loop: Header=BB19_2 Depth=1
	ds_load_b32 v65, v68 offset:4
	s_wait_dscnt 0x1
	v_mov_b32_e32 v64, v62
.LBB19_74:                              ;   in Loop: Header=BB19_2 Depth=1
	s_or_b32 exec_lo, exec_lo, s7
	v_add_nc_u32_e32 v68, 1, v67
	v_add_nc_u32_e32 v69, 1, v66
	s_wait_dscnt 0x0
	v_cmp_lt_i32_e64 s8, v65, v64
	s_delay_alu instid0(VALU_DEP_3) | instskip(NEXT) | instid1(VALU_DEP_3)
	v_cndmask_b32_e64 v70, v68, v67, s6
	v_cndmask_b32_e64 v71, v66, v69, s6
                                        ; implicit-def: $vgpr68
	s_delay_alu instid0(VALU_DEP_2) | instskip(NEXT) | instid1(VALU_DEP_2)
	v_cmp_ge_i32_e64 s7, v70, v17
	v_cmp_lt_i32_e64 s9, v71, v18
	s_or_b32 s7, s7, s8
	s_wait_alu 0xfffe
	s_and_b32 s7, s9, s7
	s_wait_alu 0xfffe
	s_xor_b32 s8, s7, -1
	s_wait_alu 0xfffe
	s_and_saveexec_b32 s9, s8
	s_wait_alu 0xfffe
	s_xor_b32 s8, exec_lo, s9
; %bb.75:                               ;   in Loop: Header=BB19_2 Depth=1
	v_lshlrev_b32_e32 v68, 2, v70
	ds_load_b32 v68, v68 offset:4
; %bb.76:                               ;   in Loop: Header=BB19_2 Depth=1
	s_wait_alu 0xfffe
	s_or_saveexec_b32 s8, s8
	v_mov_b32_e32 v69, v65
	s_wait_alu 0xfffe
	s_xor_b32 exec_lo, exec_lo, s8
	s_cbranch_execz .LBB19_78
; %bb.77:                               ;   in Loop: Header=BB19_2 Depth=1
	s_wait_dscnt 0x0
	v_lshlrev_b32_e32 v68, 2, v71
	ds_load_b32 v69, v68 offset:4
	v_mov_b32_e32 v68, v64
.LBB19_78:                              ;   in Loop: Header=BB19_2 Depth=1
	s_or_b32 exec_lo, exec_lo, s8
	v_add_nc_u32_e32 v72, 1, v70
	v_add_nc_u32_e32 v73, 1, v71
	s_wait_dscnt 0x0
	v_cmp_lt_i32_e64 s9, v69, v68
	s_delay_alu instid0(VALU_DEP_3) | instskip(NEXT) | instid1(VALU_DEP_3)
	v_cndmask_b32_e64 v74, v72, v70, s7
	v_cndmask_b32_e64 v75, v71, v73, s7
                                        ; implicit-def: $vgpr72
	s_delay_alu instid0(VALU_DEP_2) | instskip(NEXT) | instid1(VALU_DEP_2)
	v_cmp_ge_i32_e64 s8, v74, v17
	v_cmp_lt_i32_e64 s10, v75, v18
	s_or_b32 s8, s8, s9
	s_wait_alu 0xfffe
	s_and_b32 s8, s10, s8
	s_wait_alu 0xfffe
	s_xor_b32 s9, s8, -1
	s_wait_alu 0xfffe
	s_and_saveexec_b32 s10, s9
	s_wait_alu 0xfffe
	s_xor_b32 s9, exec_lo, s10
; %bb.79:                               ;   in Loop: Header=BB19_2 Depth=1
	v_lshlrev_b32_e32 v72, 2, v74
	ds_load_b32 v72, v72 offset:4
; %bb.80:                               ;   in Loop: Header=BB19_2 Depth=1
	s_wait_alu 0xfffe
	s_or_saveexec_b32 s9, s9
	v_mov_b32_e32 v73, v69
	s_wait_alu 0xfffe
	s_xor_b32 exec_lo, exec_lo, s9
	s_cbranch_execz .LBB19_82
; %bb.81:                               ;   in Loop: Header=BB19_2 Depth=1
	s_wait_dscnt 0x0
	v_lshlrev_b32_e32 v72, 2, v75
	ds_load_b32 v73, v72 offset:4
	v_mov_b32_e32 v72, v68
.LBB19_82:                              ;   in Loop: Header=BB19_2 Depth=1
	s_or_b32 exec_lo, exec_lo, s9
	v_add_nc_u32_e32 v76, 1, v74
	v_add_nc_u32_e32 v77, 1, v75
	s_wait_dscnt 0x0
	v_cmp_lt_i32_e64 s10, v73, v72
	s_delay_alu instid0(VALU_DEP_3) | instskip(NEXT) | instid1(VALU_DEP_3)
	v_cndmask_b32_e64 v79, v76, v74, s8
	v_cndmask_b32_e64 v80, v75, v77, s8
                                        ; implicit-def: $vgpr76
	s_delay_alu instid0(VALU_DEP_2) | instskip(NEXT) | instid1(VALU_DEP_2)
	v_cmp_ge_i32_e64 s9, v79, v17
	v_cmp_lt_i32_e64 s11, v80, v18
	s_or_b32 s9, s9, s10
	s_wait_alu 0xfffe
	s_and_b32 s9, s11, s9
	s_wait_alu 0xfffe
	s_xor_b32 s10, s9, -1
	s_wait_alu 0xfffe
	s_and_saveexec_b32 s11, s10
	s_wait_alu 0xfffe
	s_xor_b32 s10, exec_lo, s11
; %bb.83:                               ;   in Loop: Header=BB19_2 Depth=1
	v_lshlrev_b32_e32 v76, 2, v79
	ds_load_b32 v76, v76 offset:4
; %bb.84:                               ;   in Loop: Header=BB19_2 Depth=1
	s_wait_alu 0xfffe
	s_or_saveexec_b32 s10, s10
	v_mov_b32_e32 v77, v73
	s_wait_alu 0xfffe
	s_xor_b32 exec_lo, exec_lo, s10
	s_cbranch_execz .LBB19_86
; %bb.85:                               ;   in Loop: Header=BB19_2 Depth=1
	s_wait_dscnt 0x0
	v_lshlrev_b32_e32 v76, 2, v80
	ds_load_b32 v77, v76 offset:4
	v_mov_b32_e32 v76, v72
.LBB19_86:                              ;   in Loop: Header=BB19_2 Depth=1
	s_or_b32 exec_lo, exec_lo, s10
	v_add_nc_u32_e32 v78, 1, v79
	v_add_nc_u32_e32 v81, 1, v80
	s_wait_dscnt 0x0
	v_cmp_lt_i32_e64 s11, v77, v76
	s_delay_alu instid0(VALU_DEP_3) | instskip(NEXT) | instid1(VALU_DEP_3)
	v_cndmask_b32_e64 v82, v78, v79, s9
	v_cndmask_b32_e64 v83, v80, v81, s9
                                        ; implicit-def: $vgpr78
	s_delay_alu instid0(VALU_DEP_2) | instskip(NEXT) | instid1(VALU_DEP_2)
	v_cmp_ge_i32_e64 s10, v82, v17
	v_cmp_lt_i32_e64 s12, v83, v18
	s_or_b32 s10, s10, s11
	s_wait_alu 0xfffe
	s_and_b32 s10, s12, s10
	s_wait_alu 0xfffe
	s_xor_b32 s11, s10, -1
	s_wait_alu 0xfffe
	s_and_saveexec_b32 s12, s11
	s_wait_alu 0xfffe
	s_xor_b32 s11, exec_lo, s12
; %bb.87:                               ;   in Loop: Header=BB19_2 Depth=1
	v_lshlrev_b32_e32 v78, 2, v82
	ds_load_b32 v78, v78 offset:4
; %bb.88:                               ;   in Loop: Header=BB19_2 Depth=1
	s_wait_alu 0xfffe
	s_or_saveexec_b32 s11, s11
	v_mov_b32_e32 v81, v77
	s_wait_alu 0xfffe
	s_xor_b32 exec_lo, exec_lo, s11
	s_cbranch_execz .LBB19_90
; %bb.89:                               ;   in Loop: Header=BB19_2 Depth=1
	s_wait_dscnt 0x0
	v_lshlrev_b32_e32 v78, 2, v83
	ds_load_b32 v81, v78 offset:4
	v_mov_b32_e32 v78, v76
.LBB19_90:                              ;   in Loop: Header=BB19_2 Depth=1
	s_or_b32 exec_lo, exec_lo, s11
	v_add_nc_u32_e32 v84, 1, v82
	v_add_nc_u32_e32 v85, 1, v83
	s_wait_dscnt 0x0
	v_cmp_lt_i32_e64 s12, v81, v78
                                        ; implicit-def: $vgpr86
	s_delay_alu instid0(VALU_DEP_3) | instskip(NEXT) | instid1(VALU_DEP_3)
	v_cndmask_b32_e64 v84, v84, v82, s10
	v_cndmask_b32_e64 v85, v83, v85, s10
	s_delay_alu instid0(VALU_DEP_2) | instskip(NEXT) | instid1(VALU_DEP_2)
	v_cmp_ge_i32_e64 s11, v84, v17
	v_cmp_lt_i32_e64 s13, v85, v18
	s_or_b32 s11, s11, s12
	s_wait_alu 0xfffe
	s_and_b32 s11, s13, s11
	s_wait_alu 0xfffe
	s_xor_b32 s12, s11, -1
	s_wait_alu 0xfffe
	s_and_saveexec_b32 s13, s12
	s_wait_alu 0xfffe
	s_xor_b32 s12, exec_lo, s13
; %bb.91:                               ;   in Loop: Header=BB19_2 Depth=1
	v_lshlrev_b32_e32 v86, 2, v84
	ds_load_b32 v86, v86 offset:4
; %bb.92:                               ;   in Loop: Header=BB19_2 Depth=1
	s_wait_alu 0xfffe
	s_or_saveexec_b32 s12, s12
	v_mov_b32_e32 v88, v81
	s_wait_alu 0xfffe
	s_xor_b32 exec_lo, exec_lo, s12
	s_cbranch_execz .LBB19_94
; %bb.93:                               ;   in Loop: Header=BB19_2 Depth=1
	s_wait_dscnt 0x0
	v_lshlrev_b32_e32 v86, 2, v85
	ds_load_b32 v88, v86 offset:4
	v_mov_b32_e32 v86, v78
.LBB19_94:                              ;   in Loop: Header=BB19_2 Depth=1
	s_or_b32 exec_lo, exec_lo, s12
	v_add_nc_u32_e32 v87, 1, v84
	v_add_nc_u32_e32 v89, 1, v85
	s_wait_dscnt 0x0
	v_cmp_lt_i32_e64 s13, v88, v86
	s_delay_alu instid0(VALU_DEP_3) | instskip(NEXT) | instid1(VALU_DEP_3)
	v_cndmask_b32_e64 v90, v87, v84, s11
	v_cndmask_b32_e64 v89, v85, v89, s11
                                        ; implicit-def: $vgpr87
	s_delay_alu instid0(VALU_DEP_2) | instskip(NEXT) | instid1(VALU_DEP_2)
	v_cmp_ge_i32_e64 s12, v90, v17
	v_cmp_lt_i32_e64 s14, v89, v18
	s_or_b32 s12, s12, s13
	s_wait_alu 0xfffe
	s_and_b32 s12, s14, s12
	s_wait_alu 0xfffe
	s_xor_b32 s13, s12, -1
	s_wait_alu 0xfffe
	s_and_saveexec_b32 s14, s13
	s_wait_alu 0xfffe
	s_xor_b32 s13, exec_lo, s14
; %bb.95:                               ;   in Loop: Header=BB19_2 Depth=1
	v_lshlrev_b32_e32 v87, 2, v90
	ds_load_b32 v87, v87 offset:4
; %bb.96:                               ;   in Loop: Header=BB19_2 Depth=1
	s_wait_alu 0xfffe
	s_or_saveexec_b32 s13, s13
	v_mov_b32_e32 v91, v88
	s_wait_alu 0xfffe
	s_xor_b32 exec_lo, exec_lo, s13
	s_cbranch_execz .LBB19_98
; %bb.97:                               ;   in Loop: Header=BB19_2 Depth=1
	s_wait_dscnt 0x0
	v_lshlrev_b32_e32 v87, 2, v89
	ds_load_b32 v91, v87 offset:4
	v_mov_b32_e32 v87, v86
.LBB19_98:                              ;   in Loop: Header=BB19_2 Depth=1
	s_or_b32 exec_lo, exec_lo, s13
	v_add_nc_u32_e32 v92, 1, v90
	v_cndmask_b32_e64 v86, v86, v88, s12
	v_add_nc_u32_e32 v88, 1, v89
	v_cndmask_b32_e64 v84, v84, v85, s11
	v_cndmask_b32_e64 v82, v82, v83, s10
	;; [unrolled: 1-line block ×5, first 2 shown]
	s_wait_dscnt 0x0
	v_cmp_lt_i32_e64 s12, v91, v87
	v_cndmask_b32_e64 v66, v67, v66, s6
	v_cmp_ge_i32_e64 s13, v85, v17
	v_cndmask_b32_e64 v70, v70, v71, s7
	v_cmp_lt_i32_e64 s14, v83, v18
	v_cndmask_b32_e64 v74, v74, v75, s8
	v_cndmask_b32_e64 v79, v79, v80, s9
	s_or_b32 s12, s13, s12
	s_wait_loadcnt 0x0
	s_wait_alu 0xfffe
	s_and_b32 s12, s14, s12
	s_barrier_signal -1
	s_wait_alu 0xfffe
	v_cndmask_b32_e64 v71, v85, v83, s12
	s_barrier_wait -1
	global_inv scope:SCOPE_SE
	ds_store_2addr_b32 v1, v54, v55 offset1:1
	ds_store_2addr_b32 v1, v56, v57 offset0:2 offset1:3
	ds_store_2addr_b32 v1, v58, v59 offset0:4 offset1:5
	;; [unrolled: 1-line block ×3, first 2 shown]
	v_lshlrev_b32_e32 v54, 2, v66
	v_lshlrev_b32_e32 v55, 2, v70
	;; [unrolled: 1-line block ×8, first 2 shown]
	s_wait_loadcnt_dscnt 0x0
	s_barrier_signal -1
	s_barrier_wait -1
	global_inv scope:SCOPE_SE
	ds_load_b32 v54, v54
	ds_load_b32 v55, v55
	;; [unrolled: 1-line block ×8, first 2 shown]
	v_cndmask_b32_e64 v64, v64, v65, s7
	v_cndmask_b32_e64 v62, v62, v63, s6
	;; [unrolled: 1-line block ×7, first 2 shown]
	s_wait_loadcnt_dscnt 0x0
	s_barrier_signal -1
	s_barrier_wait -1
	global_inv scope:SCOPE_SE
	ds_store_2addr_b32 v1, v62, v64 offset1:1
	ds_store_2addr_b32 v1, v68, v71 offset0:2 offset1:3
	ds_store_2addr_b32 v1, v70, v66 offset0:4 offset1:5
	ds_store_2addr_b32 v1, v86, v67 offset0:6 offset1:7
	v_mov_b32_e32 v64, v50
	s_wait_loadcnt_dscnt 0x0
	s_barrier_signal -1
	s_barrier_wait -1
	global_inv scope:SCOPE_SE
	s_and_saveexec_b32 s7, s3
	s_cbranch_execz .LBB19_102
; %bb.99:                               ;   in Loop: Header=BB19_2 Depth=1
	v_mov_b32_e32 v64, v50
	v_mov_b32_e32 v62, v44
	s_mov_b32 s8, 0
.LBB19_100:                             ;   Parent Loop BB19_2 Depth=1
                                        ; =>  This Inner Loop Header: Depth=2
	s_delay_alu instid0(VALU_DEP_1) | instskip(NEXT) | instid1(VALU_DEP_1)
	v_sub_nc_u32_e32 v63, v62, v64
	v_lshrrev_b32_e32 v63, 1, v63
	s_delay_alu instid0(VALU_DEP_1) | instskip(NEXT) | instid1(VALU_DEP_1)
	v_add_nc_u32_e32 v63, v63, v64
	v_not_b32_e32 v65, v63
	v_lshl_add_u32 v66, v63, 2, v22
	v_add_nc_u32_e32 v67, 1, v63
	s_delay_alu instid0(VALU_DEP_3)
	v_lshl_add_u32 v65, v65, 2, v38
	ds_load_b32 v66, v66
	ds_load_b32 v65, v65
	s_wait_dscnt 0x0
	v_cmp_lt_i32_e64 s6, v65, v66
	s_wait_alu 0xf1ff
	s_delay_alu instid0(VALU_DEP_1) | instskip(SKIP_1) | instid1(VALU_DEP_1)
	v_cndmask_b32_e64 v62, v62, v63, s6
	v_cndmask_b32_e64 v64, v67, v64, s6
	v_cmp_ge_i32_e64 s6, v64, v62
	s_wait_alu 0xfffe
	s_or_b32 s8, s6, s8
	s_wait_alu 0xfffe
	s_and_not1_b32 exec_lo, exec_lo, s8
	s_cbranch_execnz .LBB19_100
; %bb.101:                              ;   in Loop: Header=BB19_2 Depth=1
	s_or_b32 exec_lo, exec_lo, s8
.LBB19_102:                             ;   in Loop: Header=BB19_2 Depth=1
	s_wait_alu 0xfffe
	s_or_b32 exec_lo, exec_lo, s7
	v_sub_nc_u32_e32 v66, v32, v64
	v_lshl_add_u32 v65, v64, 2, v22
	v_add_nc_u32_e32 v67, v64, v5
                                        ; implicit-def: $vgpr64
	s_delay_alu instid0(VALU_DEP_3) | instskip(SKIP_1) | instid1(VALU_DEP_3)
	v_lshlrev_b32_e32 v68, 2, v66
	v_cmp_gt_i32_e64 s8, v21, v66
	v_cmp_le_i32_e64 s6, v20, v67
	ds_load_b32 v62, v65
	ds_load_b32 v63, v68
	s_wait_dscnt 0x0
	v_cmp_lt_i32_e64 s7, v63, v62
	s_or_b32 s6, s6, s7
	s_wait_alu 0xfffe
	s_and_b32 s6, s8, s6
	s_wait_alu 0xfffe
	s_xor_b32 s7, s6, -1
	s_wait_alu 0xfffe
	s_and_saveexec_b32 s8, s7
	s_wait_alu 0xfffe
	s_xor_b32 s7, exec_lo, s8
; %bb.103:                              ;   in Loop: Header=BB19_2 Depth=1
	ds_load_b32 v64, v65 offset:4
                                        ; implicit-def: $vgpr68
; %bb.104:                              ;   in Loop: Header=BB19_2 Depth=1
	s_wait_alu 0xfffe
	s_or_saveexec_b32 s7, s7
	v_mov_b32_e32 v65, v63
	s_wait_alu 0xfffe
	s_xor_b32 exec_lo, exec_lo, s7
	s_cbranch_execz .LBB19_106
; %bb.105:                              ;   in Loop: Header=BB19_2 Depth=1
	ds_load_b32 v65, v68 offset:4
	s_wait_dscnt 0x1
	v_mov_b32_e32 v64, v62
.LBB19_106:                             ;   in Loop: Header=BB19_2 Depth=1
	s_or_b32 exec_lo, exec_lo, s7
	v_add_nc_u32_e32 v68, 1, v67
	v_add_nc_u32_e32 v69, 1, v66
	s_wait_dscnt 0x0
	v_cmp_lt_i32_e64 s8, v65, v64
	s_delay_alu instid0(VALU_DEP_3) | instskip(NEXT) | instid1(VALU_DEP_3)
	v_cndmask_b32_e64 v70, v68, v67, s6
	v_cndmask_b32_e64 v71, v66, v69, s6
                                        ; implicit-def: $vgpr68
	s_delay_alu instid0(VALU_DEP_2) | instskip(NEXT) | instid1(VALU_DEP_2)
	v_cmp_ge_i32_e64 s7, v70, v20
	v_cmp_lt_i32_e64 s9, v71, v21
	s_or_b32 s7, s7, s8
	s_wait_alu 0xfffe
	s_and_b32 s7, s9, s7
	s_wait_alu 0xfffe
	s_xor_b32 s8, s7, -1
	s_wait_alu 0xfffe
	s_and_saveexec_b32 s9, s8
	s_wait_alu 0xfffe
	s_xor_b32 s8, exec_lo, s9
; %bb.107:                              ;   in Loop: Header=BB19_2 Depth=1
	v_lshlrev_b32_e32 v68, 2, v70
	ds_load_b32 v68, v68 offset:4
; %bb.108:                              ;   in Loop: Header=BB19_2 Depth=1
	s_wait_alu 0xfffe
	s_or_saveexec_b32 s8, s8
	v_mov_b32_e32 v69, v65
	s_wait_alu 0xfffe
	s_xor_b32 exec_lo, exec_lo, s8
	s_cbranch_execz .LBB19_110
; %bb.109:                              ;   in Loop: Header=BB19_2 Depth=1
	s_wait_dscnt 0x0
	v_lshlrev_b32_e32 v68, 2, v71
	ds_load_b32 v69, v68 offset:4
	v_mov_b32_e32 v68, v64
.LBB19_110:                             ;   in Loop: Header=BB19_2 Depth=1
	s_or_b32 exec_lo, exec_lo, s8
	v_add_nc_u32_e32 v72, 1, v70
	v_add_nc_u32_e32 v73, 1, v71
	s_wait_dscnt 0x0
	v_cmp_lt_i32_e64 s9, v69, v68
	s_delay_alu instid0(VALU_DEP_3) | instskip(NEXT) | instid1(VALU_DEP_3)
	v_cndmask_b32_e64 v74, v72, v70, s7
	v_cndmask_b32_e64 v75, v71, v73, s7
                                        ; implicit-def: $vgpr72
	s_delay_alu instid0(VALU_DEP_2) | instskip(NEXT) | instid1(VALU_DEP_2)
	v_cmp_ge_i32_e64 s8, v74, v20
	v_cmp_lt_i32_e64 s10, v75, v21
	s_or_b32 s8, s8, s9
	s_wait_alu 0xfffe
	s_and_b32 s8, s10, s8
	s_wait_alu 0xfffe
	s_xor_b32 s9, s8, -1
	s_wait_alu 0xfffe
	s_and_saveexec_b32 s10, s9
	s_wait_alu 0xfffe
	s_xor_b32 s9, exec_lo, s10
; %bb.111:                              ;   in Loop: Header=BB19_2 Depth=1
	v_lshlrev_b32_e32 v72, 2, v74
	ds_load_b32 v72, v72 offset:4
; %bb.112:                              ;   in Loop: Header=BB19_2 Depth=1
	s_wait_alu 0xfffe
	s_or_saveexec_b32 s9, s9
	v_mov_b32_e32 v73, v69
	s_wait_alu 0xfffe
	s_xor_b32 exec_lo, exec_lo, s9
	s_cbranch_execz .LBB19_114
; %bb.113:                              ;   in Loop: Header=BB19_2 Depth=1
	s_wait_dscnt 0x0
	v_lshlrev_b32_e32 v72, 2, v75
	ds_load_b32 v73, v72 offset:4
	v_mov_b32_e32 v72, v68
.LBB19_114:                             ;   in Loop: Header=BB19_2 Depth=1
	s_or_b32 exec_lo, exec_lo, s9
	v_add_nc_u32_e32 v76, 1, v74
	v_add_nc_u32_e32 v77, 1, v75
	s_wait_dscnt 0x0
	v_cmp_lt_i32_e64 s10, v73, v72
	s_delay_alu instid0(VALU_DEP_3) | instskip(NEXT) | instid1(VALU_DEP_3)
	v_cndmask_b32_e64 v79, v76, v74, s8
	v_cndmask_b32_e64 v80, v75, v77, s8
                                        ; implicit-def: $vgpr76
	s_delay_alu instid0(VALU_DEP_2) | instskip(NEXT) | instid1(VALU_DEP_2)
	v_cmp_ge_i32_e64 s9, v79, v20
	v_cmp_lt_i32_e64 s11, v80, v21
	s_or_b32 s9, s9, s10
	s_wait_alu 0xfffe
	s_and_b32 s9, s11, s9
	s_wait_alu 0xfffe
	s_xor_b32 s10, s9, -1
	s_wait_alu 0xfffe
	s_and_saveexec_b32 s11, s10
	s_wait_alu 0xfffe
	s_xor_b32 s10, exec_lo, s11
; %bb.115:                              ;   in Loop: Header=BB19_2 Depth=1
	v_lshlrev_b32_e32 v76, 2, v79
	ds_load_b32 v76, v76 offset:4
; %bb.116:                              ;   in Loop: Header=BB19_2 Depth=1
	s_wait_alu 0xfffe
	s_or_saveexec_b32 s10, s10
	v_mov_b32_e32 v77, v73
	s_wait_alu 0xfffe
	s_xor_b32 exec_lo, exec_lo, s10
	s_cbranch_execz .LBB19_118
; %bb.117:                              ;   in Loop: Header=BB19_2 Depth=1
	s_wait_dscnt 0x0
	v_lshlrev_b32_e32 v76, 2, v80
	ds_load_b32 v77, v76 offset:4
	v_mov_b32_e32 v76, v72
.LBB19_118:                             ;   in Loop: Header=BB19_2 Depth=1
	s_or_b32 exec_lo, exec_lo, s10
	v_add_nc_u32_e32 v78, 1, v79
	v_add_nc_u32_e32 v81, 1, v80
	s_wait_dscnt 0x0
	v_cmp_lt_i32_e64 s11, v77, v76
	s_delay_alu instid0(VALU_DEP_3) | instskip(NEXT) | instid1(VALU_DEP_3)
	v_cndmask_b32_e64 v82, v78, v79, s9
	v_cndmask_b32_e64 v83, v80, v81, s9
                                        ; implicit-def: $vgpr78
	s_delay_alu instid0(VALU_DEP_2) | instskip(NEXT) | instid1(VALU_DEP_2)
	v_cmp_ge_i32_e64 s10, v82, v20
	v_cmp_lt_i32_e64 s12, v83, v21
	s_or_b32 s10, s10, s11
	s_wait_alu 0xfffe
	s_and_b32 s10, s12, s10
	s_wait_alu 0xfffe
	s_xor_b32 s11, s10, -1
	s_wait_alu 0xfffe
	s_and_saveexec_b32 s12, s11
	s_wait_alu 0xfffe
	s_xor_b32 s11, exec_lo, s12
; %bb.119:                              ;   in Loop: Header=BB19_2 Depth=1
	v_lshlrev_b32_e32 v78, 2, v82
	ds_load_b32 v78, v78 offset:4
; %bb.120:                              ;   in Loop: Header=BB19_2 Depth=1
	s_wait_alu 0xfffe
	s_or_saveexec_b32 s11, s11
	v_mov_b32_e32 v81, v77
	s_wait_alu 0xfffe
	s_xor_b32 exec_lo, exec_lo, s11
	s_cbranch_execz .LBB19_122
; %bb.121:                              ;   in Loop: Header=BB19_2 Depth=1
	s_wait_dscnt 0x0
	v_lshlrev_b32_e32 v78, 2, v83
	ds_load_b32 v81, v78 offset:4
	v_mov_b32_e32 v78, v76
.LBB19_122:                             ;   in Loop: Header=BB19_2 Depth=1
	s_or_b32 exec_lo, exec_lo, s11
	v_add_nc_u32_e32 v84, 1, v82
	v_add_nc_u32_e32 v85, 1, v83
	s_wait_dscnt 0x0
	v_cmp_lt_i32_e64 s12, v81, v78
                                        ; implicit-def: $vgpr86
	s_delay_alu instid0(VALU_DEP_3) | instskip(NEXT) | instid1(VALU_DEP_3)
	v_cndmask_b32_e64 v84, v84, v82, s10
	v_cndmask_b32_e64 v85, v83, v85, s10
	s_delay_alu instid0(VALU_DEP_2) | instskip(NEXT) | instid1(VALU_DEP_2)
	v_cmp_ge_i32_e64 s11, v84, v20
	v_cmp_lt_i32_e64 s13, v85, v21
	s_or_b32 s11, s11, s12
	s_wait_alu 0xfffe
	s_and_b32 s11, s13, s11
	s_wait_alu 0xfffe
	s_xor_b32 s12, s11, -1
	s_wait_alu 0xfffe
	s_and_saveexec_b32 s13, s12
	s_wait_alu 0xfffe
	s_xor_b32 s12, exec_lo, s13
; %bb.123:                              ;   in Loop: Header=BB19_2 Depth=1
	v_lshlrev_b32_e32 v86, 2, v84
	ds_load_b32 v86, v86 offset:4
; %bb.124:                              ;   in Loop: Header=BB19_2 Depth=1
	s_wait_alu 0xfffe
	s_or_saveexec_b32 s12, s12
	v_mov_b32_e32 v88, v81
	s_wait_alu 0xfffe
	s_xor_b32 exec_lo, exec_lo, s12
	s_cbranch_execz .LBB19_126
; %bb.125:                              ;   in Loop: Header=BB19_2 Depth=1
	s_wait_dscnt 0x0
	v_lshlrev_b32_e32 v86, 2, v85
	ds_load_b32 v88, v86 offset:4
	v_mov_b32_e32 v86, v78
.LBB19_126:                             ;   in Loop: Header=BB19_2 Depth=1
	s_or_b32 exec_lo, exec_lo, s12
	v_add_nc_u32_e32 v87, 1, v84
	v_add_nc_u32_e32 v89, 1, v85
	s_wait_dscnt 0x0
	v_cmp_lt_i32_e64 s13, v88, v86
	s_delay_alu instid0(VALU_DEP_3) | instskip(NEXT) | instid1(VALU_DEP_3)
	v_cndmask_b32_e64 v90, v87, v84, s11
	v_cndmask_b32_e64 v89, v85, v89, s11
                                        ; implicit-def: $vgpr87
	s_delay_alu instid0(VALU_DEP_2) | instskip(NEXT) | instid1(VALU_DEP_2)
	v_cmp_ge_i32_e64 s12, v90, v20
	v_cmp_lt_i32_e64 s14, v89, v21
	s_or_b32 s12, s12, s13
	s_wait_alu 0xfffe
	s_and_b32 s12, s14, s12
	s_wait_alu 0xfffe
	s_xor_b32 s13, s12, -1
	s_wait_alu 0xfffe
	s_and_saveexec_b32 s14, s13
	s_wait_alu 0xfffe
	s_xor_b32 s13, exec_lo, s14
; %bb.127:                              ;   in Loop: Header=BB19_2 Depth=1
	v_lshlrev_b32_e32 v87, 2, v90
	ds_load_b32 v87, v87 offset:4
; %bb.128:                              ;   in Loop: Header=BB19_2 Depth=1
	s_wait_alu 0xfffe
	s_or_saveexec_b32 s13, s13
	v_mov_b32_e32 v91, v88
	s_wait_alu 0xfffe
	s_xor_b32 exec_lo, exec_lo, s13
	s_cbranch_execz .LBB19_130
; %bb.129:                              ;   in Loop: Header=BB19_2 Depth=1
	s_wait_dscnt 0x0
	v_lshlrev_b32_e32 v87, 2, v89
	ds_load_b32 v91, v87 offset:4
	v_mov_b32_e32 v87, v86
.LBB19_130:                             ;   in Loop: Header=BB19_2 Depth=1
	s_or_b32 exec_lo, exec_lo, s13
	v_add_nc_u32_e32 v92, 1, v90
	v_cndmask_b32_e64 v86, v86, v88, s12
	v_add_nc_u32_e32 v88, 1, v89
	v_cndmask_b32_e64 v84, v84, v85, s11
	v_cndmask_b32_e64 v82, v82, v83, s10
	;; [unrolled: 1-line block ×5, first 2 shown]
	s_wait_dscnt 0x0
	v_cmp_lt_i32_e64 s12, v91, v87
	v_cndmask_b32_e64 v66, v67, v66, s6
	v_cmp_ge_i32_e64 s13, v85, v20
	v_cndmask_b32_e64 v70, v70, v71, s7
	v_cmp_lt_i32_e64 s14, v83, v21
	v_cndmask_b32_e64 v74, v74, v75, s8
	v_cndmask_b32_e64 v79, v79, v80, s9
	s_or_b32 s12, s13, s12
	s_wait_loadcnt 0x0
	s_wait_alu 0xfffe
	s_and_b32 s12, s14, s12
	s_barrier_signal -1
	s_wait_alu 0xfffe
	v_cndmask_b32_e64 v71, v85, v83, s12
	s_barrier_wait -1
	global_inv scope:SCOPE_SE
	ds_store_2addr_b32 v1, v54, v55 offset1:1
	ds_store_2addr_b32 v1, v56, v57 offset0:2 offset1:3
	ds_store_2addr_b32 v1, v58, v59 offset0:4 offset1:5
	;; [unrolled: 1-line block ×3, first 2 shown]
	v_lshlrev_b32_e32 v54, 2, v66
	v_lshlrev_b32_e32 v55, 2, v70
	;; [unrolled: 1-line block ×8, first 2 shown]
	s_wait_loadcnt_dscnt 0x0
	s_barrier_signal -1
	s_barrier_wait -1
	global_inv scope:SCOPE_SE
	ds_load_b32 v54, v54
	ds_load_b32 v55, v55
	;; [unrolled: 1-line block ×8, first 2 shown]
	v_cndmask_b32_e64 v64, v64, v65, s7
	v_cndmask_b32_e64 v62, v62, v63, s6
	;; [unrolled: 1-line block ×7, first 2 shown]
	s_wait_loadcnt_dscnt 0x0
	s_barrier_signal -1
	s_barrier_wait -1
	global_inv scope:SCOPE_SE
	ds_store_2addr_b32 v1, v62, v64 offset1:1
	ds_store_2addr_b32 v1, v68, v71 offset0:2 offset1:3
	ds_store_2addr_b32 v1, v70, v66 offset0:4 offset1:5
	;; [unrolled: 1-line block ×3, first 2 shown]
	v_mov_b32_e32 v64, v51
	s_wait_loadcnt_dscnt 0x0
	s_barrier_signal -1
	s_barrier_wait -1
	global_inv scope:SCOPE_SE
	s_and_saveexec_b32 s7, s4
	s_cbranch_execz .LBB19_134
; %bb.131:                              ;   in Loop: Header=BB19_2 Depth=1
	v_mov_b32_e32 v64, v51
	v_mov_b32_e32 v62, v45
	s_mov_b32 s8, 0
.LBB19_132:                             ;   Parent Loop BB19_2 Depth=1
                                        ; =>  This Inner Loop Header: Depth=2
	s_delay_alu instid0(VALU_DEP_1) | instskip(NEXT) | instid1(VALU_DEP_1)
	v_sub_nc_u32_e32 v63, v62, v64
	v_lshrrev_b32_e32 v63, 1, v63
	s_delay_alu instid0(VALU_DEP_1) | instskip(NEXT) | instid1(VALU_DEP_1)
	v_add_nc_u32_e32 v63, v63, v64
	v_not_b32_e32 v65, v63
	v_lshl_add_u32 v66, v63, 2, v25
	v_add_nc_u32_e32 v67, 1, v63
	s_delay_alu instid0(VALU_DEP_3)
	v_lshl_add_u32 v65, v65, 2, v39
	ds_load_b32 v66, v66
	ds_load_b32 v65, v65
	s_wait_dscnt 0x0
	v_cmp_lt_i32_e64 s6, v65, v66
	s_wait_alu 0xf1ff
	s_delay_alu instid0(VALU_DEP_1) | instskip(SKIP_1) | instid1(VALU_DEP_1)
	v_cndmask_b32_e64 v62, v62, v63, s6
	v_cndmask_b32_e64 v64, v67, v64, s6
	v_cmp_ge_i32_e64 s6, v64, v62
	s_wait_alu 0xfffe
	s_or_b32 s8, s6, s8
	s_wait_alu 0xfffe
	s_and_not1_b32 exec_lo, exec_lo, s8
	s_cbranch_execnz .LBB19_132
; %bb.133:                              ;   in Loop: Header=BB19_2 Depth=1
	s_or_b32 exec_lo, exec_lo, s8
.LBB19_134:                             ;   in Loop: Header=BB19_2 Depth=1
	s_wait_alu 0xfffe
	s_or_b32 exec_lo, exec_lo, s7
	v_sub_nc_u32_e32 v66, v33, v64
	v_lshl_add_u32 v65, v64, 2, v25
	v_add_nc_u32_e32 v67, v64, v6
                                        ; implicit-def: $vgpr64
	s_delay_alu instid0(VALU_DEP_3) | instskip(SKIP_1) | instid1(VALU_DEP_3)
	v_lshlrev_b32_e32 v68, 2, v66
	v_cmp_gt_i32_e64 s8, v24, v66
	v_cmp_le_i32_e64 s6, v23, v67
	ds_load_b32 v62, v65
	ds_load_b32 v63, v68
	s_wait_dscnt 0x0
	v_cmp_lt_i32_e64 s7, v63, v62
	s_or_b32 s6, s6, s7
	s_wait_alu 0xfffe
	s_and_b32 s6, s8, s6
	s_wait_alu 0xfffe
	s_xor_b32 s7, s6, -1
	s_wait_alu 0xfffe
	s_and_saveexec_b32 s8, s7
	s_wait_alu 0xfffe
	s_xor_b32 s7, exec_lo, s8
; %bb.135:                              ;   in Loop: Header=BB19_2 Depth=1
	ds_load_b32 v64, v65 offset:4
                                        ; implicit-def: $vgpr68
; %bb.136:                              ;   in Loop: Header=BB19_2 Depth=1
	s_wait_alu 0xfffe
	s_or_saveexec_b32 s7, s7
	v_mov_b32_e32 v65, v63
	s_wait_alu 0xfffe
	s_xor_b32 exec_lo, exec_lo, s7
	s_cbranch_execz .LBB19_138
; %bb.137:                              ;   in Loop: Header=BB19_2 Depth=1
	ds_load_b32 v65, v68 offset:4
	s_wait_dscnt 0x1
	v_mov_b32_e32 v64, v62
.LBB19_138:                             ;   in Loop: Header=BB19_2 Depth=1
	s_or_b32 exec_lo, exec_lo, s7
	v_add_nc_u32_e32 v68, 1, v67
	v_add_nc_u32_e32 v69, 1, v66
	s_wait_dscnt 0x0
	v_cmp_lt_i32_e64 s8, v65, v64
	s_delay_alu instid0(VALU_DEP_3) | instskip(NEXT) | instid1(VALU_DEP_3)
	v_cndmask_b32_e64 v70, v68, v67, s6
	v_cndmask_b32_e64 v71, v66, v69, s6
                                        ; implicit-def: $vgpr68
	s_delay_alu instid0(VALU_DEP_2) | instskip(NEXT) | instid1(VALU_DEP_2)
	v_cmp_ge_i32_e64 s7, v70, v23
	v_cmp_lt_i32_e64 s9, v71, v24
	s_or_b32 s7, s7, s8
	s_wait_alu 0xfffe
	s_and_b32 s7, s9, s7
	s_wait_alu 0xfffe
	s_xor_b32 s8, s7, -1
	s_wait_alu 0xfffe
	s_and_saveexec_b32 s9, s8
	s_wait_alu 0xfffe
	s_xor_b32 s8, exec_lo, s9
; %bb.139:                              ;   in Loop: Header=BB19_2 Depth=1
	v_lshlrev_b32_e32 v68, 2, v70
	ds_load_b32 v68, v68 offset:4
; %bb.140:                              ;   in Loop: Header=BB19_2 Depth=1
	s_wait_alu 0xfffe
	s_or_saveexec_b32 s8, s8
	v_mov_b32_e32 v69, v65
	s_wait_alu 0xfffe
	s_xor_b32 exec_lo, exec_lo, s8
	s_cbranch_execz .LBB19_142
; %bb.141:                              ;   in Loop: Header=BB19_2 Depth=1
	s_wait_dscnt 0x0
	v_lshlrev_b32_e32 v68, 2, v71
	ds_load_b32 v69, v68 offset:4
	v_mov_b32_e32 v68, v64
.LBB19_142:                             ;   in Loop: Header=BB19_2 Depth=1
	s_or_b32 exec_lo, exec_lo, s8
	v_add_nc_u32_e32 v72, 1, v70
	v_add_nc_u32_e32 v73, 1, v71
	s_wait_dscnt 0x0
	v_cmp_lt_i32_e64 s9, v69, v68
	s_delay_alu instid0(VALU_DEP_3) | instskip(NEXT) | instid1(VALU_DEP_3)
	v_cndmask_b32_e64 v74, v72, v70, s7
	v_cndmask_b32_e64 v75, v71, v73, s7
                                        ; implicit-def: $vgpr72
	s_delay_alu instid0(VALU_DEP_2) | instskip(NEXT) | instid1(VALU_DEP_2)
	v_cmp_ge_i32_e64 s8, v74, v23
	v_cmp_lt_i32_e64 s10, v75, v24
	s_or_b32 s8, s8, s9
	s_wait_alu 0xfffe
	s_and_b32 s8, s10, s8
	s_wait_alu 0xfffe
	s_xor_b32 s9, s8, -1
	s_wait_alu 0xfffe
	s_and_saveexec_b32 s10, s9
	s_wait_alu 0xfffe
	s_xor_b32 s9, exec_lo, s10
; %bb.143:                              ;   in Loop: Header=BB19_2 Depth=1
	v_lshlrev_b32_e32 v72, 2, v74
	ds_load_b32 v72, v72 offset:4
; %bb.144:                              ;   in Loop: Header=BB19_2 Depth=1
	s_wait_alu 0xfffe
	s_or_saveexec_b32 s9, s9
	v_mov_b32_e32 v73, v69
	s_wait_alu 0xfffe
	s_xor_b32 exec_lo, exec_lo, s9
	s_cbranch_execz .LBB19_146
; %bb.145:                              ;   in Loop: Header=BB19_2 Depth=1
	s_wait_dscnt 0x0
	v_lshlrev_b32_e32 v72, 2, v75
	ds_load_b32 v73, v72 offset:4
	v_mov_b32_e32 v72, v68
.LBB19_146:                             ;   in Loop: Header=BB19_2 Depth=1
	s_or_b32 exec_lo, exec_lo, s9
	v_add_nc_u32_e32 v76, 1, v74
	v_add_nc_u32_e32 v77, 1, v75
	s_wait_dscnt 0x0
	v_cmp_lt_i32_e64 s10, v73, v72
	s_delay_alu instid0(VALU_DEP_3) | instskip(NEXT) | instid1(VALU_DEP_3)
	v_cndmask_b32_e64 v79, v76, v74, s8
	v_cndmask_b32_e64 v80, v75, v77, s8
                                        ; implicit-def: $vgpr76
	s_delay_alu instid0(VALU_DEP_2) | instskip(NEXT) | instid1(VALU_DEP_2)
	v_cmp_ge_i32_e64 s9, v79, v23
	v_cmp_lt_i32_e64 s11, v80, v24
	s_or_b32 s9, s9, s10
	s_wait_alu 0xfffe
	s_and_b32 s9, s11, s9
	s_wait_alu 0xfffe
	s_xor_b32 s10, s9, -1
	s_wait_alu 0xfffe
	s_and_saveexec_b32 s11, s10
	s_wait_alu 0xfffe
	s_xor_b32 s10, exec_lo, s11
; %bb.147:                              ;   in Loop: Header=BB19_2 Depth=1
	v_lshlrev_b32_e32 v76, 2, v79
	ds_load_b32 v76, v76 offset:4
; %bb.148:                              ;   in Loop: Header=BB19_2 Depth=1
	s_wait_alu 0xfffe
	s_or_saveexec_b32 s10, s10
	v_mov_b32_e32 v77, v73
	s_wait_alu 0xfffe
	s_xor_b32 exec_lo, exec_lo, s10
	s_cbranch_execz .LBB19_150
; %bb.149:                              ;   in Loop: Header=BB19_2 Depth=1
	s_wait_dscnt 0x0
	v_lshlrev_b32_e32 v76, 2, v80
	ds_load_b32 v77, v76 offset:4
	v_mov_b32_e32 v76, v72
.LBB19_150:                             ;   in Loop: Header=BB19_2 Depth=1
	s_or_b32 exec_lo, exec_lo, s10
	v_add_nc_u32_e32 v78, 1, v79
	v_add_nc_u32_e32 v81, 1, v80
	s_wait_dscnt 0x0
	v_cmp_lt_i32_e64 s11, v77, v76
	s_delay_alu instid0(VALU_DEP_3) | instskip(NEXT) | instid1(VALU_DEP_3)
	v_cndmask_b32_e64 v82, v78, v79, s9
	v_cndmask_b32_e64 v83, v80, v81, s9
                                        ; implicit-def: $vgpr78
	s_delay_alu instid0(VALU_DEP_2) | instskip(NEXT) | instid1(VALU_DEP_2)
	v_cmp_ge_i32_e64 s10, v82, v23
	v_cmp_lt_i32_e64 s12, v83, v24
	s_or_b32 s10, s10, s11
	s_wait_alu 0xfffe
	s_and_b32 s10, s12, s10
	s_wait_alu 0xfffe
	s_xor_b32 s11, s10, -1
	s_wait_alu 0xfffe
	s_and_saveexec_b32 s12, s11
	s_wait_alu 0xfffe
	s_xor_b32 s11, exec_lo, s12
; %bb.151:                              ;   in Loop: Header=BB19_2 Depth=1
	v_lshlrev_b32_e32 v78, 2, v82
	ds_load_b32 v78, v78 offset:4
; %bb.152:                              ;   in Loop: Header=BB19_2 Depth=1
	s_wait_alu 0xfffe
	s_or_saveexec_b32 s11, s11
	v_mov_b32_e32 v81, v77
	s_wait_alu 0xfffe
	s_xor_b32 exec_lo, exec_lo, s11
	s_cbranch_execz .LBB19_154
; %bb.153:                              ;   in Loop: Header=BB19_2 Depth=1
	s_wait_dscnt 0x0
	v_lshlrev_b32_e32 v78, 2, v83
	ds_load_b32 v81, v78 offset:4
	v_mov_b32_e32 v78, v76
.LBB19_154:                             ;   in Loop: Header=BB19_2 Depth=1
	s_or_b32 exec_lo, exec_lo, s11
	v_add_nc_u32_e32 v84, 1, v82
	v_add_nc_u32_e32 v85, 1, v83
	s_wait_dscnt 0x0
	v_cmp_lt_i32_e64 s12, v81, v78
                                        ; implicit-def: $vgpr86
	s_delay_alu instid0(VALU_DEP_3) | instskip(NEXT) | instid1(VALU_DEP_3)
	v_cndmask_b32_e64 v84, v84, v82, s10
	v_cndmask_b32_e64 v85, v83, v85, s10
	s_delay_alu instid0(VALU_DEP_2) | instskip(NEXT) | instid1(VALU_DEP_2)
	v_cmp_ge_i32_e64 s11, v84, v23
	v_cmp_lt_i32_e64 s13, v85, v24
	s_or_b32 s11, s11, s12
	s_wait_alu 0xfffe
	s_and_b32 s11, s13, s11
	s_wait_alu 0xfffe
	s_xor_b32 s12, s11, -1
	s_wait_alu 0xfffe
	s_and_saveexec_b32 s13, s12
	s_wait_alu 0xfffe
	s_xor_b32 s12, exec_lo, s13
; %bb.155:                              ;   in Loop: Header=BB19_2 Depth=1
	v_lshlrev_b32_e32 v86, 2, v84
	ds_load_b32 v86, v86 offset:4
; %bb.156:                              ;   in Loop: Header=BB19_2 Depth=1
	s_wait_alu 0xfffe
	s_or_saveexec_b32 s12, s12
	v_mov_b32_e32 v88, v81
	s_wait_alu 0xfffe
	s_xor_b32 exec_lo, exec_lo, s12
	s_cbranch_execz .LBB19_158
; %bb.157:                              ;   in Loop: Header=BB19_2 Depth=1
	s_wait_dscnt 0x0
	v_lshlrev_b32_e32 v86, 2, v85
	ds_load_b32 v88, v86 offset:4
	v_mov_b32_e32 v86, v78
.LBB19_158:                             ;   in Loop: Header=BB19_2 Depth=1
	s_or_b32 exec_lo, exec_lo, s12
	v_add_nc_u32_e32 v87, 1, v84
	v_add_nc_u32_e32 v89, 1, v85
	s_wait_dscnt 0x0
	v_cmp_lt_i32_e64 s13, v88, v86
	s_delay_alu instid0(VALU_DEP_3) | instskip(NEXT) | instid1(VALU_DEP_3)
	v_cndmask_b32_e64 v90, v87, v84, s11
	v_cndmask_b32_e64 v89, v85, v89, s11
                                        ; implicit-def: $vgpr87
	s_delay_alu instid0(VALU_DEP_2) | instskip(NEXT) | instid1(VALU_DEP_2)
	v_cmp_ge_i32_e64 s12, v90, v23
	v_cmp_lt_i32_e64 s14, v89, v24
	s_or_b32 s12, s12, s13
	s_wait_alu 0xfffe
	s_and_b32 s12, s14, s12
	s_wait_alu 0xfffe
	s_xor_b32 s13, s12, -1
	s_wait_alu 0xfffe
	s_and_saveexec_b32 s14, s13
	s_wait_alu 0xfffe
	s_xor_b32 s13, exec_lo, s14
; %bb.159:                              ;   in Loop: Header=BB19_2 Depth=1
	v_lshlrev_b32_e32 v87, 2, v90
	ds_load_b32 v87, v87 offset:4
; %bb.160:                              ;   in Loop: Header=BB19_2 Depth=1
	s_wait_alu 0xfffe
	s_or_saveexec_b32 s13, s13
	v_mov_b32_e32 v91, v88
	s_wait_alu 0xfffe
	s_xor_b32 exec_lo, exec_lo, s13
	s_cbranch_execz .LBB19_162
; %bb.161:                              ;   in Loop: Header=BB19_2 Depth=1
	s_wait_dscnt 0x0
	v_lshlrev_b32_e32 v87, 2, v89
	ds_load_b32 v91, v87 offset:4
	v_mov_b32_e32 v87, v86
.LBB19_162:                             ;   in Loop: Header=BB19_2 Depth=1
	s_or_b32 exec_lo, exec_lo, s13
	v_add_nc_u32_e32 v92, 1, v90
	v_cndmask_b32_e64 v86, v86, v88, s12
	v_add_nc_u32_e32 v88, 1, v89
	v_cndmask_b32_e64 v84, v84, v85, s11
	v_cndmask_b32_e64 v82, v82, v83, s10
	;; [unrolled: 1-line block ×5, first 2 shown]
	s_wait_dscnt 0x0
	v_cmp_lt_i32_e64 s12, v91, v87
	v_cndmask_b32_e64 v66, v67, v66, s6
	v_cmp_ge_i32_e64 s13, v85, v23
	v_cndmask_b32_e64 v70, v70, v71, s7
	v_cmp_lt_i32_e64 s14, v83, v24
	v_cndmask_b32_e64 v74, v74, v75, s8
	v_cndmask_b32_e64 v79, v79, v80, s9
	s_or_b32 s12, s13, s12
	s_wait_loadcnt 0x0
	s_wait_alu 0xfffe
	s_and_b32 s12, s14, s12
	s_barrier_signal -1
	s_wait_alu 0xfffe
	v_cndmask_b32_e64 v71, v85, v83, s12
	s_barrier_wait -1
	global_inv scope:SCOPE_SE
	ds_store_2addr_b32 v1, v54, v55 offset1:1
	ds_store_2addr_b32 v1, v56, v57 offset0:2 offset1:3
	ds_store_2addr_b32 v1, v58, v59 offset0:4 offset1:5
	ds_store_2addr_b32 v1, v60, v61 offset0:6 offset1:7
	v_lshlrev_b32_e32 v54, 2, v66
	v_lshlrev_b32_e32 v55, 2, v70
	;; [unrolled: 1-line block ×8, first 2 shown]
	s_wait_loadcnt_dscnt 0x0
	s_barrier_signal -1
	s_barrier_wait -1
	global_inv scope:SCOPE_SE
	ds_load_b32 v54, v54
	ds_load_b32 v55, v55
	;; [unrolled: 1-line block ×8, first 2 shown]
	v_cndmask_b32_e64 v64, v64, v65, s7
	v_cndmask_b32_e64 v62, v62, v63, s6
	;; [unrolled: 1-line block ×7, first 2 shown]
	s_wait_loadcnt_dscnt 0x0
	s_barrier_signal -1
	s_barrier_wait -1
	global_inv scope:SCOPE_SE
	ds_store_2addr_b32 v1, v62, v64 offset1:1
	ds_store_2addr_b32 v1, v68, v71 offset0:2 offset1:3
	ds_store_2addr_b32 v1, v70, v66 offset0:4 offset1:5
	;; [unrolled: 1-line block ×3, first 2 shown]
	v_mov_b32_e32 v64, v52
	s_wait_loadcnt_dscnt 0x0
	s_barrier_signal -1
	s_barrier_wait -1
	global_inv scope:SCOPE_SE
	s_and_saveexec_b32 s7, s5
	s_cbranch_execz .LBB19_166
; %bb.163:                              ;   in Loop: Header=BB19_2 Depth=1
	v_mov_b32_e32 v64, v52
	v_mov_b32_e32 v62, v46
	s_mov_b32 s8, 0
.LBB19_164:                             ;   Parent Loop BB19_2 Depth=1
                                        ; =>  This Inner Loop Header: Depth=2
	s_delay_alu instid0(VALU_DEP_1) | instskip(NEXT) | instid1(VALU_DEP_1)
	v_sub_nc_u32_e32 v63, v62, v64
	v_lshrrev_b32_e32 v63, 1, v63
	s_delay_alu instid0(VALU_DEP_1) | instskip(NEXT) | instid1(VALU_DEP_1)
	v_add_nc_u32_e32 v63, v63, v64
	v_not_b32_e32 v65, v63
	v_lshl_add_u32 v66, v63, 2, v28
	v_add_nc_u32_e32 v67, 1, v63
	s_delay_alu instid0(VALU_DEP_3)
	v_lshl_add_u32 v65, v65, 2, v40
	ds_load_b32 v66, v66
	ds_load_b32 v65, v65
	s_wait_dscnt 0x0
	v_cmp_lt_i32_e64 s6, v65, v66
	s_wait_alu 0xf1ff
	s_delay_alu instid0(VALU_DEP_1) | instskip(SKIP_1) | instid1(VALU_DEP_1)
	v_cndmask_b32_e64 v62, v62, v63, s6
	v_cndmask_b32_e64 v64, v67, v64, s6
	v_cmp_ge_i32_e64 s6, v64, v62
	s_wait_alu 0xfffe
	s_or_b32 s8, s6, s8
	s_wait_alu 0xfffe
	s_and_not1_b32 exec_lo, exec_lo, s8
	s_cbranch_execnz .LBB19_164
; %bb.165:                              ;   in Loop: Header=BB19_2 Depth=1
	s_or_b32 exec_lo, exec_lo, s8
.LBB19_166:                             ;   in Loop: Header=BB19_2 Depth=1
	s_wait_alu 0xfffe
	s_or_b32 exec_lo, exec_lo, s7
	v_sub_nc_u32_e32 v66, v34, v64
	v_lshl_add_u32 v65, v64, 2, v28
	v_add_nc_u32_e32 v67, v64, v7
                                        ; implicit-def: $vgpr64
	s_delay_alu instid0(VALU_DEP_3) | instskip(SKIP_1) | instid1(VALU_DEP_3)
	v_lshlrev_b32_e32 v68, 2, v66
	v_cmp_gt_i32_e64 s8, v27, v66
	v_cmp_le_i32_e64 s6, v26, v67
	ds_load_b32 v62, v65
	ds_load_b32 v63, v68
	s_wait_dscnt 0x0
	v_cmp_lt_i32_e64 s7, v63, v62
	s_or_b32 s6, s6, s7
	s_wait_alu 0xfffe
	s_and_b32 s6, s8, s6
	s_wait_alu 0xfffe
	s_xor_b32 s7, s6, -1
	s_wait_alu 0xfffe
	s_and_saveexec_b32 s8, s7
	s_wait_alu 0xfffe
	s_xor_b32 s7, exec_lo, s8
; %bb.167:                              ;   in Loop: Header=BB19_2 Depth=1
	ds_load_b32 v64, v65 offset:4
                                        ; implicit-def: $vgpr68
; %bb.168:                              ;   in Loop: Header=BB19_2 Depth=1
	s_wait_alu 0xfffe
	s_or_saveexec_b32 s7, s7
	v_mov_b32_e32 v65, v63
	s_wait_alu 0xfffe
	s_xor_b32 exec_lo, exec_lo, s7
	s_cbranch_execz .LBB19_170
; %bb.169:                              ;   in Loop: Header=BB19_2 Depth=1
	ds_load_b32 v65, v68 offset:4
	s_wait_dscnt 0x1
	v_mov_b32_e32 v64, v62
.LBB19_170:                             ;   in Loop: Header=BB19_2 Depth=1
	s_or_b32 exec_lo, exec_lo, s7
	v_add_nc_u32_e32 v68, 1, v67
	v_add_nc_u32_e32 v69, 1, v66
	s_wait_dscnt 0x0
	v_cmp_lt_i32_e64 s8, v65, v64
	s_delay_alu instid0(VALU_DEP_3) | instskip(NEXT) | instid1(VALU_DEP_3)
	v_cndmask_b32_e64 v70, v68, v67, s6
	v_cndmask_b32_e64 v71, v66, v69, s6
                                        ; implicit-def: $vgpr68
	s_delay_alu instid0(VALU_DEP_2) | instskip(NEXT) | instid1(VALU_DEP_2)
	v_cmp_ge_i32_e64 s7, v70, v26
	v_cmp_lt_i32_e64 s9, v71, v27
	s_or_b32 s7, s7, s8
	s_wait_alu 0xfffe
	s_and_b32 s7, s9, s7
	s_wait_alu 0xfffe
	s_xor_b32 s8, s7, -1
	s_wait_alu 0xfffe
	s_and_saveexec_b32 s9, s8
	s_wait_alu 0xfffe
	s_xor_b32 s8, exec_lo, s9
; %bb.171:                              ;   in Loop: Header=BB19_2 Depth=1
	v_lshlrev_b32_e32 v68, 2, v70
	ds_load_b32 v68, v68 offset:4
; %bb.172:                              ;   in Loop: Header=BB19_2 Depth=1
	s_wait_alu 0xfffe
	s_or_saveexec_b32 s8, s8
	v_mov_b32_e32 v69, v65
	s_wait_alu 0xfffe
	s_xor_b32 exec_lo, exec_lo, s8
	s_cbranch_execz .LBB19_174
; %bb.173:                              ;   in Loop: Header=BB19_2 Depth=1
	s_wait_dscnt 0x0
	v_lshlrev_b32_e32 v68, 2, v71
	ds_load_b32 v69, v68 offset:4
	v_mov_b32_e32 v68, v64
.LBB19_174:                             ;   in Loop: Header=BB19_2 Depth=1
	s_or_b32 exec_lo, exec_lo, s8
	v_add_nc_u32_e32 v72, 1, v70
	v_add_nc_u32_e32 v73, 1, v71
	s_wait_dscnt 0x0
	v_cmp_lt_i32_e64 s9, v69, v68
	s_delay_alu instid0(VALU_DEP_3) | instskip(NEXT) | instid1(VALU_DEP_3)
	v_cndmask_b32_e64 v74, v72, v70, s7
	v_cndmask_b32_e64 v75, v71, v73, s7
                                        ; implicit-def: $vgpr72
	s_delay_alu instid0(VALU_DEP_2) | instskip(NEXT) | instid1(VALU_DEP_2)
	v_cmp_ge_i32_e64 s8, v74, v26
	v_cmp_lt_i32_e64 s10, v75, v27
	s_or_b32 s8, s8, s9
	s_wait_alu 0xfffe
	s_and_b32 s8, s10, s8
	s_wait_alu 0xfffe
	s_xor_b32 s9, s8, -1
	s_wait_alu 0xfffe
	s_and_saveexec_b32 s10, s9
	s_wait_alu 0xfffe
	s_xor_b32 s9, exec_lo, s10
; %bb.175:                              ;   in Loop: Header=BB19_2 Depth=1
	v_lshlrev_b32_e32 v72, 2, v74
	ds_load_b32 v72, v72 offset:4
; %bb.176:                              ;   in Loop: Header=BB19_2 Depth=1
	s_wait_alu 0xfffe
	s_or_saveexec_b32 s9, s9
	v_mov_b32_e32 v73, v69
	s_wait_alu 0xfffe
	s_xor_b32 exec_lo, exec_lo, s9
	s_cbranch_execz .LBB19_178
; %bb.177:                              ;   in Loop: Header=BB19_2 Depth=1
	s_wait_dscnt 0x0
	v_lshlrev_b32_e32 v72, 2, v75
	ds_load_b32 v73, v72 offset:4
	v_mov_b32_e32 v72, v68
.LBB19_178:                             ;   in Loop: Header=BB19_2 Depth=1
	s_or_b32 exec_lo, exec_lo, s9
	v_add_nc_u32_e32 v76, 1, v74
	v_add_nc_u32_e32 v77, 1, v75
	s_wait_dscnt 0x0
	v_cmp_lt_i32_e64 s10, v73, v72
	s_delay_alu instid0(VALU_DEP_3) | instskip(NEXT) | instid1(VALU_DEP_3)
	v_cndmask_b32_e64 v79, v76, v74, s8
	v_cndmask_b32_e64 v80, v75, v77, s8
                                        ; implicit-def: $vgpr76
	s_delay_alu instid0(VALU_DEP_2) | instskip(NEXT) | instid1(VALU_DEP_2)
	v_cmp_ge_i32_e64 s9, v79, v26
	v_cmp_lt_i32_e64 s11, v80, v27
	s_or_b32 s9, s9, s10
	s_wait_alu 0xfffe
	s_and_b32 s9, s11, s9
	s_wait_alu 0xfffe
	s_xor_b32 s10, s9, -1
	s_wait_alu 0xfffe
	s_and_saveexec_b32 s11, s10
	s_wait_alu 0xfffe
	s_xor_b32 s10, exec_lo, s11
; %bb.179:                              ;   in Loop: Header=BB19_2 Depth=1
	v_lshlrev_b32_e32 v76, 2, v79
	ds_load_b32 v76, v76 offset:4
; %bb.180:                              ;   in Loop: Header=BB19_2 Depth=1
	s_wait_alu 0xfffe
	s_or_saveexec_b32 s10, s10
	v_mov_b32_e32 v77, v73
	s_wait_alu 0xfffe
	s_xor_b32 exec_lo, exec_lo, s10
	s_cbranch_execz .LBB19_182
; %bb.181:                              ;   in Loop: Header=BB19_2 Depth=1
	s_wait_dscnt 0x0
	v_lshlrev_b32_e32 v76, 2, v80
	ds_load_b32 v77, v76 offset:4
	v_mov_b32_e32 v76, v72
.LBB19_182:                             ;   in Loop: Header=BB19_2 Depth=1
	s_or_b32 exec_lo, exec_lo, s10
	v_add_nc_u32_e32 v78, 1, v79
	v_add_nc_u32_e32 v81, 1, v80
	s_wait_dscnt 0x0
	v_cmp_lt_i32_e64 s11, v77, v76
	s_delay_alu instid0(VALU_DEP_3) | instskip(NEXT) | instid1(VALU_DEP_3)
	v_cndmask_b32_e64 v82, v78, v79, s9
	v_cndmask_b32_e64 v83, v80, v81, s9
                                        ; implicit-def: $vgpr78
	s_delay_alu instid0(VALU_DEP_2) | instskip(NEXT) | instid1(VALU_DEP_2)
	v_cmp_ge_i32_e64 s10, v82, v26
	v_cmp_lt_i32_e64 s12, v83, v27
	s_or_b32 s10, s10, s11
	s_wait_alu 0xfffe
	s_and_b32 s10, s12, s10
	s_wait_alu 0xfffe
	s_xor_b32 s11, s10, -1
	s_wait_alu 0xfffe
	s_and_saveexec_b32 s12, s11
	s_wait_alu 0xfffe
	s_xor_b32 s11, exec_lo, s12
; %bb.183:                              ;   in Loop: Header=BB19_2 Depth=1
	v_lshlrev_b32_e32 v78, 2, v82
	ds_load_b32 v78, v78 offset:4
; %bb.184:                              ;   in Loop: Header=BB19_2 Depth=1
	s_wait_alu 0xfffe
	s_or_saveexec_b32 s11, s11
	v_mov_b32_e32 v81, v77
	s_wait_alu 0xfffe
	s_xor_b32 exec_lo, exec_lo, s11
	s_cbranch_execz .LBB19_186
; %bb.185:                              ;   in Loop: Header=BB19_2 Depth=1
	s_wait_dscnt 0x0
	v_lshlrev_b32_e32 v78, 2, v83
	ds_load_b32 v81, v78 offset:4
	v_mov_b32_e32 v78, v76
.LBB19_186:                             ;   in Loop: Header=BB19_2 Depth=1
	s_or_b32 exec_lo, exec_lo, s11
	v_add_nc_u32_e32 v84, 1, v82
	v_add_nc_u32_e32 v85, 1, v83
	s_wait_dscnt 0x0
	v_cmp_lt_i32_e64 s12, v81, v78
                                        ; implicit-def: $vgpr86
	s_delay_alu instid0(VALU_DEP_3) | instskip(NEXT) | instid1(VALU_DEP_3)
	v_cndmask_b32_e64 v84, v84, v82, s10
	v_cndmask_b32_e64 v85, v83, v85, s10
	s_delay_alu instid0(VALU_DEP_2) | instskip(NEXT) | instid1(VALU_DEP_2)
	v_cmp_ge_i32_e64 s11, v84, v26
	v_cmp_lt_i32_e64 s13, v85, v27
	s_or_b32 s11, s11, s12
	s_wait_alu 0xfffe
	s_and_b32 s11, s13, s11
	s_wait_alu 0xfffe
	s_xor_b32 s12, s11, -1
	s_wait_alu 0xfffe
	s_and_saveexec_b32 s13, s12
	s_wait_alu 0xfffe
	s_xor_b32 s12, exec_lo, s13
; %bb.187:                              ;   in Loop: Header=BB19_2 Depth=1
	v_lshlrev_b32_e32 v86, 2, v84
	ds_load_b32 v86, v86 offset:4
; %bb.188:                              ;   in Loop: Header=BB19_2 Depth=1
	s_wait_alu 0xfffe
	s_or_saveexec_b32 s12, s12
	v_mov_b32_e32 v88, v81
	s_wait_alu 0xfffe
	s_xor_b32 exec_lo, exec_lo, s12
	s_cbranch_execz .LBB19_190
; %bb.189:                              ;   in Loop: Header=BB19_2 Depth=1
	s_wait_dscnt 0x0
	v_lshlrev_b32_e32 v86, 2, v85
	ds_load_b32 v88, v86 offset:4
	v_mov_b32_e32 v86, v78
.LBB19_190:                             ;   in Loop: Header=BB19_2 Depth=1
	s_or_b32 exec_lo, exec_lo, s12
	v_add_nc_u32_e32 v87, 1, v84
	v_add_nc_u32_e32 v89, 1, v85
	s_wait_dscnt 0x0
	v_cmp_lt_i32_e64 s13, v88, v86
	s_delay_alu instid0(VALU_DEP_3) | instskip(NEXT) | instid1(VALU_DEP_3)
	v_cndmask_b32_e64 v90, v87, v84, s11
	v_cndmask_b32_e64 v89, v85, v89, s11
                                        ; implicit-def: $vgpr87
	s_delay_alu instid0(VALU_DEP_2) | instskip(NEXT) | instid1(VALU_DEP_2)
	v_cmp_ge_i32_e64 s12, v90, v26
	v_cmp_lt_i32_e64 s14, v89, v27
	s_or_b32 s12, s12, s13
	s_wait_alu 0xfffe
	s_and_b32 s12, s14, s12
	s_wait_alu 0xfffe
	s_xor_b32 s13, s12, -1
	s_wait_alu 0xfffe
	s_and_saveexec_b32 s14, s13
	s_wait_alu 0xfffe
	s_xor_b32 s13, exec_lo, s14
; %bb.191:                              ;   in Loop: Header=BB19_2 Depth=1
	v_lshlrev_b32_e32 v87, 2, v90
	ds_load_b32 v87, v87 offset:4
; %bb.192:                              ;   in Loop: Header=BB19_2 Depth=1
	s_wait_alu 0xfffe
	s_or_saveexec_b32 s13, s13
	v_mov_b32_e32 v91, v88
	s_wait_alu 0xfffe
	s_xor_b32 exec_lo, exec_lo, s13
	s_cbranch_execz .LBB19_194
; %bb.193:                              ;   in Loop: Header=BB19_2 Depth=1
	s_wait_dscnt 0x0
	v_lshlrev_b32_e32 v87, 2, v89
	ds_load_b32 v91, v87 offset:4
	v_mov_b32_e32 v87, v86
.LBB19_194:                             ;   in Loop: Header=BB19_2 Depth=1
	s_or_b32 exec_lo, exec_lo, s13
	v_add_nc_u32_e32 v92, 1, v90
	v_cndmask_b32_e64 v86, v86, v88, s12
	v_add_nc_u32_e32 v88, 1, v89
	v_cndmask_b32_e64 v84, v84, v85, s11
	v_cndmask_b32_e64 v82, v82, v83, s10
	;; [unrolled: 1-line block ×5, first 2 shown]
	s_wait_dscnt 0x0
	v_cmp_lt_i32_e64 s12, v91, v87
	v_cndmask_b32_e64 v66, v67, v66, s6
	v_cmp_ge_i32_e64 s13, v85, v26
	v_cndmask_b32_e64 v70, v70, v71, s7
	v_cmp_lt_i32_e64 s14, v83, v27
	v_cndmask_b32_e64 v74, v74, v75, s8
	v_cndmask_b32_e64 v79, v79, v80, s9
	s_or_b32 s12, s13, s12
	s_wait_loadcnt 0x0
	s_wait_alu 0xfffe
	s_and_b32 s12, s14, s12
	s_barrier_signal -1
	s_wait_alu 0xfffe
	v_cndmask_b32_e64 v71, v85, v83, s12
	s_barrier_wait -1
	global_inv scope:SCOPE_SE
	ds_store_2addr_b32 v1, v54, v55 offset1:1
	ds_store_2addr_b32 v1, v56, v57 offset0:2 offset1:3
	ds_store_2addr_b32 v1, v58, v59 offset0:4 offset1:5
	;; [unrolled: 1-line block ×3, first 2 shown]
	v_lshlrev_b32_e32 v54, 2, v66
	v_lshlrev_b32_e32 v55, 2, v70
	;; [unrolled: 1-line block ×8, first 2 shown]
	s_wait_loadcnt_dscnt 0x0
	s_barrier_signal -1
	s_barrier_wait -1
	global_inv scope:SCOPE_SE
	ds_load_b32 v54, v54
	ds_load_b32 v55, v55
	;; [unrolled: 1-line block ×8, first 2 shown]
	v_cndmask_b32_e64 v64, v64, v65, s7
	v_cndmask_b32_e64 v62, v62, v63, s6
	;; [unrolled: 1-line block ×7, first 2 shown]
	s_wait_loadcnt_dscnt 0x0
	s_barrier_signal -1
	s_barrier_wait -1
	global_inv scope:SCOPE_SE
	ds_store_2addr_b32 v1, v62, v64 offset1:1
	ds_store_2addr_b32 v1, v68, v71 offset0:2 offset1:3
	ds_store_2addr_b32 v1, v70, v66 offset0:4 offset1:5
	ds_store_2addr_b32 v1, v86, v67 offset0:6 offset1:7
	v_mov_b32_e32 v62, v8
	s_wait_loadcnt_dscnt 0x0
	s_barrier_signal -1
	s_barrier_wait -1
	global_inv scope:SCOPE_SE
	s_and_saveexec_b32 s7, vcc_lo
	s_cbranch_execz .LBB19_198
; %bb.195:                              ;   in Loop: Header=BB19_2 Depth=1
	v_dual_mov_b32 v62, v8 :: v_dual_mov_b32 v63, v9
	s_mov_b32 s8, 0
.LBB19_196:                             ;   Parent Loop BB19_2 Depth=1
                                        ; =>  This Inner Loop Header: Depth=2
	s_delay_alu instid0(VALU_DEP_1) | instskip(NEXT) | instid1(VALU_DEP_1)
	v_sub_nc_u32_e32 v64, v63, v62
	v_lshrrev_b32_e32 v64, 1, v64
	s_delay_alu instid0(VALU_DEP_1) | instskip(NEXT) | instid1(VALU_DEP_1)
	v_add_nc_u32_e32 v64, v64, v62
	v_not_b32_e32 v65, v64
	v_lshlrev_b32_e32 v66, 2, v64
	v_add_nc_u32_e32 v67, 1, v64
	s_delay_alu instid0(VALU_DEP_3)
	v_lshl_add_u32 v65, v65, 2, v53
	ds_load_b32 v66, v66
	ds_load_b32 v65, v65
	s_wait_dscnt 0x0
	v_cmp_lt_i32_e64 s6, v65, v66
	s_wait_alu 0xf1ff
	s_delay_alu instid0(VALU_DEP_1) | instskip(SKIP_1) | instid1(VALU_DEP_1)
	v_cndmask_b32_e64 v63, v63, v64, s6
	v_cndmask_b32_e64 v62, v67, v62, s6
	v_cmp_ge_i32_e64 s6, v62, v63
	s_wait_alu 0xfffe
	s_or_b32 s8, s6, s8
	s_wait_alu 0xfffe
	s_and_not1_b32 exec_lo, exec_lo, s8
	s_cbranch_execnz .LBB19_196
; %bb.197:                              ;   in Loop: Header=BB19_2 Depth=1
	s_or_b32 exec_lo, exec_lo, s8
.LBB19_198:                             ;   in Loop: Header=BB19_2 Depth=1
	s_wait_alu 0xfffe
	s_or_b32 exec_lo, exec_lo, s7
	v_sub_nc_u32_e32 v67, v10, v62
	v_lshlrev_b32_e32 v66, 2, v62
	v_cmp_le_i32_e64 s6, 0x200, v62
                                        ; implicit-def: $vgpr65
	s_delay_alu instid0(VALU_DEP_3)
	v_lshlrev_b32_e32 v68, 2, v67
	v_cmp_gt_i32_e64 s8, 0x400, v67
	ds_load_b32 v63, v66
	ds_load_b32 v64, v68
	s_wait_dscnt 0x0
	v_cmp_lt_i32_e64 s7, v64, v63
	s_or_b32 s6, s6, s7
	s_wait_alu 0xfffe
	s_and_b32 s6, s8, s6
	s_wait_alu 0xfffe
	s_xor_b32 s7, s6, -1
	s_wait_alu 0xfffe
	s_and_saveexec_b32 s8, s7
	s_wait_alu 0xfffe
	s_xor_b32 s7, exec_lo, s8
; %bb.199:                              ;   in Loop: Header=BB19_2 Depth=1
	ds_load_b32 v65, v66 offset:4
                                        ; implicit-def: $vgpr68
; %bb.200:                              ;   in Loop: Header=BB19_2 Depth=1
	s_wait_alu 0xfffe
	s_or_saveexec_b32 s7, s7
	v_mov_b32_e32 v66, v64
	s_wait_alu 0xfffe
	s_xor_b32 exec_lo, exec_lo, s7
	s_cbranch_execz .LBB19_202
; %bb.201:                              ;   in Loop: Header=BB19_2 Depth=1
	ds_load_b32 v66, v68 offset:4
	s_wait_dscnt 0x1
	v_mov_b32_e32 v65, v63
.LBB19_202:                             ;   in Loop: Header=BB19_2 Depth=1
	s_or_b32 exec_lo, exec_lo, s7
	v_add_nc_u32_e32 v68, 1, v62
	v_add_nc_u32_e32 v69, 1, v67
	s_wait_dscnt 0x0
	v_cmp_lt_i32_e64 s8, v66, v65
	s_delay_alu instid0(VALU_DEP_3) | instskip(NEXT) | instid1(VALU_DEP_3)
	v_cndmask_b32_e64 v70, v68, v62, s6
	v_cndmask_b32_e64 v71, v67, v69, s6
                                        ; implicit-def: $vgpr68
	s_delay_alu instid0(VALU_DEP_2) | instskip(NEXT) | instid1(VALU_DEP_2)
	v_cmp_le_i32_e64 s7, 0x200, v70
	v_cmp_gt_i32_e64 s9, 0x400, v71
	s_or_b32 s7, s7, s8
	s_wait_alu 0xfffe
	s_and_b32 s7, s9, s7
	s_wait_alu 0xfffe
	s_xor_b32 s8, s7, -1
	s_wait_alu 0xfffe
	s_and_saveexec_b32 s9, s8
	s_wait_alu 0xfffe
	s_xor_b32 s8, exec_lo, s9
; %bb.203:                              ;   in Loop: Header=BB19_2 Depth=1
	v_lshlrev_b32_e32 v68, 2, v70
	ds_load_b32 v68, v68 offset:4
; %bb.204:                              ;   in Loop: Header=BB19_2 Depth=1
	s_wait_alu 0xfffe
	s_or_saveexec_b32 s8, s8
	v_mov_b32_e32 v69, v66
	s_wait_alu 0xfffe
	s_xor_b32 exec_lo, exec_lo, s8
	s_cbranch_execz .LBB19_206
; %bb.205:                              ;   in Loop: Header=BB19_2 Depth=1
	s_wait_dscnt 0x0
	v_lshlrev_b32_e32 v68, 2, v71
	ds_load_b32 v69, v68 offset:4
	v_mov_b32_e32 v68, v65
.LBB19_206:                             ;   in Loop: Header=BB19_2 Depth=1
	s_or_b32 exec_lo, exec_lo, s8
	v_add_nc_u32_e32 v72, 1, v70
	v_add_nc_u32_e32 v73, 1, v71
	s_wait_dscnt 0x0
	v_cmp_lt_i32_e64 s9, v69, v68
	s_delay_alu instid0(VALU_DEP_3) | instskip(NEXT) | instid1(VALU_DEP_3)
	v_cndmask_b32_e64 v74, v72, v70, s7
	v_cndmask_b32_e64 v75, v71, v73, s7
                                        ; implicit-def: $vgpr72
	s_delay_alu instid0(VALU_DEP_2) | instskip(NEXT) | instid1(VALU_DEP_2)
	v_cmp_le_i32_e64 s8, 0x200, v74
	v_cmp_gt_i32_e64 s10, 0x400, v75
	s_or_b32 s8, s8, s9
	s_wait_alu 0xfffe
	s_and_b32 s8, s10, s8
	s_wait_alu 0xfffe
	s_xor_b32 s9, s8, -1
	s_wait_alu 0xfffe
	s_and_saveexec_b32 s10, s9
	s_wait_alu 0xfffe
	s_xor_b32 s9, exec_lo, s10
; %bb.207:                              ;   in Loop: Header=BB19_2 Depth=1
	v_lshlrev_b32_e32 v72, 2, v74
	ds_load_b32 v72, v72 offset:4
; %bb.208:                              ;   in Loop: Header=BB19_2 Depth=1
	s_wait_alu 0xfffe
	s_or_saveexec_b32 s9, s9
	v_mov_b32_e32 v73, v69
	s_wait_alu 0xfffe
	s_xor_b32 exec_lo, exec_lo, s9
	s_cbranch_execz .LBB19_210
; %bb.209:                              ;   in Loop: Header=BB19_2 Depth=1
	s_wait_dscnt 0x0
	v_lshlrev_b32_e32 v72, 2, v75
	ds_load_b32 v73, v72 offset:4
	v_mov_b32_e32 v72, v68
.LBB19_210:                             ;   in Loop: Header=BB19_2 Depth=1
	s_or_b32 exec_lo, exec_lo, s9
	v_add_nc_u32_e32 v76, 1, v74
	v_add_nc_u32_e32 v77, 1, v75
	s_wait_dscnt 0x0
	v_cmp_lt_i32_e64 s10, v73, v72
	s_delay_alu instid0(VALU_DEP_3) | instskip(NEXT) | instid1(VALU_DEP_3)
	v_cndmask_b32_e64 v78, v76, v74, s8
	v_cndmask_b32_e64 v79, v75, v77, s8
                                        ; implicit-def: $vgpr76
	s_delay_alu instid0(VALU_DEP_2) | instskip(NEXT) | instid1(VALU_DEP_2)
	v_cmp_le_i32_e64 s9, 0x200, v78
	v_cmp_gt_i32_e64 s11, 0x400, v79
	s_or_b32 s9, s9, s10
	s_wait_alu 0xfffe
	s_and_b32 s9, s11, s9
	s_wait_alu 0xfffe
	s_xor_b32 s10, s9, -1
	s_wait_alu 0xfffe
	s_and_saveexec_b32 s11, s10
	s_wait_alu 0xfffe
	s_xor_b32 s10, exec_lo, s11
; %bb.211:                              ;   in Loop: Header=BB19_2 Depth=1
	v_lshlrev_b32_e32 v76, 2, v78
	ds_load_b32 v76, v76 offset:4
; %bb.212:                              ;   in Loop: Header=BB19_2 Depth=1
	s_wait_alu 0xfffe
	s_or_saveexec_b32 s10, s10
	v_mov_b32_e32 v77, v73
	s_wait_alu 0xfffe
	s_xor_b32 exec_lo, exec_lo, s10
	s_cbranch_execz .LBB19_214
; %bb.213:                              ;   in Loop: Header=BB19_2 Depth=1
	s_wait_dscnt 0x0
	v_lshlrev_b32_e32 v76, 2, v79
	ds_load_b32 v77, v76 offset:4
	v_mov_b32_e32 v76, v72
.LBB19_214:                             ;   in Loop: Header=BB19_2 Depth=1
	s_or_b32 exec_lo, exec_lo, s10
	v_add_nc_u32_e32 v80, 1, v78
	v_add_nc_u32_e32 v81, 1, v79
	s_wait_dscnt 0x0
	v_cmp_lt_i32_e64 s11, v77, v76
	s_delay_alu instid0(VALU_DEP_3) | instskip(NEXT) | instid1(VALU_DEP_3)
	v_cndmask_b32_e64 v83, v80, v78, s9
	v_cndmask_b32_e64 v84, v79, v81, s9
                                        ; implicit-def: $vgpr80
	s_delay_alu instid0(VALU_DEP_2) | instskip(NEXT) | instid1(VALU_DEP_2)
	v_cmp_le_i32_e64 s10, 0x200, v83
	v_cmp_gt_i32_e64 s12, 0x400, v84
	s_or_b32 s10, s10, s11
	s_wait_alu 0xfffe
	s_and_b32 s10, s12, s10
	s_wait_alu 0xfffe
	s_xor_b32 s11, s10, -1
	s_wait_alu 0xfffe
	s_and_saveexec_b32 s12, s11
	s_wait_alu 0xfffe
	s_xor_b32 s11, exec_lo, s12
; %bb.215:                              ;   in Loop: Header=BB19_2 Depth=1
	v_lshlrev_b32_e32 v80, 2, v83
	ds_load_b32 v80, v80 offset:4
; %bb.216:                              ;   in Loop: Header=BB19_2 Depth=1
	s_wait_alu 0xfffe
	s_or_saveexec_b32 s11, s11
	v_mov_b32_e32 v81, v77
	s_wait_alu 0xfffe
	s_xor_b32 exec_lo, exec_lo, s11
	s_cbranch_execz .LBB19_218
; %bb.217:                              ;   in Loop: Header=BB19_2 Depth=1
	s_wait_dscnt 0x0
	v_lshlrev_b32_e32 v80, 2, v84
	ds_load_b32 v81, v80 offset:4
	v_mov_b32_e32 v80, v76
.LBB19_218:                             ;   in Loop: Header=BB19_2 Depth=1
	s_or_b32 exec_lo, exec_lo, s11
	v_add_nc_u32_e32 v82, 1, v83
	v_add_nc_u32_e32 v85, 1, v84
	s_wait_dscnt 0x0
	v_cmp_lt_i32_e64 s12, v81, v80
	s_delay_alu instid0(VALU_DEP_3) | instskip(NEXT) | instid1(VALU_DEP_3)
	v_cndmask_b32_e64 v86, v82, v83, s10
	v_cndmask_b32_e64 v87, v84, v85, s10
                                        ; implicit-def: $vgpr82
	s_delay_alu instid0(VALU_DEP_2) | instskip(NEXT) | instid1(VALU_DEP_2)
	v_cmp_le_i32_e64 s11, 0x200, v86
	v_cmp_gt_i32_e64 s13, 0x400, v87
	s_or_b32 s11, s11, s12
	s_wait_alu 0xfffe
	s_and_b32 s11, s13, s11
	s_wait_alu 0xfffe
	s_xor_b32 s12, s11, -1
	s_wait_alu 0xfffe
	s_and_saveexec_b32 s13, s12
	s_wait_alu 0xfffe
	s_xor_b32 s12, exec_lo, s13
; %bb.219:                              ;   in Loop: Header=BB19_2 Depth=1
	v_lshlrev_b32_e32 v82, 2, v86
	ds_load_b32 v82, v82 offset:4
; %bb.220:                              ;   in Loop: Header=BB19_2 Depth=1
	s_wait_alu 0xfffe
	s_or_saveexec_b32 s12, s12
	v_mov_b32_e32 v85, v81
	s_wait_alu 0xfffe
	s_xor_b32 exec_lo, exec_lo, s12
	s_cbranch_execz .LBB19_222
; %bb.221:                              ;   in Loop: Header=BB19_2 Depth=1
	s_wait_dscnt 0x0
	v_lshlrev_b32_e32 v82, 2, v87
	ds_load_b32 v85, v82 offset:4
	v_mov_b32_e32 v82, v80
.LBB19_222:                             ;   in Loop: Header=BB19_2 Depth=1
	s_or_b32 exec_lo, exec_lo, s12
	v_add_nc_u32_e32 v88, 1, v86
	v_add_nc_u32_e32 v89, 1, v87
	s_wait_dscnt 0x0
	v_cmp_lt_i32_e64 s13, v85, v82
                                        ; implicit-def: $vgpr91
                                        ; implicit-def: $vgpr90
	s_delay_alu instid0(VALU_DEP_3) | instskip(NEXT) | instid1(VALU_DEP_3)
	v_cndmask_b32_e64 v92, v88, v86, s11
	v_cndmask_b32_e64 v88, v87, v89, s11
	s_delay_alu instid0(VALU_DEP_2) | instskip(NEXT) | instid1(VALU_DEP_2)
	v_cmp_le_i32_e64 s12, 0x200, v92
	v_cmp_gt_i32_e64 s14, 0x400, v88
	s_or_b32 s12, s12, s13
	s_wait_alu 0xfffe
	s_and_b32 s12, s14, s12
	s_wait_alu 0xfffe
	s_xor_b32 s13, s12, -1
	s_wait_alu 0xfffe
	s_and_saveexec_b32 s14, s13
	s_wait_alu 0xfffe
	s_xor_b32 s13, exec_lo, s14
; %bb.223:                              ;   in Loop: Header=BB19_2 Depth=1
	v_lshlrev_b32_e32 v89, 2, v92
	v_add_nc_u32_e32 v90, 1, v92
	ds_load_b32 v91, v89 offset:4
; %bb.224:                              ;   in Loop: Header=BB19_2 Depth=1
	s_wait_alu 0xfffe
	s_or_saveexec_b32 s13, s13
	v_mov_b32_e32 v89, v92
	v_mov_b32_e32 v93, v85
	s_wait_alu 0xfffe
	s_xor_b32 exec_lo, exec_lo, s13
	s_cbranch_execz .LBB19_1
; %bb.225:                              ;   in Loop: Header=BB19_2 Depth=1
	v_dual_mov_b32 v90, v92 :: v_dual_lshlrev_b32 v89, 2, v88
	s_wait_dscnt 0x0
	v_add_nc_u32_e32 v91, 1, v88
	ds_load_b32 v93, v89 offset:4
	v_dual_mov_b32 v89, v88 :: v_dual_mov_b32 v88, v91
	v_mov_b32_e32 v91, v82
	s_branch .LBB19_1
.LBB19_226:
	s_wait_dscnt 0x7
	v_add_nc_u32_e32 v1, v70, v57
	v_lshlrev_b32_e32 v0, 2, v0
	s_wait_dscnt 0x6
	v_add_nc_u32_e32 v2, v71, v60
	s_wait_dscnt 0x5
	v_add_nc_u32_e32 v3, v65, v58
	;; [unrolled: 2-line block ×3, first 2 shown]
	s_add_nc_u64 s[0:1], s[46:47], s[48:49]
	s_wait_dscnt 0x3
	v_add_nc_u32_e32 v5, v66, v59
	s_wait_dscnt 0x2
	v_add_nc_u32_e32 v6, v64, v56
	;; [unrolled: 2-line block ×4, first 2 shown]
	s_clause 0x7
	global_store_b32 v0, v1, s[0:1]
	global_store_b32 v0, v2, s[0:1] offset:512
	global_store_b32 v0, v3, s[0:1] offset:1024
	;; [unrolled: 1-line block ×7, first 2 shown]
	s_endpgm
	.section	.rodata,"a",@progbits
	.p2align	6, 0x0
	.amdhsa_kernel _Z17sort_pairs_kernelIiLj128ELj8EN10test_utils4lessELj10EEvPKT_PS2_T2_
		.amdhsa_group_segment_fixed_size 4100
		.amdhsa_private_segment_fixed_size 0
		.amdhsa_kernarg_size 20
		.amdhsa_user_sgpr_count 2
		.amdhsa_user_sgpr_dispatch_ptr 0
		.amdhsa_user_sgpr_queue_ptr 0
		.amdhsa_user_sgpr_kernarg_segment_ptr 1
		.amdhsa_user_sgpr_dispatch_id 0
		.amdhsa_user_sgpr_private_segment_size 0
		.amdhsa_wavefront_size32 1
		.amdhsa_uses_dynamic_stack 0
		.amdhsa_enable_private_segment 0
		.amdhsa_system_sgpr_workgroup_id_x 1
		.amdhsa_system_sgpr_workgroup_id_y 0
		.amdhsa_system_sgpr_workgroup_id_z 0
		.amdhsa_system_sgpr_workgroup_info 0
		.amdhsa_system_vgpr_workitem_id 0
		.amdhsa_next_free_vgpr 94
		.amdhsa_next_free_sgpr 52
		.amdhsa_reserve_vcc 1
		.amdhsa_float_round_mode_32 0
		.amdhsa_float_round_mode_16_64 0
		.amdhsa_float_denorm_mode_32 3
		.amdhsa_float_denorm_mode_16_64 3
		.amdhsa_fp16_overflow 0
		.amdhsa_workgroup_processor_mode 1
		.amdhsa_memory_ordered 1
		.amdhsa_forward_progress 1
		.amdhsa_inst_pref_size 111
		.amdhsa_round_robin_scheduling 0
		.amdhsa_exception_fp_ieee_invalid_op 0
		.amdhsa_exception_fp_denorm_src 0
		.amdhsa_exception_fp_ieee_div_zero 0
		.amdhsa_exception_fp_ieee_overflow 0
		.amdhsa_exception_fp_ieee_underflow 0
		.amdhsa_exception_fp_ieee_inexact 0
		.amdhsa_exception_int_div_zero 0
	.end_amdhsa_kernel
	.section	.text._Z17sort_pairs_kernelIiLj128ELj8EN10test_utils4lessELj10EEvPKT_PS2_T2_,"axG",@progbits,_Z17sort_pairs_kernelIiLj128ELj8EN10test_utils4lessELj10EEvPKT_PS2_T2_,comdat
.Lfunc_end19:
	.size	_Z17sort_pairs_kernelIiLj128ELj8EN10test_utils4lessELj10EEvPKT_PS2_T2_, .Lfunc_end19-_Z17sort_pairs_kernelIiLj128ELj8EN10test_utils4lessELj10EEvPKT_PS2_T2_
                                        ; -- End function
	.set _Z17sort_pairs_kernelIiLj128ELj8EN10test_utils4lessELj10EEvPKT_PS2_T2_.num_vgpr, 94
	.set _Z17sort_pairs_kernelIiLj128ELj8EN10test_utils4lessELj10EEvPKT_PS2_T2_.num_agpr, 0
	.set _Z17sort_pairs_kernelIiLj128ELj8EN10test_utils4lessELj10EEvPKT_PS2_T2_.numbered_sgpr, 52
	.set _Z17sort_pairs_kernelIiLj128ELj8EN10test_utils4lessELj10EEvPKT_PS2_T2_.num_named_barrier, 0
	.set _Z17sort_pairs_kernelIiLj128ELj8EN10test_utils4lessELj10EEvPKT_PS2_T2_.private_seg_size, 0
	.set _Z17sort_pairs_kernelIiLj128ELj8EN10test_utils4lessELj10EEvPKT_PS2_T2_.uses_vcc, 1
	.set _Z17sort_pairs_kernelIiLj128ELj8EN10test_utils4lessELj10EEvPKT_PS2_T2_.uses_flat_scratch, 0
	.set _Z17sort_pairs_kernelIiLj128ELj8EN10test_utils4lessELj10EEvPKT_PS2_T2_.has_dyn_sized_stack, 0
	.set _Z17sort_pairs_kernelIiLj128ELj8EN10test_utils4lessELj10EEvPKT_PS2_T2_.has_recursion, 0
	.set _Z17sort_pairs_kernelIiLj128ELj8EN10test_utils4lessELj10EEvPKT_PS2_T2_.has_indirect_call, 0
	.section	.AMDGPU.csdata,"",@progbits
; Kernel info:
; codeLenInByte = 14156
; TotalNumSgprs: 54
; NumVgprs: 94
; ScratchSize: 0
; MemoryBound: 0
; FloatMode: 240
; IeeeMode: 1
; LDSByteSize: 4100 bytes/workgroup (compile time only)
; SGPRBlocks: 0
; VGPRBlocks: 11
; NumSGPRsForWavesPerEU: 54
; NumVGPRsForWavesPerEU: 94
; Occupancy: 16
; WaveLimiterHint : 1
; COMPUTE_PGM_RSRC2:SCRATCH_EN: 0
; COMPUTE_PGM_RSRC2:USER_SGPR: 2
; COMPUTE_PGM_RSRC2:TRAP_HANDLER: 0
; COMPUTE_PGM_RSRC2:TGID_X_EN: 1
; COMPUTE_PGM_RSRC2:TGID_Y_EN: 0
; COMPUTE_PGM_RSRC2:TGID_Z_EN: 0
; COMPUTE_PGM_RSRC2:TIDIG_COMP_CNT: 0
	.section	.text._Z16sort_keys_kernelIiLj256ELj1EN10test_utils4lessELj10EEvPKT_PS2_T2_,"axG",@progbits,_Z16sort_keys_kernelIiLj256ELj1EN10test_utils4lessELj10EEvPKT_PS2_T2_,comdat
	.protected	_Z16sort_keys_kernelIiLj256ELj1EN10test_utils4lessELj10EEvPKT_PS2_T2_ ; -- Begin function _Z16sort_keys_kernelIiLj256ELj1EN10test_utils4lessELj10EEvPKT_PS2_T2_
	.globl	_Z16sort_keys_kernelIiLj256ELj1EN10test_utils4lessELj10EEvPKT_PS2_T2_
	.p2align	8
	.type	_Z16sort_keys_kernelIiLj256ELj1EN10test_utils4lessELj10EEvPKT_PS2_T2_,@function
_Z16sort_keys_kernelIiLj256ELj1EN10test_utils4lessELj10EEvPKT_PS2_T2_: ; @_Z16sort_keys_kernelIiLj256ELj1EN10test_utils4lessELj10EEvPKT_PS2_T2_
; %bb.0:
	s_load_b128 s[8:11], s[0:1], 0x0
	s_lshl_b32 s12, ttmp9, 8
	s_mov_b32 s13, 0
	v_lshlrev_b32_e32 v1, 2, v0
	s_lshl_b64 s[14:15], s[12:13], 2
	v_and_b32_e32 v45, 1, v0
	v_and_b32_e32 v13, 0xfc, v0
	;; [unrolled: 1-line block ×8, first 2 shown]
	v_add_nc_u32_e32 v5, -1, v45
	v_or_b32_e32 v48, 2, v13
	v_add_nc_u32_e32 v4, 4, v13
	v_cmp_lt_i32_e32 vcc_lo, 0, v45
	v_or_b32_e32 v49, 4, v19
	v_add_nc_u32_e32 v10, 8, v19
	v_or_b32_e32 v51, 8, v25
	s_wait_kmcnt 0x0
	s_add_nc_u64 s[0:1], s[8:9], s[14:15]
	v_add_nc_u32_e32 v16, 16, v25
	global_load_b32 v55, v1, s[0:1]
	v_or_b32_e32 v53, 16, v31
	v_add_nc_u32_e32 v22, 32, v31
	v_or_b32_e32 v56, 32, v38
	v_add_nc_u32_e32 v28, 64, v38
	;; [unrolled: 2-line block ×3, first 2 shown]
	v_or_b32_e32 v2, 1, v7
	v_dual_cndmask_b32 v5, 0, v5 :: v_dual_and_b32 v46, 3, v0
	v_sub_nc_u32_e32 v11, v4, v48
	v_and_b32_e32 v50, 7, v0
	v_sub_nc_u32_e32 v17, v10, v49
	v_and_b32_e32 v52, 15, v0
	;; [unrolled: 2-line block ×5, first 2 shown]
	v_sub_nc_u32_e32 v39, v32, v58
	v_sub_nc_u32_e32 v3, v2, v7
	;; [unrolled: 1-line block ×4, first 2 shown]
	v_cmp_ge_i32_e64 s0, v46, v11
	v_sub_nc_u32_e32 v18, v50, v17
	v_sub_nc_u32_e32 v15, v49, v19
	v_cmp_ge_i32_e64 s1, v50, v17
	v_sub_nc_u32_e32 v24, v52, v23
	v_sub_nc_u32_e32 v21, v51, v25
	;; [unrolled: 3-line block ×5, first 2 shown]
	v_cmp_ge_i32_e64 s5, v59, v39
	v_min_i32_e32 v6, v45, v3
	v_add_nc_u32_e32 v8, v2, v45
	v_cndmask_b32_e64 v11, 0, v12, s0
	v_min_i32_e32 v12, v46, v9
	v_cndmask_b32_e64 v17, 0, v18, s1
	v_min_i32_e32 v18, v50, v15
	v_add_nc_u32_e32 v20, v49, v50
	v_cndmask_b32_e64 v23, 0, v24, s2
	v_min_i32_e32 v24, v52, v21
	v_add_nc_u32_e32 v26, v51, v52
	v_cndmask_b32_e64 v29, 0, v30, s3
	v_min_i32_e32 v30, v54, v27
	v_cndmask_b32_e64 v34, 0, v35, s4
	v_min_i32_e32 v35, v57, v33
	v_add_nc_u32_e32 v36, v53, v54
	v_cndmask_b32_e64 v39, 0, v40, s5
	v_min_i32_e32 v40, v59, v37
	v_add_nc_u32_e32 v41, v56, v57
	v_subrev_nc_u32_e64 v43, 0x80, v0 clamp
	v_min_i32_e32 v44, 0x80, v0
	v_lshlrev_b32_e32 v47, 2, v45
	v_lshlrev_b32_e32 v60, 2, v46
	v_add_nc_u32_e32 v45, v58, v59
	v_lshlrev_b32_e32 v50, 2, v50
	v_lshlrev_b32_e32 v52, 2, v52
	;; [unrolled: 1-line block ×7, first 2 shown]
	v_cmp_lt_i32_e64 s0, v11, v12
	v_add_nc_u32_e32 v14, v48, v46
	v_lshlrev_b32_e32 v19, 2, v19
	v_cmp_lt_i32_e64 s1, v17, v18
	v_lshlrev_b32_e32 v25, 2, v25
	v_cmp_lt_i32_e64 s2, v23, v24
	;; [unrolled: 2-line block ×5, first 2 shown]
	v_cmp_lt_i32_e64 s6, v43, v44
	v_add_nc_u32_e32 v46, 0x80, v0
	v_lshl_add_u32 v47, v2, 2, v47
	v_lshl_add_u32 v48, v48, 2, v60
	;; [unrolled: 1-line block ×7, first 2 shown]
	v_add_nc_u32_e32 v54, 0x200, v1
	v_cmp_lt_i32_e32 vcc_lo, v5, v6
	s_branch .LBB20_2
.LBB20_1:                               ;   in Loop: Header=BB20_2 Depth=1
	s_or_b32 exec_lo, exec_lo, s8
	v_sub_nc_u32_e32 v56, v46, v55
	v_lshlrev_b32_e32 v57, 2, v55
	v_cmp_le_i32_e64 s7, 0x80, v55
	s_add_co_i32 s13, s13, 1
	v_lshlrev_b32_e32 v58, 2, v56
	v_cmp_gt_i32_e64 s9, 0x100, v56
	ds_load_b32 v57, v57
	ds_load_b32 v58, v58
	s_wait_dscnt 0x0
	v_cmp_lt_i32_e64 s8, v58, v57
	s_or_b32 s7, s7, s8
	s_wait_alu 0xfffe
	s_and_b32 s7, s9, s7
	s_cmp_eq_u32 s13, 10
	s_wait_alu 0xfffe
	v_cndmask_b32_e64 v55, v57, v58, s7
	s_cbranch_scc1 .LBB20_34
.LBB20_2:                               ; =>This Loop Header: Depth=1
                                        ;     Child Loop BB20_4 Depth 2
                                        ;     Child Loop BB20_8 Depth 2
	;; [unrolled: 1-line block ×8, first 2 shown]
	s_wait_loadcnt 0x0
	s_barrier_signal -1
	s_barrier_wait -1
	global_inv scope:SCOPE_SE
	ds_store_b32 v1, v55
	v_mov_b32_e32 v55, v5
	s_wait_loadcnt_dscnt 0x0
	s_barrier_signal -1
	s_barrier_wait -1
	global_inv scope:SCOPE_SE
	s_and_saveexec_b32 s8, vcc_lo
	s_cbranch_execz .LBB20_6
; %bb.3:                                ;   in Loop: Header=BB20_2 Depth=1
	v_dual_mov_b32 v55, v5 :: v_dual_mov_b32 v56, v6
	s_mov_b32 s9, 0
.LBB20_4:                               ;   Parent Loop BB20_2 Depth=1
                                        ; =>  This Inner Loop Header: Depth=2
	s_delay_alu instid0(VALU_DEP_1) | instskip(NEXT) | instid1(VALU_DEP_1)
	v_sub_nc_u32_e32 v57, v56, v55
	v_lshrrev_b32_e32 v57, 1, v57
	s_delay_alu instid0(VALU_DEP_1) | instskip(NEXT) | instid1(VALU_DEP_1)
	v_add_nc_u32_e32 v57, v57, v55
	v_not_b32_e32 v58, v57
	v_lshl_add_u32 v59, v57, 2, v7
	v_add_nc_u32_e32 v60, 1, v57
	s_delay_alu instid0(VALU_DEP_3)
	v_lshl_add_u32 v58, v58, 2, v47
	ds_load_b32 v59, v59
	ds_load_b32 v58, v58
	s_wait_dscnt 0x0
	v_cmp_lt_i32_e64 s7, v58, v59
	s_wait_alu 0xf1ff
	s_delay_alu instid0(VALU_DEP_1) | instskip(SKIP_1) | instid1(VALU_DEP_1)
	v_cndmask_b32_e64 v56, v56, v57, s7
	v_cndmask_b32_e64 v55, v60, v55, s7
	v_cmp_ge_i32_e64 s7, v55, v56
	s_or_b32 s9, s7, s9
	s_delay_alu instid0(SALU_CYCLE_1)
	s_and_not1_b32 exec_lo, exec_lo, s9
	s_cbranch_execnz .LBB20_4
; %bb.5:                                ;   in Loop: Header=BB20_2 Depth=1
	s_or_b32 exec_lo, exec_lo, s9
.LBB20_6:                               ;   in Loop: Header=BB20_2 Depth=1
	s_delay_alu instid0(SALU_CYCLE_1) | instskip(SKIP_3) | instid1(VALU_DEP_3)
	s_or_b32 exec_lo, exec_lo, s8
	v_sub_nc_u32_e32 v56, v8, v55
	v_lshl_add_u32 v57, v55, 2, v7
	v_cmp_ge_i32_e64 s7, v55, v3
	v_dual_mov_b32 v55, v11 :: v_dual_lshlrev_b32 v58, 2, v56
	v_cmp_ge_i32_e64 s9, v2, v56
	ds_load_b32 v57, v57
	ds_load_b32 v58, v58
	s_wait_loadcnt_dscnt 0x0
	s_barrier_signal -1
	s_barrier_wait -1
	global_inv scope:SCOPE_SE
	v_cmp_lt_i32_e64 s8, v58, v57
	s_or_b32 s7, s7, s8
	s_wait_alu 0xfffe
	s_and_b32 s7, s9, s7
	s_wait_alu 0xfffe
	v_cndmask_b32_e64 v56, v57, v58, s7
	ds_store_b32 v1, v56
	s_wait_loadcnt_dscnt 0x0
	s_barrier_signal -1
	s_barrier_wait -1
	global_inv scope:SCOPE_SE
	s_and_saveexec_b32 s8, s0
	s_cbranch_execz .LBB20_10
; %bb.7:                                ;   in Loop: Header=BB20_2 Depth=1
	v_dual_mov_b32 v55, v11 :: v_dual_mov_b32 v56, v12
	s_mov_b32 s9, 0
.LBB20_8:                               ;   Parent Loop BB20_2 Depth=1
                                        ; =>  This Inner Loop Header: Depth=2
	s_delay_alu instid0(VALU_DEP_1) | instskip(NEXT) | instid1(VALU_DEP_1)
	v_sub_nc_u32_e32 v57, v56, v55
	v_lshrrev_b32_e32 v57, 1, v57
	s_delay_alu instid0(VALU_DEP_1) | instskip(NEXT) | instid1(VALU_DEP_1)
	v_add_nc_u32_e32 v57, v57, v55
	v_not_b32_e32 v58, v57
	v_lshl_add_u32 v59, v57, 2, v13
	v_add_nc_u32_e32 v60, 1, v57
	s_delay_alu instid0(VALU_DEP_3)
	v_lshl_add_u32 v58, v58, 2, v48
	ds_load_b32 v59, v59
	ds_load_b32 v58, v58
	s_wait_dscnt 0x0
	v_cmp_lt_i32_e64 s7, v58, v59
	s_wait_alu 0xf1ff
	s_delay_alu instid0(VALU_DEP_1) | instskip(SKIP_1) | instid1(VALU_DEP_1)
	v_cndmask_b32_e64 v56, v56, v57, s7
	v_cndmask_b32_e64 v55, v60, v55, s7
	v_cmp_ge_i32_e64 s7, v55, v56
	s_or_b32 s9, s7, s9
	s_delay_alu instid0(SALU_CYCLE_1)
	s_and_not1_b32 exec_lo, exec_lo, s9
	s_cbranch_execnz .LBB20_8
; %bb.9:                                ;   in Loop: Header=BB20_2 Depth=1
	s_or_b32 exec_lo, exec_lo, s9
.LBB20_10:                              ;   in Loop: Header=BB20_2 Depth=1
	s_delay_alu instid0(SALU_CYCLE_1) | instskip(SKIP_3) | instid1(VALU_DEP_3)
	s_or_b32 exec_lo, exec_lo, s8
	v_sub_nc_u32_e32 v56, v14, v55
	v_lshl_add_u32 v57, v55, 2, v13
	v_cmp_ge_i32_e64 s7, v55, v9
	v_dual_mov_b32 v55, v17 :: v_dual_lshlrev_b32 v58, 2, v56
	v_cmp_gt_i32_e64 s9, v4, v56
	ds_load_b32 v57, v57
	ds_load_b32 v58, v58
	s_wait_loadcnt_dscnt 0x0
	s_barrier_signal -1
	s_barrier_wait -1
	global_inv scope:SCOPE_SE
	v_cmp_lt_i32_e64 s8, v58, v57
	s_or_b32 s7, s7, s8
	s_wait_alu 0xfffe
	s_and_b32 s7, s9, s7
	s_wait_alu 0xfffe
	v_cndmask_b32_e64 v56, v57, v58, s7
	ds_store_b32 v1, v56
	s_wait_loadcnt_dscnt 0x0
	s_barrier_signal -1
	s_barrier_wait -1
	global_inv scope:SCOPE_SE
	s_and_saveexec_b32 s8, s1
	s_cbranch_execz .LBB20_14
; %bb.11:                               ;   in Loop: Header=BB20_2 Depth=1
	v_dual_mov_b32 v55, v17 :: v_dual_mov_b32 v56, v18
	s_mov_b32 s9, 0
.LBB20_12:                              ;   Parent Loop BB20_2 Depth=1
                                        ; =>  This Inner Loop Header: Depth=2
	s_delay_alu instid0(VALU_DEP_1) | instskip(NEXT) | instid1(VALU_DEP_1)
	v_sub_nc_u32_e32 v57, v56, v55
	v_lshrrev_b32_e32 v57, 1, v57
	s_delay_alu instid0(VALU_DEP_1) | instskip(NEXT) | instid1(VALU_DEP_1)
	v_add_nc_u32_e32 v57, v57, v55
	v_not_b32_e32 v58, v57
	v_lshl_add_u32 v59, v57, 2, v19
	v_add_nc_u32_e32 v60, 1, v57
	s_delay_alu instid0(VALU_DEP_3)
	v_lshl_add_u32 v58, v58, 2, v49
	ds_load_b32 v59, v59
	ds_load_b32 v58, v58
	s_wait_dscnt 0x0
	v_cmp_lt_i32_e64 s7, v58, v59
	s_wait_alu 0xf1ff
	s_delay_alu instid0(VALU_DEP_1) | instskip(SKIP_1) | instid1(VALU_DEP_1)
	v_cndmask_b32_e64 v56, v56, v57, s7
	v_cndmask_b32_e64 v55, v60, v55, s7
	v_cmp_ge_i32_e64 s7, v55, v56
	s_or_b32 s9, s7, s9
	s_delay_alu instid0(SALU_CYCLE_1)
	s_and_not1_b32 exec_lo, exec_lo, s9
	s_cbranch_execnz .LBB20_12
; %bb.13:                               ;   in Loop: Header=BB20_2 Depth=1
	s_or_b32 exec_lo, exec_lo, s9
.LBB20_14:                              ;   in Loop: Header=BB20_2 Depth=1
	s_delay_alu instid0(SALU_CYCLE_1) | instskip(SKIP_3) | instid1(VALU_DEP_3)
	s_or_b32 exec_lo, exec_lo, s8
	v_sub_nc_u32_e32 v56, v20, v55
	v_lshl_add_u32 v57, v55, 2, v19
	v_cmp_ge_i32_e64 s7, v55, v15
	v_dual_mov_b32 v55, v23 :: v_dual_lshlrev_b32 v58, 2, v56
	v_cmp_gt_i32_e64 s9, v10, v56
	ds_load_b32 v57, v57
	ds_load_b32 v58, v58
	s_wait_loadcnt_dscnt 0x0
	s_barrier_signal -1
	s_barrier_wait -1
	global_inv scope:SCOPE_SE
	v_cmp_lt_i32_e64 s8, v58, v57
	s_or_b32 s7, s7, s8
	s_wait_alu 0xfffe
	s_and_b32 s7, s9, s7
	s_wait_alu 0xfffe
	v_cndmask_b32_e64 v56, v57, v58, s7
	ds_store_b32 v1, v56
	s_wait_loadcnt_dscnt 0x0
	s_barrier_signal -1
	s_barrier_wait -1
	global_inv scope:SCOPE_SE
	s_and_saveexec_b32 s8, s2
	s_cbranch_execz .LBB20_18
; %bb.15:                               ;   in Loop: Header=BB20_2 Depth=1
	v_dual_mov_b32 v55, v23 :: v_dual_mov_b32 v56, v24
	s_mov_b32 s9, 0
.LBB20_16:                              ;   Parent Loop BB20_2 Depth=1
                                        ; =>  This Inner Loop Header: Depth=2
	s_delay_alu instid0(VALU_DEP_1) | instskip(NEXT) | instid1(VALU_DEP_1)
	v_sub_nc_u32_e32 v57, v56, v55
	v_lshrrev_b32_e32 v57, 1, v57
	s_delay_alu instid0(VALU_DEP_1) | instskip(NEXT) | instid1(VALU_DEP_1)
	v_add_nc_u32_e32 v57, v57, v55
	v_not_b32_e32 v58, v57
	v_lshl_add_u32 v59, v57, 2, v25
	v_add_nc_u32_e32 v60, 1, v57
	s_delay_alu instid0(VALU_DEP_3)
	v_lshl_add_u32 v58, v58, 2, v50
	ds_load_b32 v59, v59
	ds_load_b32 v58, v58
	s_wait_dscnt 0x0
	v_cmp_lt_i32_e64 s7, v58, v59
	s_wait_alu 0xf1ff
	s_delay_alu instid0(VALU_DEP_1) | instskip(SKIP_1) | instid1(VALU_DEP_1)
	v_cndmask_b32_e64 v56, v56, v57, s7
	v_cndmask_b32_e64 v55, v60, v55, s7
	v_cmp_ge_i32_e64 s7, v55, v56
	s_or_b32 s9, s7, s9
	s_delay_alu instid0(SALU_CYCLE_1)
	s_and_not1_b32 exec_lo, exec_lo, s9
	s_cbranch_execnz .LBB20_16
; %bb.17:                               ;   in Loop: Header=BB20_2 Depth=1
	s_or_b32 exec_lo, exec_lo, s9
.LBB20_18:                              ;   in Loop: Header=BB20_2 Depth=1
	s_delay_alu instid0(SALU_CYCLE_1) | instskip(SKIP_3) | instid1(VALU_DEP_3)
	s_or_b32 exec_lo, exec_lo, s8
	v_sub_nc_u32_e32 v56, v26, v55
	v_lshl_add_u32 v57, v55, 2, v25
	v_cmp_ge_i32_e64 s7, v55, v21
	v_dual_mov_b32 v55, v29 :: v_dual_lshlrev_b32 v58, 2, v56
	v_cmp_gt_i32_e64 s9, v16, v56
	ds_load_b32 v57, v57
	ds_load_b32 v58, v58
	s_wait_loadcnt_dscnt 0x0
	s_barrier_signal -1
	s_barrier_wait -1
	global_inv scope:SCOPE_SE
	v_cmp_lt_i32_e64 s8, v58, v57
	s_or_b32 s7, s7, s8
	s_wait_alu 0xfffe
	s_and_b32 s7, s9, s7
	s_wait_alu 0xfffe
	v_cndmask_b32_e64 v56, v57, v58, s7
	ds_store_b32 v1, v56
	s_wait_loadcnt_dscnt 0x0
	s_barrier_signal -1
	s_barrier_wait -1
	global_inv scope:SCOPE_SE
	s_and_saveexec_b32 s8, s3
	s_cbranch_execz .LBB20_22
; %bb.19:                               ;   in Loop: Header=BB20_2 Depth=1
	v_dual_mov_b32 v55, v29 :: v_dual_mov_b32 v56, v30
	s_mov_b32 s9, 0
.LBB20_20:                              ;   Parent Loop BB20_2 Depth=1
                                        ; =>  This Inner Loop Header: Depth=2
	s_delay_alu instid0(VALU_DEP_1) | instskip(NEXT) | instid1(VALU_DEP_1)
	v_sub_nc_u32_e32 v57, v56, v55
	v_lshrrev_b32_e32 v57, 1, v57
	s_delay_alu instid0(VALU_DEP_1) | instskip(NEXT) | instid1(VALU_DEP_1)
	v_add_nc_u32_e32 v57, v57, v55
	v_not_b32_e32 v58, v57
	v_lshl_add_u32 v59, v57, 2, v31
	v_add_nc_u32_e32 v60, 1, v57
	s_delay_alu instid0(VALU_DEP_3)
	v_lshl_add_u32 v58, v58, 2, v51
	ds_load_b32 v59, v59
	ds_load_b32 v58, v58
	s_wait_dscnt 0x0
	v_cmp_lt_i32_e64 s7, v58, v59
	s_wait_alu 0xf1ff
	s_delay_alu instid0(VALU_DEP_1) | instskip(SKIP_1) | instid1(VALU_DEP_1)
	v_cndmask_b32_e64 v56, v56, v57, s7
	v_cndmask_b32_e64 v55, v60, v55, s7
	v_cmp_ge_i32_e64 s7, v55, v56
	s_or_b32 s9, s7, s9
	s_delay_alu instid0(SALU_CYCLE_1)
	s_and_not1_b32 exec_lo, exec_lo, s9
	s_cbranch_execnz .LBB20_20
; %bb.21:                               ;   in Loop: Header=BB20_2 Depth=1
	s_or_b32 exec_lo, exec_lo, s9
.LBB20_22:                              ;   in Loop: Header=BB20_2 Depth=1
	s_delay_alu instid0(SALU_CYCLE_1) | instskip(SKIP_3) | instid1(VALU_DEP_3)
	s_or_b32 exec_lo, exec_lo, s8
	v_sub_nc_u32_e32 v56, v36, v55
	v_lshl_add_u32 v57, v55, 2, v31
	v_cmp_ge_i32_e64 s7, v55, v27
	v_dual_mov_b32 v55, v34 :: v_dual_lshlrev_b32 v58, 2, v56
	v_cmp_gt_i32_e64 s9, v22, v56
	ds_load_b32 v57, v57
	ds_load_b32 v58, v58
	s_wait_loadcnt_dscnt 0x0
	s_barrier_signal -1
	s_barrier_wait -1
	global_inv scope:SCOPE_SE
	v_cmp_lt_i32_e64 s8, v58, v57
	s_or_b32 s7, s7, s8
	s_wait_alu 0xfffe
	s_and_b32 s7, s9, s7
	s_wait_alu 0xfffe
	v_cndmask_b32_e64 v56, v57, v58, s7
	ds_store_b32 v1, v56
	s_wait_loadcnt_dscnt 0x0
	s_barrier_signal -1
	s_barrier_wait -1
	global_inv scope:SCOPE_SE
	s_and_saveexec_b32 s8, s4
	s_cbranch_execz .LBB20_26
; %bb.23:                               ;   in Loop: Header=BB20_2 Depth=1
	v_dual_mov_b32 v55, v34 :: v_dual_mov_b32 v56, v35
	s_mov_b32 s9, 0
.LBB20_24:                              ;   Parent Loop BB20_2 Depth=1
                                        ; =>  This Inner Loop Header: Depth=2
	s_delay_alu instid0(VALU_DEP_1) | instskip(NEXT) | instid1(VALU_DEP_1)
	v_sub_nc_u32_e32 v57, v56, v55
	v_lshrrev_b32_e32 v57, 1, v57
	s_delay_alu instid0(VALU_DEP_1) | instskip(NEXT) | instid1(VALU_DEP_1)
	v_add_nc_u32_e32 v57, v57, v55
	v_not_b32_e32 v58, v57
	v_lshl_add_u32 v59, v57, 2, v38
	v_add_nc_u32_e32 v60, 1, v57
	s_delay_alu instid0(VALU_DEP_3)
	v_lshl_add_u32 v58, v58, 2, v52
	ds_load_b32 v59, v59
	ds_load_b32 v58, v58
	s_wait_dscnt 0x0
	v_cmp_lt_i32_e64 s7, v58, v59
	s_wait_alu 0xf1ff
	s_delay_alu instid0(VALU_DEP_1) | instskip(SKIP_1) | instid1(VALU_DEP_1)
	v_cndmask_b32_e64 v56, v56, v57, s7
	v_cndmask_b32_e64 v55, v60, v55, s7
	v_cmp_ge_i32_e64 s7, v55, v56
	s_or_b32 s9, s7, s9
	s_delay_alu instid0(SALU_CYCLE_1)
	s_and_not1_b32 exec_lo, exec_lo, s9
	s_cbranch_execnz .LBB20_24
; %bb.25:                               ;   in Loop: Header=BB20_2 Depth=1
	s_or_b32 exec_lo, exec_lo, s9
.LBB20_26:                              ;   in Loop: Header=BB20_2 Depth=1
	s_delay_alu instid0(SALU_CYCLE_1) | instskip(SKIP_3) | instid1(VALU_DEP_3)
	s_or_b32 exec_lo, exec_lo, s8
	v_sub_nc_u32_e32 v56, v41, v55
	v_lshl_add_u32 v57, v55, 2, v38
	v_cmp_ge_i32_e64 s7, v55, v33
	v_dual_mov_b32 v55, v39 :: v_dual_lshlrev_b32 v58, 2, v56
	v_cmp_gt_i32_e64 s9, v28, v56
	ds_load_b32 v57, v57
	ds_load_b32 v58, v58
	s_wait_loadcnt_dscnt 0x0
	s_barrier_signal -1
	s_barrier_wait -1
	global_inv scope:SCOPE_SE
	v_cmp_lt_i32_e64 s8, v58, v57
	s_or_b32 s7, s7, s8
	s_wait_alu 0xfffe
	s_and_b32 s7, s9, s7
	s_wait_alu 0xfffe
	v_cndmask_b32_e64 v56, v57, v58, s7
	ds_store_b32 v1, v56
	s_wait_loadcnt_dscnt 0x0
	s_barrier_signal -1
	s_barrier_wait -1
	global_inv scope:SCOPE_SE
	s_and_saveexec_b32 s8, s5
	s_cbranch_execz .LBB20_30
; %bb.27:                               ;   in Loop: Header=BB20_2 Depth=1
	v_dual_mov_b32 v55, v39 :: v_dual_mov_b32 v56, v40
	s_mov_b32 s9, 0
.LBB20_28:                              ;   Parent Loop BB20_2 Depth=1
                                        ; =>  This Inner Loop Header: Depth=2
	s_delay_alu instid0(VALU_DEP_1) | instskip(NEXT) | instid1(VALU_DEP_1)
	v_sub_nc_u32_e32 v57, v56, v55
	v_lshrrev_b32_e32 v57, 1, v57
	s_delay_alu instid0(VALU_DEP_1) | instskip(NEXT) | instid1(VALU_DEP_1)
	v_add_nc_u32_e32 v57, v57, v55
	v_not_b32_e32 v58, v57
	v_lshl_add_u32 v59, v57, 2, v42
	v_add_nc_u32_e32 v60, 1, v57
	s_delay_alu instid0(VALU_DEP_3)
	v_lshl_add_u32 v58, v58, 2, v53
	ds_load_b32 v59, v59
	ds_load_b32 v58, v58
	s_wait_dscnt 0x0
	v_cmp_lt_i32_e64 s7, v58, v59
	s_wait_alu 0xf1ff
	s_delay_alu instid0(VALU_DEP_1) | instskip(SKIP_1) | instid1(VALU_DEP_1)
	v_cndmask_b32_e64 v56, v56, v57, s7
	v_cndmask_b32_e64 v55, v60, v55, s7
	v_cmp_ge_i32_e64 s7, v55, v56
	s_or_b32 s9, s7, s9
	s_delay_alu instid0(SALU_CYCLE_1)
	s_and_not1_b32 exec_lo, exec_lo, s9
	s_cbranch_execnz .LBB20_28
; %bb.29:                               ;   in Loop: Header=BB20_2 Depth=1
	s_or_b32 exec_lo, exec_lo, s9
.LBB20_30:                              ;   in Loop: Header=BB20_2 Depth=1
	s_delay_alu instid0(SALU_CYCLE_1) | instskip(SKIP_3) | instid1(VALU_DEP_3)
	s_or_b32 exec_lo, exec_lo, s8
	v_sub_nc_u32_e32 v56, v45, v55
	v_lshl_add_u32 v57, v55, 2, v42
	v_cmp_ge_i32_e64 s7, v55, v37
	v_dual_mov_b32 v55, v43 :: v_dual_lshlrev_b32 v58, 2, v56
	v_cmp_gt_i32_e64 s9, v32, v56
	ds_load_b32 v57, v57
	ds_load_b32 v58, v58
	s_wait_loadcnt_dscnt 0x0
	s_barrier_signal -1
	s_barrier_wait -1
	global_inv scope:SCOPE_SE
	v_cmp_lt_i32_e64 s8, v58, v57
	s_or_b32 s7, s7, s8
	s_wait_alu 0xfffe
	s_and_b32 s7, s9, s7
	s_wait_alu 0xfffe
	v_cndmask_b32_e64 v56, v57, v58, s7
	ds_store_b32 v1, v56
	s_wait_loadcnt_dscnt 0x0
	s_barrier_signal -1
	s_barrier_wait -1
	global_inv scope:SCOPE_SE
	s_and_saveexec_b32 s8, s6
	s_cbranch_execz .LBB20_1
; %bb.31:                               ;   in Loop: Header=BB20_2 Depth=1
	v_dual_mov_b32 v55, v43 :: v_dual_mov_b32 v56, v44
	s_mov_b32 s9, 0
.LBB20_32:                              ;   Parent Loop BB20_2 Depth=1
                                        ; =>  This Inner Loop Header: Depth=2
	s_delay_alu instid0(VALU_DEP_1) | instskip(NEXT) | instid1(VALU_DEP_1)
	v_sub_nc_u32_e32 v57, v56, v55
	v_lshrrev_b32_e32 v57, 1, v57
	s_delay_alu instid0(VALU_DEP_1) | instskip(NEXT) | instid1(VALU_DEP_1)
	v_add_nc_u32_e32 v57, v57, v55
	v_not_b32_e32 v58, v57
	v_lshlrev_b32_e32 v59, 2, v57
	v_add_nc_u32_e32 v60, 1, v57
	s_delay_alu instid0(VALU_DEP_3)
	v_lshl_add_u32 v58, v58, 2, v54
	ds_load_b32 v59, v59
	ds_load_b32 v58, v58
	s_wait_dscnt 0x0
	v_cmp_lt_i32_e64 s7, v58, v59
	s_wait_alu 0xf1ff
	s_delay_alu instid0(VALU_DEP_1) | instskip(SKIP_1) | instid1(VALU_DEP_1)
	v_cndmask_b32_e64 v56, v56, v57, s7
	v_cndmask_b32_e64 v55, v60, v55, s7
	v_cmp_ge_i32_e64 s7, v55, v56
	s_or_b32 s9, s7, s9
	s_delay_alu instid0(SALU_CYCLE_1)
	s_and_not1_b32 exec_lo, exec_lo, s9
	s_cbranch_execnz .LBB20_32
; %bb.33:                               ;   in Loop: Header=BB20_2 Depth=1
	s_or_b32 exec_lo, exec_lo, s9
	s_branch .LBB20_1
.LBB20_34:
	v_lshlrev_b32_e32 v0, 2, v0
	s_add_nc_u64 s[0:1], s[10:11], s[14:15]
	global_store_b32 v0, v55, s[0:1]
	s_endpgm
	.section	.rodata,"a",@progbits
	.p2align	6, 0x0
	.amdhsa_kernel _Z16sort_keys_kernelIiLj256ELj1EN10test_utils4lessELj10EEvPKT_PS2_T2_
		.amdhsa_group_segment_fixed_size 1028
		.amdhsa_private_segment_fixed_size 0
		.amdhsa_kernarg_size 20
		.amdhsa_user_sgpr_count 2
		.amdhsa_user_sgpr_dispatch_ptr 0
		.amdhsa_user_sgpr_queue_ptr 0
		.amdhsa_user_sgpr_kernarg_segment_ptr 1
		.amdhsa_user_sgpr_dispatch_id 0
		.amdhsa_user_sgpr_private_segment_size 0
		.amdhsa_wavefront_size32 1
		.amdhsa_uses_dynamic_stack 0
		.amdhsa_enable_private_segment 0
		.amdhsa_system_sgpr_workgroup_id_x 1
		.amdhsa_system_sgpr_workgroup_id_y 0
		.amdhsa_system_sgpr_workgroup_id_z 0
		.amdhsa_system_sgpr_workgroup_info 0
		.amdhsa_system_vgpr_workitem_id 0
		.amdhsa_next_free_vgpr 61
		.amdhsa_next_free_sgpr 16
		.amdhsa_reserve_vcc 1
		.amdhsa_float_round_mode_32 0
		.amdhsa_float_round_mode_16_64 0
		.amdhsa_float_denorm_mode_32 3
		.amdhsa_float_denorm_mode_16_64 3
		.amdhsa_fp16_overflow 0
		.amdhsa_workgroup_processor_mode 1
		.amdhsa_memory_ordered 1
		.amdhsa_forward_progress 1
		.amdhsa_inst_pref_size 24
		.amdhsa_round_robin_scheduling 0
		.amdhsa_exception_fp_ieee_invalid_op 0
		.amdhsa_exception_fp_denorm_src 0
		.amdhsa_exception_fp_ieee_div_zero 0
		.amdhsa_exception_fp_ieee_overflow 0
		.amdhsa_exception_fp_ieee_underflow 0
		.amdhsa_exception_fp_ieee_inexact 0
		.amdhsa_exception_int_div_zero 0
	.end_amdhsa_kernel
	.section	.text._Z16sort_keys_kernelIiLj256ELj1EN10test_utils4lessELj10EEvPKT_PS2_T2_,"axG",@progbits,_Z16sort_keys_kernelIiLj256ELj1EN10test_utils4lessELj10EEvPKT_PS2_T2_,comdat
.Lfunc_end20:
	.size	_Z16sort_keys_kernelIiLj256ELj1EN10test_utils4lessELj10EEvPKT_PS2_T2_, .Lfunc_end20-_Z16sort_keys_kernelIiLj256ELj1EN10test_utils4lessELj10EEvPKT_PS2_T2_
                                        ; -- End function
	.set _Z16sort_keys_kernelIiLj256ELj1EN10test_utils4lessELj10EEvPKT_PS2_T2_.num_vgpr, 61
	.set _Z16sort_keys_kernelIiLj256ELj1EN10test_utils4lessELj10EEvPKT_PS2_T2_.num_agpr, 0
	.set _Z16sort_keys_kernelIiLj256ELj1EN10test_utils4lessELj10EEvPKT_PS2_T2_.numbered_sgpr, 16
	.set _Z16sort_keys_kernelIiLj256ELj1EN10test_utils4lessELj10EEvPKT_PS2_T2_.num_named_barrier, 0
	.set _Z16sort_keys_kernelIiLj256ELj1EN10test_utils4lessELj10EEvPKT_PS2_T2_.private_seg_size, 0
	.set _Z16sort_keys_kernelIiLj256ELj1EN10test_utils4lessELj10EEvPKT_PS2_T2_.uses_vcc, 1
	.set _Z16sort_keys_kernelIiLj256ELj1EN10test_utils4lessELj10EEvPKT_PS2_T2_.uses_flat_scratch, 0
	.set _Z16sort_keys_kernelIiLj256ELj1EN10test_utils4lessELj10EEvPKT_PS2_T2_.has_dyn_sized_stack, 0
	.set _Z16sort_keys_kernelIiLj256ELj1EN10test_utils4lessELj10EEvPKT_PS2_T2_.has_recursion, 0
	.set _Z16sort_keys_kernelIiLj256ELj1EN10test_utils4lessELj10EEvPKT_PS2_T2_.has_indirect_call, 0
	.section	.AMDGPU.csdata,"",@progbits
; Kernel info:
; codeLenInByte = 3048
; TotalNumSgprs: 18
; NumVgprs: 61
; ScratchSize: 0
; MemoryBound: 0
; FloatMode: 240
; IeeeMode: 1
; LDSByteSize: 1028 bytes/workgroup (compile time only)
; SGPRBlocks: 0
; VGPRBlocks: 7
; NumSGPRsForWavesPerEU: 18
; NumVGPRsForWavesPerEU: 61
; Occupancy: 16
; WaveLimiterHint : 0
; COMPUTE_PGM_RSRC2:SCRATCH_EN: 0
; COMPUTE_PGM_RSRC2:USER_SGPR: 2
; COMPUTE_PGM_RSRC2:TRAP_HANDLER: 0
; COMPUTE_PGM_RSRC2:TGID_X_EN: 1
; COMPUTE_PGM_RSRC2:TGID_Y_EN: 0
; COMPUTE_PGM_RSRC2:TGID_Z_EN: 0
; COMPUTE_PGM_RSRC2:TIDIG_COMP_CNT: 0
	.section	.text._Z17sort_pairs_kernelIiLj256ELj1EN10test_utils4lessELj10EEvPKT_PS2_T2_,"axG",@progbits,_Z17sort_pairs_kernelIiLj256ELj1EN10test_utils4lessELj10EEvPKT_PS2_T2_,comdat
	.protected	_Z17sort_pairs_kernelIiLj256ELj1EN10test_utils4lessELj10EEvPKT_PS2_T2_ ; -- Begin function _Z17sort_pairs_kernelIiLj256ELj1EN10test_utils4lessELj10EEvPKT_PS2_T2_
	.globl	_Z17sort_pairs_kernelIiLj256ELj1EN10test_utils4lessELj10EEvPKT_PS2_T2_
	.p2align	8
	.type	_Z17sort_pairs_kernelIiLj256ELj1EN10test_utils4lessELj10EEvPKT_PS2_T2_,@function
_Z17sort_pairs_kernelIiLj256ELj1EN10test_utils4lessELj10EEvPKT_PS2_T2_: ; @_Z17sort_pairs_kernelIiLj256ELj1EN10test_utils4lessELj10EEvPKT_PS2_T2_
; %bb.0:
	s_load_b128 s[8:11], s[0:1], 0x0
	s_lshl_b32 s12, ttmp9, 8
	s_mov_b32 s13, 0
	v_lshlrev_b32_e32 v1, 2, v0
	s_lshl_b64 s[14:15], s[12:13], 2
	v_and_b32_e32 v3, 0xfc, v0
	v_and_b32_e32 v2, 0xfe, v0
	;; [unrolled: 1-line block ×5, first 2 shown]
	v_or_b32_e32 v14, 2, v3
	v_add_nc_u32_e32 v15, 4, v3
	v_or_b32_e32 v12, 1, v2
	v_or_b32_e32 v17, 4, v4
	v_add_nc_u32_e32 v18, 8, v4
	v_and_b32_e32 v47, 1, v0
	v_sub_nc_u32_e32 v60, v15, v14
	v_and_b32_e32 v55, 7, v0
	v_and_b32_e32 v6, 0xe0, v0
	v_or_b32_e32 v20, 8, v5
	s_wait_kmcnt 0x0
	s_add_nc_u64 s[0:1], s[8:9], s[14:15]
	v_add_nc_u32_e32 v21, 16, v5
	global_load_b32 v61, v1, s[0:1]
	v_sub_nc_u32_e32 v48, v12, v2
	v_sub_nc_u32_e32 v49, v14, v3
	;; [unrolled: 1-line block ×4, first 2 shown]
	v_cmp_ge_i32_e64 s1, v54, v60
	v_and_b32_e32 v56, 15, v0
	v_and_b32_e32 v7, 0xc0, v0
	v_add_nc_u32_e32 v32, -1, v47
	v_or_b32_e32 v23, 16, v6
	v_add_nc_u32_e32 v24, 32, v6
	v_lshlrev_b32_e32 v40, 2, v47
	v_lshlrev_b32_e32 v41, 2, v54
	v_cmp_lt_i32_e64 s0, 0, v47
	v_add_nc_u32_e32 v33, v12, v47
	v_add_nc_u32_e32 v34, v14, v54
	v_sub_nc_u32_e32 v50, v17, v4
	v_sub_nc_u32_e32 v63, v21, v20
	v_min_i32_e32 v47, v47, v48
	v_min_i32_e32 v48, v54, v49
	v_sub_nc_u32_e32 v69, v55, v62
	v_cndmask_b32_e64 v54, 0, v68, s1
	v_cmp_ge_i32_e64 s1, v55, v62
	v_and_b32_e32 v57, 31, v0
	v_and_b32_e32 v8, 0x80, v0
	v_or_b32_e32 v26, 32, v7
	v_add_nc_u32_e32 v27, 64, v7
	v_lshlrev_b32_e32 v42, 2, v55
	v_add_nc_u32_e32 v35, v17, v55
	v_sub_nc_u32_e32 v51, v20, v5
	v_sub_nc_u32_e32 v64, v24, v23
	v_min_i32_e32 v49, v55, v50
	v_sub_nc_u32_e32 v70, v56, v63
	s_wait_alu 0xf1ff
	v_cndmask_b32_e64 v55, 0, v69, s1
	v_cmp_ge_i32_e64 s1, v56, v63
	v_and_b32_e32 v58, 63, v0
	v_or_b32_e32 v29, 64, v8
	v_add_nc_u32_e32 v30, 0x80, v8
	v_lshlrev_b32_e32 v43, 2, v56
	v_add_nc_u32_e32 v36, v20, v56
	v_sub_nc_u32_e32 v52, v23, v6
	v_sub_nc_u32_e32 v65, v27, v26
	v_min_i32_e32 v50, v56, v51
	v_sub_nc_u32_e32 v71, v57, v64
	s_wait_alu 0xf1ff
	v_cndmask_b32_e64 v56, 0, v70, s1
	v_cmp_ge_i32_e64 s1, v57, v64
	v_and_b32_e32 v59, 0x7f, v0
	v_lshlrev_b32_e32 v44, 2, v57
	v_add_nc_u32_e32 v37, v23, v57
	v_sub_nc_u32_e32 v53, v26, v7
	v_sub_nc_u32_e32 v67, v30, v29
	v_min_i32_e32 v51, v57, v52
	v_sub_nc_u32_e32 v72, v58, v65
	s_wait_alu 0xf1ff
	v_cndmask_b32_e64 v57, 0, v71, s1
	v_cmp_ge_i32_e64 s1, v58, v65
	v_lshlrev_b32_e32 v45, 2, v58
	v_add_nc_u32_e32 v38, v26, v58
	v_sub_nc_u32_e32 v66, v29, v8
	v_min_i32_e32 v52, v58, v53
	v_sub_nc_u32_e32 v73, v59, v67
	s_wait_alu 0xf1ff
	v_cndmask_b32_e64 v58, 0, v72, s1
	v_cmp_ge_i32_e64 s1, v59, v67
	v_lshlrev_b32_e32 v46, 2, v59
	v_cndmask_b32_e64 v32, 0, v32, s0
	v_add_nc_u32_e32 v39, v29, v59
	v_min_i32_e32 v53, v59, v66
	s_wait_alu 0xf1ff
	v_cndmask_b32_e64 v59, 0, v73, s1
	v_subrev_nc_u32_e64 v9, 0x80, v0 clamp
	v_min_i32_e32 v10, 0x80, v0
	v_add_nc_u32_e32 v11, 0x80, v0
	v_lshlrev_b32_e32 v13, 2, v2
	v_lshlrev_b32_e32 v16, 2, v3
	;; [unrolled: 1-line block ×7, first 2 shown]
	v_lshl_add_u32 v40, v12, 2, v40
	v_lshl_add_u32 v41, v14, 2, v41
	;; [unrolled: 1-line block ×7, first 2 shown]
	v_cmp_lt_i32_e64 s0, v32, v47
	v_cmp_lt_i32_e64 s1, v54, v48
	;; [unrolled: 1-line block ×7, first 2 shown]
	v_add_nc_u32_e32 v60, 0x200, v1
	v_cmp_lt_i32_e32 vcc_lo, v9, v10
	s_wait_loadcnt 0x0
	v_add_nc_u32_e32 v62, 1, v61
	s_branch .LBB21_2
.LBB21_1:                               ;   in Loop: Header=BB21_2 Depth=1
	s_or_b32 exec_lo, exec_lo, s8
	v_sub_nc_u32_e32 v64, v11, v63
	v_lshlrev_b32_e32 v61, 2, v63
	v_cmp_le_i32_e64 s7, 0x80, v63
	s_add_co_i32 s13, s13, 1
	v_lshlrev_b32_e32 v65, 2, v64
	v_cmp_gt_i32_e64 s9, 0x100, v64
	ds_load_b32 v61, v61
	ds_load_b32 v65, v65
	s_wait_loadcnt_dscnt 0x0
	s_barrier_signal -1
	s_barrier_wait -1
	global_inv scope:SCOPE_SE
	ds_store_b32 v1, v62
	s_wait_loadcnt_dscnt 0x0
	s_barrier_signal -1
	s_barrier_wait -1
	global_inv scope:SCOPE_SE
	v_cmp_lt_i32_e64 s8, v65, v61
	s_or_b32 s7, s7, s8
	s_wait_alu 0xfffe
	s_and_b32 s7, s9, s7
	s_cmp_eq_u32 s13, 10
	s_wait_alu 0xfffe
	v_cndmask_b32_e64 v63, v63, v64, s7
	v_cndmask_b32_e64 v61, v61, v65, s7
	s_delay_alu instid0(VALU_DEP_2)
	v_lshlrev_b32_e32 v62, 2, v63
	ds_load_b32 v62, v62
	s_cbranch_scc1 .LBB21_34
.LBB21_2:                               ; =>This Loop Header: Depth=1
                                        ;     Child Loop BB21_4 Depth 2
                                        ;     Child Loop BB21_8 Depth 2
	;; [unrolled: 1-line block ×8, first 2 shown]
	s_barrier_signal -1
	s_barrier_wait -1
	global_inv scope:SCOPE_SE
	ds_store_b32 v1, v61
	v_mov_b32_e32 v61, v32
	s_wait_loadcnt_dscnt 0x0
	s_barrier_signal -1
	s_barrier_wait -1
	global_inv scope:SCOPE_SE
	s_and_saveexec_b32 s8, s0
	s_cbranch_execz .LBB21_6
; %bb.3:                                ;   in Loop: Header=BB21_2 Depth=1
	v_mov_b32_e32 v61, v32
	v_mov_b32_e32 v63, v47
	s_mov_b32 s9, 0
.LBB21_4:                               ;   Parent Loop BB21_2 Depth=1
                                        ; =>  This Inner Loop Header: Depth=2
	s_delay_alu instid0(VALU_DEP_1) | instskip(NEXT) | instid1(VALU_DEP_1)
	v_sub_nc_u32_e32 v64, v63, v61
	v_lshrrev_b32_e32 v64, 1, v64
	s_delay_alu instid0(VALU_DEP_1) | instskip(NEXT) | instid1(VALU_DEP_1)
	v_add_nc_u32_e32 v64, v64, v61
	v_not_b32_e32 v65, v64
	v_lshl_add_u32 v66, v64, 2, v13
	v_add_nc_u32_e32 v67, 1, v64
	s_delay_alu instid0(VALU_DEP_3)
	v_lshl_add_u32 v65, v65, 2, v40
	ds_load_b32 v66, v66
	ds_load_b32 v65, v65
	s_wait_dscnt 0x0
	v_cmp_lt_i32_e64 s7, v65, v66
	s_wait_alu 0xf1ff
	s_delay_alu instid0(VALU_DEP_1) | instskip(SKIP_1) | instid1(VALU_DEP_1)
	v_cndmask_b32_e64 v63, v63, v64, s7
	v_cndmask_b32_e64 v61, v67, v61, s7
	v_cmp_ge_i32_e64 s7, v61, v63
	s_or_b32 s9, s7, s9
	s_delay_alu instid0(SALU_CYCLE_1)
	s_and_not1_b32 exec_lo, exec_lo, s9
	s_cbranch_execnz .LBB21_4
; %bb.5:                                ;   in Loop: Header=BB21_2 Depth=1
	s_or_b32 exec_lo, exec_lo, s9
.LBB21_6:                               ;   in Loop: Header=BB21_2 Depth=1
	s_delay_alu instid0(SALU_CYCLE_1) | instskip(SKIP_3) | instid1(VALU_DEP_3)
	s_or_b32 exec_lo, exec_lo, s8
	v_sub_nc_u32_e32 v63, v33, v61
	v_lshl_add_u32 v64, v61, 2, v13
	v_add_nc_u32_e32 v61, v61, v2
	v_lshlrev_b32_e32 v65, 2, v63
	v_cmp_ge_i32_e64 s9, v12, v63
	s_delay_alu instid0(VALU_DEP_3)
	v_cmp_le_i32_e64 s7, v12, v61
	ds_load_b32 v64, v64
	ds_load_b32 v65, v65
	s_wait_loadcnt_dscnt 0x0
	s_barrier_signal -1
	s_barrier_wait -1
	global_inv scope:SCOPE_SE
	ds_store_b32 v1, v62
	s_wait_loadcnt_dscnt 0x0
	s_barrier_signal -1
	s_barrier_wait -1
	global_inv scope:SCOPE_SE
	v_mov_b32_e32 v62, v54
	v_cmp_lt_i32_e64 s8, v65, v64
	s_or_b32 s7, s7, s8
	s_wait_alu 0xfffe
	s_and_b32 s7, s9, s7
	s_wait_alu 0xfffe
	v_cndmask_b32_e64 v61, v61, v63, s7
	v_cndmask_b32_e64 v64, v64, v65, s7
	s_delay_alu instid0(VALU_DEP_2)
	v_lshlrev_b32_e32 v61, 2, v61
	ds_load_b32 v61, v61
	s_wait_loadcnt_dscnt 0x0
	s_barrier_signal -1
	s_barrier_wait -1
	global_inv scope:SCOPE_SE
	ds_store_b32 v1, v64
	s_wait_loadcnt_dscnt 0x0
	s_barrier_signal -1
	s_barrier_wait -1
	global_inv scope:SCOPE_SE
	s_and_saveexec_b32 s8, s1
	s_cbranch_execz .LBB21_10
; %bb.7:                                ;   in Loop: Header=BB21_2 Depth=1
	v_dual_mov_b32 v62, v54 :: v_dual_mov_b32 v63, v48
	s_mov_b32 s9, 0
.LBB21_8:                               ;   Parent Loop BB21_2 Depth=1
                                        ; =>  This Inner Loop Header: Depth=2
	s_delay_alu instid0(VALU_DEP_1) | instskip(NEXT) | instid1(VALU_DEP_1)
	v_sub_nc_u32_e32 v64, v63, v62
	v_lshrrev_b32_e32 v64, 1, v64
	s_delay_alu instid0(VALU_DEP_1) | instskip(NEXT) | instid1(VALU_DEP_1)
	v_add_nc_u32_e32 v64, v64, v62
	v_not_b32_e32 v65, v64
	v_lshl_add_u32 v66, v64, 2, v16
	v_add_nc_u32_e32 v67, 1, v64
	s_delay_alu instid0(VALU_DEP_3)
	v_lshl_add_u32 v65, v65, 2, v41
	ds_load_b32 v66, v66
	ds_load_b32 v65, v65
	s_wait_dscnt 0x0
	v_cmp_lt_i32_e64 s7, v65, v66
	s_wait_alu 0xf1ff
	s_delay_alu instid0(VALU_DEP_1) | instskip(SKIP_1) | instid1(VALU_DEP_1)
	v_cndmask_b32_e64 v63, v63, v64, s7
	v_cndmask_b32_e64 v62, v67, v62, s7
	v_cmp_ge_i32_e64 s7, v62, v63
	s_or_b32 s9, s7, s9
	s_delay_alu instid0(SALU_CYCLE_1)
	s_and_not1_b32 exec_lo, exec_lo, s9
	s_cbranch_execnz .LBB21_8
; %bb.9:                                ;   in Loop: Header=BB21_2 Depth=1
	s_or_b32 exec_lo, exec_lo, s9
.LBB21_10:                              ;   in Loop: Header=BB21_2 Depth=1
	s_delay_alu instid0(SALU_CYCLE_1) | instskip(SKIP_3) | instid1(VALU_DEP_3)
	s_or_b32 exec_lo, exec_lo, s8
	v_sub_nc_u32_e32 v63, v34, v62
	v_lshl_add_u32 v64, v62, 2, v16
	v_add_nc_u32_e32 v62, v62, v3
	v_lshlrev_b32_e32 v65, 2, v63
	v_cmp_gt_i32_e64 s9, v15, v63
	s_delay_alu instid0(VALU_DEP_3)
	v_cmp_le_i32_e64 s7, v14, v62
	ds_load_b32 v64, v64
	ds_load_b32 v65, v65
	s_wait_loadcnt_dscnt 0x0
	s_barrier_signal -1
	s_barrier_wait -1
	global_inv scope:SCOPE_SE
	ds_store_b32 v1, v61
	s_wait_loadcnt_dscnt 0x0
	s_barrier_signal -1
	s_barrier_wait -1
	global_inv scope:SCOPE_SE
	v_cmp_lt_i32_e64 s8, v65, v64
	s_or_b32 s7, s7, s8
	s_wait_alu 0xfffe
	s_and_b32 s7, s9, s7
	s_wait_alu 0xfffe
	v_cndmask_b32_e64 v62, v62, v63, s7
	v_cndmask_b32_e64 v64, v64, v65, s7
	s_delay_alu instid0(VALU_DEP_2)
	v_dual_mov_b32 v62, v55 :: v_dual_lshlrev_b32 v61, 2, v62
	ds_load_b32 v61, v61
	s_wait_loadcnt_dscnt 0x0
	s_barrier_signal -1
	s_barrier_wait -1
	global_inv scope:SCOPE_SE
	ds_store_b32 v1, v64
	s_wait_loadcnt_dscnt 0x0
	s_barrier_signal -1
	s_barrier_wait -1
	global_inv scope:SCOPE_SE
	s_and_saveexec_b32 s8, s2
	s_cbranch_execz .LBB21_14
; %bb.11:                               ;   in Loop: Header=BB21_2 Depth=1
	v_dual_mov_b32 v62, v55 :: v_dual_mov_b32 v63, v49
	s_mov_b32 s9, 0
.LBB21_12:                              ;   Parent Loop BB21_2 Depth=1
                                        ; =>  This Inner Loop Header: Depth=2
	s_delay_alu instid0(VALU_DEP_1) | instskip(NEXT) | instid1(VALU_DEP_1)
	v_sub_nc_u32_e32 v64, v63, v62
	v_lshrrev_b32_e32 v64, 1, v64
	s_delay_alu instid0(VALU_DEP_1) | instskip(NEXT) | instid1(VALU_DEP_1)
	v_add_nc_u32_e32 v64, v64, v62
	v_not_b32_e32 v65, v64
	v_lshl_add_u32 v66, v64, 2, v19
	v_add_nc_u32_e32 v67, 1, v64
	s_delay_alu instid0(VALU_DEP_3)
	v_lshl_add_u32 v65, v65, 2, v42
	ds_load_b32 v66, v66
	ds_load_b32 v65, v65
	s_wait_dscnt 0x0
	v_cmp_lt_i32_e64 s7, v65, v66
	s_wait_alu 0xf1ff
	s_delay_alu instid0(VALU_DEP_1) | instskip(SKIP_1) | instid1(VALU_DEP_1)
	v_cndmask_b32_e64 v63, v63, v64, s7
	v_cndmask_b32_e64 v62, v67, v62, s7
	v_cmp_ge_i32_e64 s7, v62, v63
	s_or_b32 s9, s7, s9
	s_delay_alu instid0(SALU_CYCLE_1)
	s_and_not1_b32 exec_lo, exec_lo, s9
	s_cbranch_execnz .LBB21_12
; %bb.13:                               ;   in Loop: Header=BB21_2 Depth=1
	s_or_b32 exec_lo, exec_lo, s9
.LBB21_14:                              ;   in Loop: Header=BB21_2 Depth=1
	s_delay_alu instid0(SALU_CYCLE_1) | instskip(SKIP_3) | instid1(VALU_DEP_3)
	s_or_b32 exec_lo, exec_lo, s8
	v_sub_nc_u32_e32 v63, v35, v62
	v_lshl_add_u32 v64, v62, 2, v19
	v_add_nc_u32_e32 v62, v62, v4
	v_lshlrev_b32_e32 v65, 2, v63
	v_cmp_gt_i32_e64 s9, v18, v63
	s_delay_alu instid0(VALU_DEP_3)
	v_cmp_le_i32_e64 s7, v17, v62
	ds_load_b32 v64, v64
	ds_load_b32 v65, v65
	s_wait_loadcnt_dscnt 0x0
	s_barrier_signal -1
	s_barrier_wait -1
	global_inv scope:SCOPE_SE
	ds_store_b32 v1, v61
	s_wait_loadcnt_dscnt 0x0
	s_barrier_signal -1
	s_barrier_wait -1
	global_inv scope:SCOPE_SE
	v_cmp_lt_i32_e64 s8, v65, v64
	s_or_b32 s7, s7, s8
	s_wait_alu 0xfffe
	s_and_b32 s7, s9, s7
	s_wait_alu 0xfffe
	v_cndmask_b32_e64 v62, v62, v63, s7
	v_cndmask_b32_e64 v64, v64, v65, s7
	s_delay_alu instid0(VALU_DEP_2)
	v_dual_mov_b32 v62, v56 :: v_dual_lshlrev_b32 v61, 2, v62
	ds_load_b32 v61, v61
	s_wait_loadcnt_dscnt 0x0
	s_barrier_signal -1
	s_barrier_wait -1
	global_inv scope:SCOPE_SE
	ds_store_b32 v1, v64
	s_wait_loadcnt_dscnt 0x0
	s_barrier_signal -1
	s_barrier_wait -1
	global_inv scope:SCOPE_SE
	s_and_saveexec_b32 s8, s3
	s_cbranch_execz .LBB21_18
; %bb.15:                               ;   in Loop: Header=BB21_2 Depth=1
	v_dual_mov_b32 v62, v56 :: v_dual_mov_b32 v63, v50
	s_mov_b32 s9, 0
.LBB21_16:                              ;   Parent Loop BB21_2 Depth=1
                                        ; =>  This Inner Loop Header: Depth=2
	s_delay_alu instid0(VALU_DEP_1) | instskip(NEXT) | instid1(VALU_DEP_1)
	v_sub_nc_u32_e32 v64, v63, v62
	v_lshrrev_b32_e32 v64, 1, v64
	s_delay_alu instid0(VALU_DEP_1) | instskip(NEXT) | instid1(VALU_DEP_1)
	v_add_nc_u32_e32 v64, v64, v62
	v_not_b32_e32 v65, v64
	v_lshl_add_u32 v66, v64, 2, v22
	v_add_nc_u32_e32 v67, 1, v64
	s_delay_alu instid0(VALU_DEP_3)
	v_lshl_add_u32 v65, v65, 2, v43
	ds_load_b32 v66, v66
	ds_load_b32 v65, v65
	s_wait_dscnt 0x0
	v_cmp_lt_i32_e64 s7, v65, v66
	s_wait_alu 0xf1ff
	s_delay_alu instid0(VALU_DEP_1) | instskip(SKIP_1) | instid1(VALU_DEP_1)
	v_cndmask_b32_e64 v63, v63, v64, s7
	v_cndmask_b32_e64 v62, v67, v62, s7
	v_cmp_ge_i32_e64 s7, v62, v63
	s_or_b32 s9, s7, s9
	s_delay_alu instid0(SALU_CYCLE_1)
	s_and_not1_b32 exec_lo, exec_lo, s9
	s_cbranch_execnz .LBB21_16
; %bb.17:                               ;   in Loop: Header=BB21_2 Depth=1
	s_or_b32 exec_lo, exec_lo, s9
.LBB21_18:                              ;   in Loop: Header=BB21_2 Depth=1
	s_delay_alu instid0(SALU_CYCLE_1) | instskip(SKIP_3) | instid1(VALU_DEP_3)
	s_or_b32 exec_lo, exec_lo, s8
	v_sub_nc_u32_e32 v63, v36, v62
	v_lshl_add_u32 v64, v62, 2, v22
	v_add_nc_u32_e32 v62, v62, v5
	v_lshlrev_b32_e32 v65, 2, v63
	v_cmp_gt_i32_e64 s9, v21, v63
	s_delay_alu instid0(VALU_DEP_3)
	v_cmp_le_i32_e64 s7, v20, v62
	ds_load_b32 v64, v64
	ds_load_b32 v65, v65
	s_wait_loadcnt_dscnt 0x0
	s_barrier_signal -1
	s_barrier_wait -1
	global_inv scope:SCOPE_SE
	ds_store_b32 v1, v61
	s_wait_loadcnt_dscnt 0x0
	s_barrier_signal -1
	s_barrier_wait -1
	global_inv scope:SCOPE_SE
	v_cmp_lt_i32_e64 s8, v65, v64
	s_or_b32 s7, s7, s8
	s_wait_alu 0xfffe
	s_and_b32 s7, s9, s7
	s_wait_alu 0xfffe
	v_cndmask_b32_e64 v62, v62, v63, s7
	v_cndmask_b32_e64 v64, v64, v65, s7
	s_delay_alu instid0(VALU_DEP_2)
	v_dual_mov_b32 v62, v57 :: v_dual_lshlrev_b32 v61, 2, v62
	ds_load_b32 v61, v61
	s_wait_loadcnt_dscnt 0x0
	s_barrier_signal -1
	s_barrier_wait -1
	global_inv scope:SCOPE_SE
	ds_store_b32 v1, v64
	s_wait_loadcnt_dscnt 0x0
	s_barrier_signal -1
	s_barrier_wait -1
	global_inv scope:SCOPE_SE
	s_and_saveexec_b32 s8, s4
	s_cbranch_execz .LBB21_22
; %bb.19:                               ;   in Loop: Header=BB21_2 Depth=1
	v_dual_mov_b32 v62, v57 :: v_dual_mov_b32 v63, v51
	s_mov_b32 s9, 0
.LBB21_20:                              ;   Parent Loop BB21_2 Depth=1
                                        ; =>  This Inner Loop Header: Depth=2
	s_delay_alu instid0(VALU_DEP_1) | instskip(NEXT) | instid1(VALU_DEP_1)
	v_sub_nc_u32_e32 v64, v63, v62
	v_lshrrev_b32_e32 v64, 1, v64
	s_delay_alu instid0(VALU_DEP_1) | instskip(NEXT) | instid1(VALU_DEP_1)
	v_add_nc_u32_e32 v64, v64, v62
	v_not_b32_e32 v65, v64
	v_lshl_add_u32 v66, v64, 2, v25
	v_add_nc_u32_e32 v67, 1, v64
	s_delay_alu instid0(VALU_DEP_3)
	v_lshl_add_u32 v65, v65, 2, v44
	ds_load_b32 v66, v66
	ds_load_b32 v65, v65
	s_wait_dscnt 0x0
	v_cmp_lt_i32_e64 s7, v65, v66
	s_wait_alu 0xf1ff
	s_delay_alu instid0(VALU_DEP_1) | instskip(SKIP_1) | instid1(VALU_DEP_1)
	v_cndmask_b32_e64 v63, v63, v64, s7
	v_cndmask_b32_e64 v62, v67, v62, s7
	v_cmp_ge_i32_e64 s7, v62, v63
	s_or_b32 s9, s7, s9
	s_delay_alu instid0(SALU_CYCLE_1)
	s_and_not1_b32 exec_lo, exec_lo, s9
	s_cbranch_execnz .LBB21_20
; %bb.21:                               ;   in Loop: Header=BB21_2 Depth=1
	s_or_b32 exec_lo, exec_lo, s9
.LBB21_22:                              ;   in Loop: Header=BB21_2 Depth=1
	s_delay_alu instid0(SALU_CYCLE_1) | instskip(SKIP_3) | instid1(VALU_DEP_3)
	s_or_b32 exec_lo, exec_lo, s8
	v_sub_nc_u32_e32 v63, v37, v62
	v_lshl_add_u32 v64, v62, 2, v25
	v_add_nc_u32_e32 v62, v62, v6
	v_lshlrev_b32_e32 v65, 2, v63
	v_cmp_gt_i32_e64 s9, v24, v63
	s_delay_alu instid0(VALU_DEP_3)
	v_cmp_le_i32_e64 s7, v23, v62
	ds_load_b32 v64, v64
	ds_load_b32 v65, v65
	s_wait_loadcnt_dscnt 0x0
	s_barrier_signal -1
	s_barrier_wait -1
	global_inv scope:SCOPE_SE
	ds_store_b32 v1, v61
	s_wait_loadcnt_dscnt 0x0
	s_barrier_signal -1
	s_barrier_wait -1
	global_inv scope:SCOPE_SE
	v_cmp_lt_i32_e64 s8, v65, v64
	s_or_b32 s7, s7, s8
	s_wait_alu 0xfffe
	s_and_b32 s7, s9, s7
	s_wait_alu 0xfffe
	v_cndmask_b32_e64 v62, v62, v63, s7
	v_cndmask_b32_e64 v64, v64, v65, s7
	s_delay_alu instid0(VALU_DEP_2)
	v_dual_mov_b32 v62, v58 :: v_dual_lshlrev_b32 v61, 2, v62
	ds_load_b32 v61, v61
	s_wait_loadcnt_dscnt 0x0
	s_barrier_signal -1
	s_barrier_wait -1
	global_inv scope:SCOPE_SE
	ds_store_b32 v1, v64
	s_wait_loadcnt_dscnt 0x0
	s_barrier_signal -1
	s_barrier_wait -1
	global_inv scope:SCOPE_SE
	s_and_saveexec_b32 s8, s5
	s_cbranch_execz .LBB21_26
; %bb.23:                               ;   in Loop: Header=BB21_2 Depth=1
	v_dual_mov_b32 v62, v58 :: v_dual_mov_b32 v63, v52
	s_mov_b32 s9, 0
.LBB21_24:                              ;   Parent Loop BB21_2 Depth=1
                                        ; =>  This Inner Loop Header: Depth=2
	s_delay_alu instid0(VALU_DEP_1) | instskip(NEXT) | instid1(VALU_DEP_1)
	v_sub_nc_u32_e32 v64, v63, v62
	v_lshrrev_b32_e32 v64, 1, v64
	s_delay_alu instid0(VALU_DEP_1) | instskip(NEXT) | instid1(VALU_DEP_1)
	v_add_nc_u32_e32 v64, v64, v62
	v_not_b32_e32 v65, v64
	v_lshl_add_u32 v66, v64, 2, v28
	v_add_nc_u32_e32 v67, 1, v64
	s_delay_alu instid0(VALU_DEP_3)
	v_lshl_add_u32 v65, v65, 2, v45
	ds_load_b32 v66, v66
	ds_load_b32 v65, v65
	s_wait_dscnt 0x0
	v_cmp_lt_i32_e64 s7, v65, v66
	s_wait_alu 0xf1ff
	s_delay_alu instid0(VALU_DEP_1) | instskip(SKIP_1) | instid1(VALU_DEP_1)
	v_cndmask_b32_e64 v63, v63, v64, s7
	v_cndmask_b32_e64 v62, v67, v62, s7
	v_cmp_ge_i32_e64 s7, v62, v63
	s_or_b32 s9, s7, s9
	s_delay_alu instid0(SALU_CYCLE_1)
	s_and_not1_b32 exec_lo, exec_lo, s9
	s_cbranch_execnz .LBB21_24
; %bb.25:                               ;   in Loop: Header=BB21_2 Depth=1
	s_or_b32 exec_lo, exec_lo, s9
.LBB21_26:                              ;   in Loop: Header=BB21_2 Depth=1
	s_delay_alu instid0(SALU_CYCLE_1) | instskip(SKIP_3) | instid1(VALU_DEP_3)
	s_or_b32 exec_lo, exec_lo, s8
	v_sub_nc_u32_e32 v63, v38, v62
	v_lshl_add_u32 v64, v62, 2, v28
	v_add_nc_u32_e32 v62, v62, v7
	v_lshlrev_b32_e32 v65, 2, v63
	v_cmp_gt_i32_e64 s9, v27, v63
	s_delay_alu instid0(VALU_DEP_3)
	v_cmp_le_i32_e64 s7, v26, v62
	ds_load_b32 v64, v64
	ds_load_b32 v65, v65
	s_wait_loadcnt_dscnt 0x0
	s_barrier_signal -1
	s_barrier_wait -1
	global_inv scope:SCOPE_SE
	ds_store_b32 v1, v61
	s_wait_loadcnt_dscnt 0x0
	s_barrier_signal -1
	s_barrier_wait -1
	global_inv scope:SCOPE_SE
	v_cmp_lt_i32_e64 s8, v65, v64
	s_or_b32 s7, s7, s8
	s_wait_alu 0xfffe
	s_and_b32 s7, s9, s7
	s_wait_alu 0xfffe
	v_cndmask_b32_e64 v62, v62, v63, s7
	v_cndmask_b32_e64 v64, v64, v65, s7
	s_delay_alu instid0(VALU_DEP_2)
	v_dual_mov_b32 v62, v59 :: v_dual_lshlrev_b32 v61, 2, v62
	ds_load_b32 v61, v61
	s_wait_loadcnt_dscnt 0x0
	s_barrier_signal -1
	s_barrier_wait -1
	global_inv scope:SCOPE_SE
	ds_store_b32 v1, v64
	s_wait_loadcnt_dscnt 0x0
	s_barrier_signal -1
	s_barrier_wait -1
	global_inv scope:SCOPE_SE
	s_and_saveexec_b32 s8, s6
	s_cbranch_execz .LBB21_30
; %bb.27:                               ;   in Loop: Header=BB21_2 Depth=1
	v_dual_mov_b32 v62, v59 :: v_dual_mov_b32 v63, v53
	s_mov_b32 s9, 0
.LBB21_28:                              ;   Parent Loop BB21_2 Depth=1
                                        ; =>  This Inner Loop Header: Depth=2
	s_delay_alu instid0(VALU_DEP_1) | instskip(NEXT) | instid1(VALU_DEP_1)
	v_sub_nc_u32_e32 v64, v63, v62
	v_lshrrev_b32_e32 v64, 1, v64
	s_delay_alu instid0(VALU_DEP_1) | instskip(NEXT) | instid1(VALU_DEP_1)
	v_add_nc_u32_e32 v64, v64, v62
	v_not_b32_e32 v65, v64
	v_lshl_add_u32 v66, v64, 2, v31
	v_add_nc_u32_e32 v67, 1, v64
	s_delay_alu instid0(VALU_DEP_3)
	v_lshl_add_u32 v65, v65, 2, v46
	ds_load_b32 v66, v66
	ds_load_b32 v65, v65
	s_wait_dscnt 0x0
	v_cmp_lt_i32_e64 s7, v65, v66
	s_wait_alu 0xf1ff
	s_delay_alu instid0(VALU_DEP_1) | instskip(SKIP_1) | instid1(VALU_DEP_1)
	v_cndmask_b32_e64 v63, v63, v64, s7
	v_cndmask_b32_e64 v62, v67, v62, s7
	v_cmp_ge_i32_e64 s7, v62, v63
	s_or_b32 s9, s7, s9
	s_delay_alu instid0(SALU_CYCLE_1)
	s_and_not1_b32 exec_lo, exec_lo, s9
	s_cbranch_execnz .LBB21_28
; %bb.29:                               ;   in Loop: Header=BB21_2 Depth=1
	s_or_b32 exec_lo, exec_lo, s9
.LBB21_30:                              ;   in Loop: Header=BB21_2 Depth=1
	s_delay_alu instid0(SALU_CYCLE_1) | instskip(SKIP_3) | instid1(VALU_DEP_3)
	s_or_b32 exec_lo, exec_lo, s8
	v_sub_nc_u32_e32 v63, v39, v62
	v_lshl_add_u32 v64, v62, 2, v31
	v_add_nc_u32_e32 v62, v62, v8
	v_lshlrev_b32_e32 v65, 2, v63
	v_cmp_gt_i32_e64 s9, v30, v63
	s_delay_alu instid0(VALU_DEP_3)
	v_cmp_le_i32_e64 s7, v29, v62
	ds_load_b32 v64, v64
	ds_load_b32 v65, v65
	s_wait_loadcnt_dscnt 0x0
	s_barrier_signal -1
	s_barrier_wait -1
	global_inv scope:SCOPE_SE
	ds_store_b32 v1, v61
	s_wait_loadcnt_dscnt 0x0
	s_barrier_signal -1
	s_barrier_wait -1
	global_inv scope:SCOPE_SE
	v_cmp_lt_i32_e64 s8, v65, v64
	s_or_b32 s7, s7, s8
	s_wait_alu 0xfffe
	s_and_b32 s7, s9, s7
	s_wait_alu 0xfffe
	v_cndmask_b32_e64 v62, v62, v63, s7
	v_cndmask_b32_e64 v64, v64, v65, s7
	v_mov_b32_e32 v63, v9
	s_delay_alu instid0(VALU_DEP_3)
	v_lshlrev_b32_e32 v61, 2, v62
	ds_load_b32 v62, v61
	s_wait_loadcnt_dscnt 0x0
	s_barrier_signal -1
	s_barrier_wait -1
	global_inv scope:SCOPE_SE
	ds_store_b32 v1, v64
	s_wait_loadcnt_dscnt 0x0
	s_barrier_signal -1
	s_barrier_wait -1
	global_inv scope:SCOPE_SE
	s_and_saveexec_b32 s8, vcc_lo
	s_cbranch_execz .LBB21_1
; %bb.31:                               ;   in Loop: Header=BB21_2 Depth=1
	v_mov_b32_e32 v63, v9
	v_mov_b32_e32 v61, v10
	s_mov_b32 s9, 0
.LBB21_32:                              ;   Parent Loop BB21_2 Depth=1
                                        ; =>  This Inner Loop Header: Depth=2
	s_delay_alu instid0(VALU_DEP_1) | instskip(NEXT) | instid1(VALU_DEP_1)
	v_sub_nc_u32_e32 v64, v61, v63
	v_lshrrev_b32_e32 v64, 1, v64
	s_delay_alu instid0(VALU_DEP_1) | instskip(NEXT) | instid1(VALU_DEP_1)
	v_add_nc_u32_e32 v64, v64, v63
	v_not_b32_e32 v65, v64
	v_lshlrev_b32_e32 v66, 2, v64
	v_add_nc_u32_e32 v67, 1, v64
	s_delay_alu instid0(VALU_DEP_3)
	v_lshl_add_u32 v65, v65, 2, v60
	ds_load_b32 v66, v66
	ds_load_b32 v65, v65
	s_wait_dscnt 0x0
	v_cmp_lt_i32_e64 s7, v65, v66
	s_wait_alu 0xf1ff
	s_delay_alu instid0(VALU_DEP_1) | instskip(SKIP_1) | instid1(VALU_DEP_1)
	v_cndmask_b32_e64 v61, v61, v64, s7
	v_cndmask_b32_e64 v63, v67, v63, s7
	v_cmp_ge_i32_e64 s7, v63, v61
	s_or_b32 s9, s7, s9
	s_delay_alu instid0(SALU_CYCLE_1)
	s_and_not1_b32 exec_lo, exec_lo, s9
	s_cbranch_execnz .LBB21_32
; %bb.33:                               ;   in Loop: Header=BB21_2 Depth=1
	s_or_b32 exec_lo, exec_lo, s9
	s_branch .LBB21_1
.LBB21_34:
	s_wait_dscnt 0x0
	v_add_nc_u32_e32 v1, v61, v62
	v_lshlrev_b32_e32 v0, 2, v0
	s_add_nc_u64 s[0:1], s[10:11], s[14:15]
	global_store_b32 v0, v1, s[0:1]
	s_endpgm
	.section	.rodata,"a",@progbits
	.p2align	6, 0x0
	.amdhsa_kernel _Z17sort_pairs_kernelIiLj256ELj1EN10test_utils4lessELj10EEvPKT_PS2_T2_
		.amdhsa_group_segment_fixed_size 1028
		.amdhsa_private_segment_fixed_size 0
		.amdhsa_kernarg_size 20
		.amdhsa_user_sgpr_count 2
		.amdhsa_user_sgpr_dispatch_ptr 0
		.amdhsa_user_sgpr_queue_ptr 0
		.amdhsa_user_sgpr_kernarg_segment_ptr 1
		.amdhsa_user_sgpr_dispatch_id 0
		.amdhsa_user_sgpr_private_segment_size 0
		.amdhsa_wavefront_size32 1
		.amdhsa_uses_dynamic_stack 0
		.amdhsa_enable_private_segment 0
		.amdhsa_system_sgpr_workgroup_id_x 1
		.amdhsa_system_sgpr_workgroup_id_y 0
		.amdhsa_system_sgpr_workgroup_id_z 0
		.amdhsa_system_sgpr_workgroup_info 0
		.amdhsa_system_vgpr_workitem_id 0
		.amdhsa_next_free_vgpr 74
		.amdhsa_next_free_sgpr 16
		.amdhsa_reserve_vcc 1
		.amdhsa_float_round_mode_32 0
		.amdhsa_float_round_mode_16_64 0
		.amdhsa_float_denorm_mode_32 3
		.amdhsa_float_denorm_mode_16_64 3
		.amdhsa_fp16_overflow 0
		.amdhsa_workgroup_processor_mode 1
		.amdhsa_memory_ordered 1
		.amdhsa_forward_progress 1
		.amdhsa_inst_pref_size 30
		.amdhsa_round_robin_scheduling 0
		.amdhsa_exception_fp_ieee_invalid_op 0
		.amdhsa_exception_fp_denorm_src 0
		.amdhsa_exception_fp_ieee_div_zero 0
		.amdhsa_exception_fp_ieee_overflow 0
		.amdhsa_exception_fp_ieee_underflow 0
		.amdhsa_exception_fp_ieee_inexact 0
		.amdhsa_exception_int_div_zero 0
	.end_amdhsa_kernel
	.section	.text._Z17sort_pairs_kernelIiLj256ELj1EN10test_utils4lessELj10EEvPKT_PS2_T2_,"axG",@progbits,_Z17sort_pairs_kernelIiLj256ELj1EN10test_utils4lessELj10EEvPKT_PS2_T2_,comdat
.Lfunc_end21:
	.size	_Z17sort_pairs_kernelIiLj256ELj1EN10test_utils4lessELj10EEvPKT_PS2_T2_, .Lfunc_end21-_Z17sort_pairs_kernelIiLj256ELj1EN10test_utils4lessELj10EEvPKT_PS2_T2_
                                        ; -- End function
	.set _Z17sort_pairs_kernelIiLj256ELj1EN10test_utils4lessELj10EEvPKT_PS2_T2_.num_vgpr, 74
	.set _Z17sort_pairs_kernelIiLj256ELj1EN10test_utils4lessELj10EEvPKT_PS2_T2_.num_agpr, 0
	.set _Z17sort_pairs_kernelIiLj256ELj1EN10test_utils4lessELj10EEvPKT_PS2_T2_.numbered_sgpr, 16
	.set _Z17sort_pairs_kernelIiLj256ELj1EN10test_utils4lessELj10EEvPKT_PS2_T2_.num_named_barrier, 0
	.set _Z17sort_pairs_kernelIiLj256ELj1EN10test_utils4lessELj10EEvPKT_PS2_T2_.private_seg_size, 0
	.set _Z17sort_pairs_kernelIiLj256ELj1EN10test_utils4lessELj10EEvPKT_PS2_T2_.uses_vcc, 1
	.set _Z17sort_pairs_kernelIiLj256ELj1EN10test_utils4lessELj10EEvPKT_PS2_T2_.uses_flat_scratch, 0
	.set _Z17sort_pairs_kernelIiLj256ELj1EN10test_utils4lessELj10EEvPKT_PS2_T2_.has_dyn_sized_stack, 0
	.set _Z17sort_pairs_kernelIiLj256ELj1EN10test_utils4lessELj10EEvPKT_PS2_T2_.has_recursion, 0
	.set _Z17sort_pairs_kernelIiLj256ELj1EN10test_utils4lessELj10EEvPKT_PS2_T2_.has_indirect_call, 0
	.section	.AMDGPU.csdata,"",@progbits
; Kernel info:
; codeLenInByte = 3780
; TotalNumSgprs: 18
; NumVgprs: 74
; ScratchSize: 0
; MemoryBound: 0
; FloatMode: 240
; IeeeMode: 1
; LDSByteSize: 1028 bytes/workgroup (compile time only)
; SGPRBlocks: 0
; VGPRBlocks: 9
; NumSGPRsForWavesPerEU: 18
; NumVGPRsForWavesPerEU: 74
; Occupancy: 16
; WaveLimiterHint : 0
; COMPUTE_PGM_RSRC2:SCRATCH_EN: 0
; COMPUTE_PGM_RSRC2:USER_SGPR: 2
; COMPUTE_PGM_RSRC2:TRAP_HANDLER: 0
; COMPUTE_PGM_RSRC2:TGID_X_EN: 1
; COMPUTE_PGM_RSRC2:TGID_Y_EN: 0
; COMPUTE_PGM_RSRC2:TGID_Z_EN: 0
; COMPUTE_PGM_RSRC2:TIDIG_COMP_CNT: 0
	.section	.text._Z16sort_keys_kernelIiLj256ELj2EN10test_utils4lessELj10EEvPKT_PS2_T2_,"axG",@progbits,_Z16sort_keys_kernelIiLj256ELj2EN10test_utils4lessELj10EEvPKT_PS2_T2_,comdat
	.protected	_Z16sort_keys_kernelIiLj256ELj2EN10test_utils4lessELj10EEvPKT_PS2_T2_ ; -- Begin function _Z16sort_keys_kernelIiLj256ELj2EN10test_utils4lessELj10EEvPKT_PS2_T2_
	.globl	_Z16sort_keys_kernelIiLj256ELj2EN10test_utils4lessELj10EEvPKT_PS2_T2_
	.p2align	8
	.type	_Z16sort_keys_kernelIiLj256ELj2EN10test_utils4lessELj10EEvPKT_PS2_T2_,@function
_Z16sort_keys_kernelIiLj256ELj2EN10test_utils4lessELj10EEvPKT_PS2_T2_: ; @_Z16sort_keys_kernelIiLj256ELj2EN10test_utils4lessELj10EEvPKT_PS2_T2_
; %bb.0:
	s_load_b128 s[12:15], s[0:1], 0x0
	s_lshl_b32 s10, ttmp9, 9
	s_mov_b32 s11, 0
	v_lshlrev_b32_e32 v1, 2, v0
	s_lshl_b64 s[16:17], s[10:11], 2
	v_lshlrev_b32_e32 v53, 1, v0
	v_lshlrev_b32_e32 v5, 3, v0
	s_delay_alu instid0(VALU_DEP_2)
	v_and_b32_e32 v25, 0x1c0, v53
	v_and_b32_e32 v58, 62, v53
	;; [unrolled: 1-line block ×5, first 2 shown]
	v_or_b32_e32 v27, 32, v25
	v_add_nc_u32_e32 v28, 64, v25
	v_and_b32_e32 v32, 0x180, v53
	v_or_b32_e32 v6, 4, v4
	v_add_nc_u32_e32 v7, 8, v4
	s_wait_kmcnt 0x0
	s_add_nc_u64 s[0:1], s[12:13], s[16:17]
	v_sub_nc_u32_e32 v36, v28, v27
	s_clause 0x1
	global_load_b32 v62, v1, s[0:1]
	global_load_b32 v63, v1, s[0:1] offset:1024
	v_and_b32_e32 v1, 0x1fc, v53
	v_or_b32_e32 v13, 8, v11
	v_add_nc_u32_e32 v14, 16, v11
	v_sub_nc_u32_e32 v37, v58, v36
	v_cmp_ge_i32_e64 s3, v58, v36
	v_or_b32_e32 v2, 2, v1
	v_add_nc_u32_e32 v3, 4, v1
	v_or_b32_e32 v20, 16, v18
	v_add_nc_u32_e32 v21, 32, v18
	v_cndmask_b32_e64 v36, 0, v37, s3
	v_and_b32_e32 v37, 0x100, v53
	v_or_b32_e32 v34, 64, v32
	v_add_nc_u32_e32 v35, 0x80, v32
	v_and_b32_e32 v52, 2, v53
	v_sub_nc_u32_e32 v8, v3, v2
	v_or_b32_e32 v40, 0x80, v37
	v_add_nc_u32_e32 v41, 0x100, v37
	v_and_b32_e32 v54, 6, v53
	v_sub_nc_u32_e32 v15, v7, v6
	v_and_b32_e32 v56, 14, v53
	v_sub_nc_u32_e32 v22, v14, v13
	;; [unrolled: 2-line block ×5, first 2 shown]
	v_sub_nc_u32_e32 v9, v52, v8
	v_sub_nc_u32_e32 v10, v2, v1
	v_cmp_ge_i32_e32 vcc_lo, v52, v8
	v_sub_nc_u32_e32 v16, v54, v15
	v_sub_nc_u32_e32 v17, v6, v4
	v_cmp_ge_i32_e64 s0, v54, v15
	v_sub_nc_u32_e32 v23, v56, v22
	v_sub_nc_u32_e32 v24, v13, v11
	v_cmp_ge_i32_e64 s1, v56, v22
	;; [unrolled: 3-line block ×3, first 2 shown]
	v_sub_nc_u32_e32 v38, v27, v25
	v_sub_nc_u32_e32 v43, v59, v42
	;; [unrolled: 1-line block ×3, first 2 shown]
	v_cmp_ge_i32_e64 s4, v59, v42
	v_sub_nc_u32_e32 v47, v60, v46
	v_sub_nc_u32_e32 v48, v40, v37
	v_cmp_ge_i32_e64 s5, v60, v46
	v_cndmask_b32_e32 v8, 0, v9, vcc_lo
	v_min_i32_e32 v9, v52, v10
	v_add_nc_u32_e32 v12, v2, v52
	v_cndmask_b32_e64 v15, 0, v16, s0
	v_min_i32_e32 v16, v54, v17
	v_cndmask_b32_e64 v22, 0, v23, s1
	v_min_i32_e32 v23, v56, v24
	v_add_nc_u32_e32 v26, v13, v56
	s_wait_alu 0xf1ff
	v_cndmask_b32_e64 v29, 0, v30, s2
	v_min_i32_e32 v30, v57, v31
	v_add_nc_u32_e32 v33, v20, v57
	v_min_i32_e32 v38, v58, v38
	v_cndmask_b32_e64 v42, 0, v43, s4
	v_min_i32_e32 v43, v59, v44
	v_add_nc_u32_e32 v44, v27, v58
	v_cndmask_b32_e64 v46, 0, v47, s5
	v_min_i32_e32 v47, v60, v48
	v_add_nc_u32_e32 v48, v34, v59
	v_subrev_nc_u32_e64 v50, 0x100, v53 clamp
	v_min_i32_e32 v51, 0x100, v53
	v_lshlrev_b32_e32 v55, 2, v52
	v_lshlrev_b32_e32 v61, 2, v54
	v_add_nc_u32_e32 v52, v40, v60
	v_lshlrev_b32_e32 v56, 2, v56
	v_lshlrev_b32_e32 v57, 2, v57
	;; [unrolled: 1-line block ×7, first 2 shown]
	v_cmp_lt_i32_e64 s0, v15, v16
	v_add_nc_u32_e32 v19, v6, v54
	v_lshlrev_b32_e32 v24, 2, v11
	v_cmp_lt_i32_e64 s1, v22, v23
	v_lshlrev_b32_e32 v31, 2, v18
	v_cmp_lt_i32_e64 s2, v29, v30
	;; [unrolled: 2-line block ×5, first 2 shown]
	v_cmp_lt_i32_e64 s6, v50, v51
	v_add_nc_u32_e32 v53, 0x100, v53
	v_lshl_add_u32 v54, v2, 2, v55
	v_lshl_add_u32 v55, v6, 2, v61
	;; [unrolled: 1-line block ×7, first 2 shown]
	v_add_nc_u32_e32 v61, 0x400, v5
	v_cmp_lt_i32_e32 vcc_lo, v8, v9
	s_branch .LBB22_2
.LBB22_1:                               ;   in Loop: Header=BB22_2 Depth=1
	s_or_b32 exec_lo, exec_lo, s8
	v_cmp_le_i32_e64 s8, 0x100, v62
	s_wait_dscnt 0x0
	v_cmp_lt_i32_e64 s9, v68, v66
	v_cmp_gt_i32_e64 s10, 0x200, v63
	v_cndmask_b32_e64 v62, v64, v65, s7
	s_add_co_i32 s11, s11, 1
	s_or_b32 s8, s8, s9
	s_delay_alu instid0(SALU_CYCLE_1)
	s_and_b32 s7, s10, s8
	s_cmp_eq_u32 s11, 10
	s_wait_alu 0xfffe
	v_cndmask_b32_e64 v63, v66, v68, s7
	s_cbranch_scc1 .LBB22_66
.LBB22_2:                               ; =>This Loop Header: Depth=1
                                        ;     Child Loop BB22_4 Depth 2
                                        ;     Child Loop BB22_12 Depth 2
	;; [unrolled: 1-line block ×8, first 2 shown]
	s_wait_loadcnt 0x0
	s_delay_alu instid0(VALU_DEP_1)
	v_cmp_lt_i32_e64 s7, v63, v62
	s_barrier_signal -1
	s_barrier_wait -1
	global_inv scope:SCOPE_SE
	s_wait_alu 0xf1ff
	v_cndmask_b32_e64 v64, v63, v62, s7
	v_cndmask_b32_e64 v63, v62, v63, s7
	v_mov_b32_e32 v62, v8
	ds_store_2addr_b32 v5, v63, v64 offset1:1
	s_wait_loadcnt_dscnt 0x0
	s_barrier_signal -1
	s_barrier_wait -1
	global_inv scope:SCOPE_SE
	s_and_saveexec_b32 s8, vcc_lo
	s_cbranch_execz .LBB22_6
; %bb.3:                                ;   in Loop: Header=BB22_2 Depth=1
	v_dual_mov_b32 v62, v8 :: v_dual_mov_b32 v63, v9
	s_mov_b32 s9, 0
.LBB22_4:                               ;   Parent Loop BB22_2 Depth=1
                                        ; =>  This Inner Loop Header: Depth=2
	s_delay_alu instid0(VALU_DEP_1) | instskip(NEXT) | instid1(VALU_DEP_1)
	v_sub_nc_u32_e32 v64, v63, v62
	v_lshrrev_b32_e32 v64, 1, v64
	s_delay_alu instid0(VALU_DEP_1) | instskip(NEXT) | instid1(VALU_DEP_1)
	v_add_nc_u32_e32 v64, v64, v62
	v_not_b32_e32 v65, v64
	v_lshl_add_u32 v66, v64, 2, v10
	v_add_nc_u32_e32 v67, 1, v64
	s_delay_alu instid0(VALU_DEP_3)
	v_lshl_add_u32 v65, v65, 2, v54
	ds_load_b32 v66, v66
	ds_load_b32 v65, v65
	s_wait_dscnt 0x0
	v_cmp_lt_i32_e64 s7, v65, v66
	s_wait_alu 0xf1ff
	s_delay_alu instid0(VALU_DEP_1) | instskip(SKIP_1) | instid1(VALU_DEP_1)
	v_cndmask_b32_e64 v63, v63, v64, s7
	v_cndmask_b32_e64 v62, v67, v62, s7
	v_cmp_ge_i32_e64 s7, v62, v63
	s_or_b32 s9, s7, s9
	s_delay_alu instid0(SALU_CYCLE_1)
	s_and_not1_b32 exec_lo, exec_lo, s9
	s_cbranch_execnz .LBB22_4
; %bb.5:                                ;   in Loop: Header=BB22_2 Depth=1
	s_or_b32 exec_lo, exec_lo, s9
.LBB22_6:                               ;   in Loop: Header=BB22_2 Depth=1
	s_delay_alu instid0(SALU_CYCLE_1) | instskip(SKIP_3) | instid1(VALU_DEP_3)
	s_or_b32 exec_lo, exec_lo, s8
	v_sub_nc_u32_e32 v65, v12, v62
	v_lshl_add_u32 v68, v62, 2, v10
	v_add_nc_u32_e32 v66, v62, v1
                                        ; implicit-def: $vgpr62
	v_lshlrev_b32_e32 v67, 2, v65
	v_cmp_gt_i32_e64 s9, v3, v65
	s_delay_alu instid0(VALU_DEP_3)
	v_cmp_le_i32_e64 s7, v2, v66
	ds_load_b32 v63, v68
	ds_load_b32 v64, v67
	s_wait_dscnt 0x0
	v_cmp_lt_i32_e64 s8, v64, v63
	s_or_b32 s7, s7, s8
	s_wait_alu 0xfffe
	s_and_b32 s7, s9, s7
	s_wait_alu 0xfffe
	s_xor_b32 s8, s7, -1
	s_delay_alu instid0(SALU_CYCLE_1) | instskip(NEXT) | instid1(SALU_CYCLE_1)
	s_and_saveexec_b32 s9, s8
	s_xor_b32 s8, exec_lo, s9
; %bb.7:                                ;   in Loop: Header=BB22_2 Depth=1
	ds_load_b32 v62, v68 offset:4
                                        ; implicit-def: $vgpr67
; %bb.8:                                ;   in Loop: Header=BB22_2 Depth=1
	s_or_saveexec_b32 s8, s8
	v_mov_b32_e32 v68, v64
	s_xor_b32 exec_lo, exec_lo, s8
	s_cbranch_execz .LBB22_10
; %bb.9:                                ;   in Loop: Header=BB22_2 Depth=1
	ds_load_b32 v68, v67 offset:4
	s_wait_dscnt 0x1
	v_mov_b32_e32 v62, v63
.LBB22_10:                              ;   in Loop: Header=BB22_2 Depth=1
	s_or_b32 exec_lo, exec_lo, s8
	v_add_nc_u32_e32 v67, 1, v66
	v_add_nc_u32_e32 v69, 1, v65
	s_wait_dscnt 0x0
	v_cmp_lt_i32_e64 s8, v68, v62
	v_cndmask_b32_e64 v63, v63, v64, s7
	s_wait_loadcnt 0x0
	v_cndmask_b32_e64 v66, v67, v66, s7
	v_cndmask_b32_e64 v65, v65, v69, s7
	s_barrier_signal -1
	s_barrier_wait -1
	global_inv scope:SCOPE_SE
	v_cmp_ge_i32_e64 s9, v66, v2
	v_cmp_lt_i32_e64 s10, v65, v3
	s_or_b32 s7, s9, s8
	s_wait_alu 0xfffe
	s_and_b32 s7, s10, s7
	s_wait_alu 0xfffe
	v_cndmask_b32_e64 v64, v62, v68, s7
	v_mov_b32_e32 v62, v15
	ds_store_2addr_b32 v5, v63, v64 offset1:1
	s_wait_loadcnt_dscnt 0x0
	s_barrier_signal -1
	s_barrier_wait -1
	global_inv scope:SCOPE_SE
	s_and_saveexec_b32 s8, s0
	s_cbranch_execz .LBB22_14
; %bb.11:                               ;   in Loop: Header=BB22_2 Depth=1
	v_dual_mov_b32 v62, v15 :: v_dual_mov_b32 v63, v16
	s_mov_b32 s9, 0
.LBB22_12:                              ;   Parent Loop BB22_2 Depth=1
                                        ; =>  This Inner Loop Header: Depth=2
	s_delay_alu instid0(VALU_DEP_1) | instskip(NEXT) | instid1(VALU_DEP_1)
	v_sub_nc_u32_e32 v64, v63, v62
	v_lshrrev_b32_e32 v64, 1, v64
	s_delay_alu instid0(VALU_DEP_1) | instskip(NEXT) | instid1(VALU_DEP_1)
	v_add_nc_u32_e32 v64, v64, v62
	v_not_b32_e32 v65, v64
	v_lshl_add_u32 v66, v64, 2, v17
	v_add_nc_u32_e32 v67, 1, v64
	s_delay_alu instid0(VALU_DEP_3)
	v_lshl_add_u32 v65, v65, 2, v55
	ds_load_b32 v66, v66
	ds_load_b32 v65, v65
	s_wait_dscnt 0x0
	v_cmp_lt_i32_e64 s7, v65, v66
	s_wait_alu 0xf1ff
	s_delay_alu instid0(VALU_DEP_1) | instskip(SKIP_1) | instid1(VALU_DEP_1)
	v_cndmask_b32_e64 v63, v63, v64, s7
	v_cndmask_b32_e64 v62, v67, v62, s7
	v_cmp_ge_i32_e64 s7, v62, v63
	s_or_b32 s9, s7, s9
	s_delay_alu instid0(SALU_CYCLE_1)
	s_and_not1_b32 exec_lo, exec_lo, s9
	s_cbranch_execnz .LBB22_12
; %bb.13:                               ;   in Loop: Header=BB22_2 Depth=1
	s_or_b32 exec_lo, exec_lo, s9
.LBB22_14:                              ;   in Loop: Header=BB22_2 Depth=1
	s_delay_alu instid0(SALU_CYCLE_1) | instskip(SKIP_3) | instid1(VALU_DEP_3)
	s_or_b32 exec_lo, exec_lo, s8
	v_sub_nc_u32_e32 v65, v19, v62
	v_lshl_add_u32 v68, v62, 2, v17
	v_add_nc_u32_e32 v66, v62, v4
                                        ; implicit-def: $vgpr62
	v_lshlrev_b32_e32 v67, 2, v65
	v_cmp_gt_i32_e64 s9, v7, v65
	s_delay_alu instid0(VALU_DEP_3)
	v_cmp_le_i32_e64 s7, v6, v66
	ds_load_b32 v63, v68
	ds_load_b32 v64, v67
	s_wait_dscnt 0x0
	v_cmp_lt_i32_e64 s8, v64, v63
	s_or_b32 s7, s7, s8
	s_wait_alu 0xfffe
	s_and_b32 s7, s9, s7
	s_wait_alu 0xfffe
	s_xor_b32 s8, s7, -1
	s_delay_alu instid0(SALU_CYCLE_1) | instskip(NEXT) | instid1(SALU_CYCLE_1)
	s_and_saveexec_b32 s9, s8
	s_xor_b32 s8, exec_lo, s9
; %bb.15:                               ;   in Loop: Header=BB22_2 Depth=1
	ds_load_b32 v62, v68 offset:4
                                        ; implicit-def: $vgpr67
; %bb.16:                               ;   in Loop: Header=BB22_2 Depth=1
	s_or_saveexec_b32 s8, s8
	v_mov_b32_e32 v68, v64
	s_xor_b32 exec_lo, exec_lo, s8
	s_cbranch_execz .LBB22_18
; %bb.17:                               ;   in Loop: Header=BB22_2 Depth=1
	ds_load_b32 v68, v67 offset:4
	s_wait_dscnt 0x1
	v_mov_b32_e32 v62, v63
.LBB22_18:                              ;   in Loop: Header=BB22_2 Depth=1
	s_or_b32 exec_lo, exec_lo, s8
	v_add_nc_u32_e32 v67, 1, v66
	v_add_nc_u32_e32 v69, 1, v65
	s_wait_dscnt 0x0
	v_cmp_lt_i32_e64 s8, v68, v62
	v_cndmask_b32_e64 v63, v63, v64, s7
	s_wait_loadcnt 0x0
	v_cndmask_b32_e64 v66, v67, v66, s7
	v_cndmask_b32_e64 v65, v65, v69, s7
	s_barrier_signal -1
	s_barrier_wait -1
	global_inv scope:SCOPE_SE
	v_cmp_ge_i32_e64 s9, v66, v6
	v_cmp_lt_i32_e64 s10, v65, v7
	s_or_b32 s7, s9, s8
	s_wait_alu 0xfffe
	s_and_b32 s7, s10, s7
	s_wait_alu 0xfffe
	v_cndmask_b32_e64 v64, v62, v68, s7
	v_mov_b32_e32 v62, v22
	ds_store_2addr_b32 v5, v63, v64 offset1:1
	s_wait_loadcnt_dscnt 0x0
	s_barrier_signal -1
	s_barrier_wait -1
	global_inv scope:SCOPE_SE
	s_and_saveexec_b32 s8, s1
	s_cbranch_execz .LBB22_22
; %bb.19:                               ;   in Loop: Header=BB22_2 Depth=1
	v_dual_mov_b32 v62, v22 :: v_dual_mov_b32 v63, v23
	s_mov_b32 s9, 0
.LBB22_20:                              ;   Parent Loop BB22_2 Depth=1
                                        ; =>  This Inner Loop Header: Depth=2
	s_delay_alu instid0(VALU_DEP_1) | instskip(NEXT) | instid1(VALU_DEP_1)
	v_sub_nc_u32_e32 v64, v63, v62
	v_lshrrev_b32_e32 v64, 1, v64
	s_delay_alu instid0(VALU_DEP_1) | instskip(NEXT) | instid1(VALU_DEP_1)
	v_add_nc_u32_e32 v64, v64, v62
	v_not_b32_e32 v65, v64
	v_lshl_add_u32 v66, v64, 2, v24
	v_add_nc_u32_e32 v67, 1, v64
	s_delay_alu instid0(VALU_DEP_3)
	v_lshl_add_u32 v65, v65, 2, v56
	ds_load_b32 v66, v66
	ds_load_b32 v65, v65
	s_wait_dscnt 0x0
	v_cmp_lt_i32_e64 s7, v65, v66
	s_wait_alu 0xf1ff
	s_delay_alu instid0(VALU_DEP_1) | instskip(SKIP_1) | instid1(VALU_DEP_1)
	v_cndmask_b32_e64 v63, v63, v64, s7
	v_cndmask_b32_e64 v62, v67, v62, s7
	v_cmp_ge_i32_e64 s7, v62, v63
	s_or_b32 s9, s7, s9
	s_delay_alu instid0(SALU_CYCLE_1)
	s_and_not1_b32 exec_lo, exec_lo, s9
	s_cbranch_execnz .LBB22_20
; %bb.21:                               ;   in Loop: Header=BB22_2 Depth=1
	s_or_b32 exec_lo, exec_lo, s9
.LBB22_22:                              ;   in Loop: Header=BB22_2 Depth=1
	s_delay_alu instid0(SALU_CYCLE_1) | instskip(SKIP_3) | instid1(VALU_DEP_3)
	s_or_b32 exec_lo, exec_lo, s8
	v_sub_nc_u32_e32 v65, v26, v62
	v_lshl_add_u32 v68, v62, 2, v24
	v_add_nc_u32_e32 v66, v62, v11
                                        ; implicit-def: $vgpr62
	v_lshlrev_b32_e32 v67, 2, v65
	v_cmp_gt_i32_e64 s9, v14, v65
	s_delay_alu instid0(VALU_DEP_3)
	v_cmp_le_i32_e64 s7, v13, v66
	ds_load_b32 v63, v68
	ds_load_b32 v64, v67
	s_wait_dscnt 0x0
	v_cmp_lt_i32_e64 s8, v64, v63
	s_or_b32 s7, s7, s8
	s_wait_alu 0xfffe
	s_and_b32 s7, s9, s7
	s_wait_alu 0xfffe
	s_xor_b32 s8, s7, -1
	s_delay_alu instid0(SALU_CYCLE_1) | instskip(NEXT) | instid1(SALU_CYCLE_1)
	s_and_saveexec_b32 s9, s8
	s_xor_b32 s8, exec_lo, s9
; %bb.23:                               ;   in Loop: Header=BB22_2 Depth=1
	ds_load_b32 v62, v68 offset:4
                                        ; implicit-def: $vgpr67
; %bb.24:                               ;   in Loop: Header=BB22_2 Depth=1
	s_or_saveexec_b32 s8, s8
	v_mov_b32_e32 v68, v64
	s_xor_b32 exec_lo, exec_lo, s8
	s_cbranch_execz .LBB22_26
; %bb.25:                               ;   in Loop: Header=BB22_2 Depth=1
	ds_load_b32 v68, v67 offset:4
	s_wait_dscnt 0x1
	v_mov_b32_e32 v62, v63
.LBB22_26:                              ;   in Loop: Header=BB22_2 Depth=1
	s_or_b32 exec_lo, exec_lo, s8
	v_add_nc_u32_e32 v67, 1, v66
	v_add_nc_u32_e32 v69, 1, v65
	s_wait_dscnt 0x0
	v_cmp_lt_i32_e64 s8, v68, v62
	v_cndmask_b32_e64 v63, v63, v64, s7
	s_wait_loadcnt 0x0
	v_cndmask_b32_e64 v66, v67, v66, s7
	v_cndmask_b32_e64 v65, v65, v69, s7
	s_barrier_signal -1
	s_barrier_wait -1
	global_inv scope:SCOPE_SE
	v_cmp_ge_i32_e64 s9, v66, v13
	v_cmp_lt_i32_e64 s10, v65, v14
	s_or_b32 s7, s9, s8
	s_wait_alu 0xfffe
	s_and_b32 s7, s10, s7
	s_wait_alu 0xfffe
	v_cndmask_b32_e64 v64, v62, v68, s7
	v_mov_b32_e32 v62, v29
	ds_store_2addr_b32 v5, v63, v64 offset1:1
	s_wait_loadcnt_dscnt 0x0
	s_barrier_signal -1
	s_barrier_wait -1
	global_inv scope:SCOPE_SE
	s_and_saveexec_b32 s8, s2
	s_cbranch_execz .LBB22_30
; %bb.27:                               ;   in Loop: Header=BB22_2 Depth=1
	v_dual_mov_b32 v62, v29 :: v_dual_mov_b32 v63, v30
	s_mov_b32 s9, 0
.LBB22_28:                              ;   Parent Loop BB22_2 Depth=1
                                        ; =>  This Inner Loop Header: Depth=2
	s_delay_alu instid0(VALU_DEP_1) | instskip(NEXT) | instid1(VALU_DEP_1)
	v_sub_nc_u32_e32 v64, v63, v62
	v_lshrrev_b32_e32 v64, 1, v64
	s_delay_alu instid0(VALU_DEP_1) | instskip(NEXT) | instid1(VALU_DEP_1)
	v_add_nc_u32_e32 v64, v64, v62
	v_not_b32_e32 v65, v64
	v_lshl_add_u32 v66, v64, 2, v31
	v_add_nc_u32_e32 v67, 1, v64
	s_delay_alu instid0(VALU_DEP_3)
	v_lshl_add_u32 v65, v65, 2, v57
	ds_load_b32 v66, v66
	ds_load_b32 v65, v65
	s_wait_dscnt 0x0
	v_cmp_lt_i32_e64 s7, v65, v66
	s_wait_alu 0xf1ff
	s_delay_alu instid0(VALU_DEP_1) | instskip(SKIP_1) | instid1(VALU_DEP_1)
	v_cndmask_b32_e64 v63, v63, v64, s7
	v_cndmask_b32_e64 v62, v67, v62, s7
	v_cmp_ge_i32_e64 s7, v62, v63
	s_or_b32 s9, s7, s9
	s_delay_alu instid0(SALU_CYCLE_1)
	s_and_not1_b32 exec_lo, exec_lo, s9
	s_cbranch_execnz .LBB22_28
; %bb.29:                               ;   in Loop: Header=BB22_2 Depth=1
	s_or_b32 exec_lo, exec_lo, s9
.LBB22_30:                              ;   in Loop: Header=BB22_2 Depth=1
	s_delay_alu instid0(SALU_CYCLE_1) | instskip(SKIP_3) | instid1(VALU_DEP_3)
	s_or_b32 exec_lo, exec_lo, s8
	v_sub_nc_u32_e32 v65, v33, v62
	v_lshl_add_u32 v68, v62, 2, v31
	v_add_nc_u32_e32 v66, v62, v18
                                        ; implicit-def: $vgpr62
	v_lshlrev_b32_e32 v67, 2, v65
	v_cmp_gt_i32_e64 s9, v21, v65
	s_delay_alu instid0(VALU_DEP_3)
	v_cmp_le_i32_e64 s7, v20, v66
	ds_load_b32 v63, v68
	ds_load_b32 v64, v67
	s_wait_dscnt 0x0
	v_cmp_lt_i32_e64 s8, v64, v63
	s_or_b32 s7, s7, s8
	s_wait_alu 0xfffe
	s_and_b32 s7, s9, s7
	s_wait_alu 0xfffe
	s_xor_b32 s8, s7, -1
	s_delay_alu instid0(SALU_CYCLE_1) | instskip(NEXT) | instid1(SALU_CYCLE_1)
	s_and_saveexec_b32 s9, s8
	s_xor_b32 s8, exec_lo, s9
; %bb.31:                               ;   in Loop: Header=BB22_2 Depth=1
	ds_load_b32 v62, v68 offset:4
                                        ; implicit-def: $vgpr67
; %bb.32:                               ;   in Loop: Header=BB22_2 Depth=1
	s_or_saveexec_b32 s8, s8
	v_mov_b32_e32 v68, v64
	s_xor_b32 exec_lo, exec_lo, s8
	s_cbranch_execz .LBB22_34
; %bb.33:                               ;   in Loop: Header=BB22_2 Depth=1
	ds_load_b32 v68, v67 offset:4
	s_wait_dscnt 0x1
	v_mov_b32_e32 v62, v63
.LBB22_34:                              ;   in Loop: Header=BB22_2 Depth=1
	s_or_b32 exec_lo, exec_lo, s8
	v_add_nc_u32_e32 v67, 1, v66
	v_add_nc_u32_e32 v69, 1, v65
	s_wait_dscnt 0x0
	v_cmp_lt_i32_e64 s8, v68, v62
	v_cndmask_b32_e64 v63, v63, v64, s7
	s_wait_loadcnt 0x0
	v_cndmask_b32_e64 v66, v67, v66, s7
	v_cndmask_b32_e64 v65, v65, v69, s7
	s_barrier_signal -1
	s_barrier_wait -1
	global_inv scope:SCOPE_SE
	v_cmp_ge_i32_e64 s9, v66, v20
	v_cmp_lt_i32_e64 s10, v65, v21
	s_or_b32 s7, s9, s8
	s_wait_alu 0xfffe
	s_and_b32 s7, s10, s7
	s_wait_alu 0xfffe
	v_cndmask_b32_e64 v64, v62, v68, s7
	v_mov_b32_e32 v62, v36
	ds_store_2addr_b32 v5, v63, v64 offset1:1
	s_wait_loadcnt_dscnt 0x0
	s_barrier_signal -1
	s_barrier_wait -1
	global_inv scope:SCOPE_SE
	s_and_saveexec_b32 s8, s3
	s_cbranch_execz .LBB22_38
; %bb.35:                               ;   in Loop: Header=BB22_2 Depth=1
	v_dual_mov_b32 v62, v36 :: v_dual_mov_b32 v63, v38
	s_mov_b32 s9, 0
.LBB22_36:                              ;   Parent Loop BB22_2 Depth=1
                                        ; =>  This Inner Loop Header: Depth=2
	s_delay_alu instid0(VALU_DEP_1) | instskip(NEXT) | instid1(VALU_DEP_1)
	v_sub_nc_u32_e32 v64, v63, v62
	v_lshrrev_b32_e32 v64, 1, v64
	s_delay_alu instid0(VALU_DEP_1) | instskip(NEXT) | instid1(VALU_DEP_1)
	v_add_nc_u32_e32 v64, v64, v62
	v_not_b32_e32 v65, v64
	v_lshl_add_u32 v66, v64, 2, v39
	v_add_nc_u32_e32 v67, 1, v64
	s_delay_alu instid0(VALU_DEP_3)
	v_lshl_add_u32 v65, v65, 2, v58
	ds_load_b32 v66, v66
	ds_load_b32 v65, v65
	s_wait_dscnt 0x0
	v_cmp_lt_i32_e64 s7, v65, v66
	s_wait_alu 0xf1ff
	s_delay_alu instid0(VALU_DEP_1) | instskip(SKIP_1) | instid1(VALU_DEP_1)
	v_cndmask_b32_e64 v63, v63, v64, s7
	v_cndmask_b32_e64 v62, v67, v62, s7
	v_cmp_ge_i32_e64 s7, v62, v63
	s_or_b32 s9, s7, s9
	s_delay_alu instid0(SALU_CYCLE_1)
	s_and_not1_b32 exec_lo, exec_lo, s9
	s_cbranch_execnz .LBB22_36
; %bb.37:                               ;   in Loop: Header=BB22_2 Depth=1
	s_or_b32 exec_lo, exec_lo, s9
.LBB22_38:                              ;   in Loop: Header=BB22_2 Depth=1
	s_delay_alu instid0(SALU_CYCLE_1) | instskip(SKIP_3) | instid1(VALU_DEP_3)
	s_or_b32 exec_lo, exec_lo, s8
	v_sub_nc_u32_e32 v65, v44, v62
	v_lshl_add_u32 v68, v62, 2, v39
	v_add_nc_u32_e32 v66, v62, v25
                                        ; implicit-def: $vgpr62
	v_lshlrev_b32_e32 v67, 2, v65
	v_cmp_gt_i32_e64 s9, v28, v65
	s_delay_alu instid0(VALU_DEP_3)
	v_cmp_le_i32_e64 s7, v27, v66
	ds_load_b32 v63, v68
	ds_load_b32 v64, v67
	s_wait_dscnt 0x0
	v_cmp_lt_i32_e64 s8, v64, v63
	s_or_b32 s7, s7, s8
	s_wait_alu 0xfffe
	s_and_b32 s7, s9, s7
	s_wait_alu 0xfffe
	s_xor_b32 s8, s7, -1
	s_delay_alu instid0(SALU_CYCLE_1) | instskip(NEXT) | instid1(SALU_CYCLE_1)
	s_and_saveexec_b32 s9, s8
	s_xor_b32 s8, exec_lo, s9
; %bb.39:                               ;   in Loop: Header=BB22_2 Depth=1
	ds_load_b32 v62, v68 offset:4
                                        ; implicit-def: $vgpr67
; %bb.40:                               ;   in Loop: Header=BB22_2 Depth=1
	s_or_saveexec_b32 s8, s8
	v_mov_b32_e32 v68, v64
	s_xor_b32 exec_lo, exec_lo, s8
	s_cbranch_execz .LBB22_42
; %bb.41:                               ;   in Loop: Header=BB22_2 Depth=1
	ds_load_b32 v68, v67 offset:4
	s_wait_dscnt 0x1
	v_mov_b32_e32 v62, v63
.LBB22_42:                              ;   in Loop: Header=BB22_2 Depth=1
	s_or_b32 exec_lo, exec_lo, s8
	v_add_nc_u32_e32 v67, 1, v66
	v_add_nc_u32_e32 v69, 1, v65
	s_wait_dscnt 0x0
	v_cmp_lt_i32_e64 s8, v68, v62
	v_cndmask_b32_e64 v63, v63, v64, s7
	s_wait_loadcnt 0x0
	v_cndmask_b32_e64 v66, v67, v66, s7
	v_cndmask_b32_e64 v65, v65, v69, s7
	s_barrier_signal -1
	s_barrier_wait -1
	global_inv scope:SCOPE_SE
	v_cmp_ge_i32_e64 s9, v66, v27
	v_cmp_lt_i32_e64 s10, v65, v28
	s_or_b32 s7, s9, s8
	s_wait_alu 0xfffe
	s_and_b32 s7, s10, s7
	s_wait_alu 0xfffe
	v_cndmask_b32_e64 v64, v62, v68, s7
	v_mov_b32_e32 v62, v42
	ds_store_2addr_b32 v5, v63, v64 offset1:1
	s_wait_loadcnt_dscnt 0x0
	s_barrier_signal -1
	s_barrier_wait -1
	global_inv scope:SCOPE_SE
	s_and_saveexec_b32 s8, s4
	s_cbranch_execz .LBB22_46
; %bb.43:                               ;   in Loop: Header=BB22_2 Depth=1
	v_dual_mov_b32 v62, v42 :: v_dual_mov_b32 v63, v43
	s_mov_b32 s9, 0
.LBB22_44:                              ;   Parent Loop BB22_2 Depth=1
                                        ; =>  This Inner Loop Header: Depth=2
	s_delay_alu instid0(VALU_DEP_1) | instskip(NEXT) | instid1(VALU_DEP_1)
	v_sub_nc_u32_e32 v64, v63, v62
	v_lshrrev_b32_e32 v64, 1, v64
	s_delay_alu instid0(VALU_DEP_1) | instskip(NEXT) | instid1(VALU_DEP_1)
	v_add_nc_u32_e32 v64, v64, v62
	v_not_b32_e32 v65, v64
	v_lshl_add_u32 v66, v64, 2, v45
	v_add_nc_u32_e32 v67, 1, v64
	s_delay_alu instid0(VALU_DEP_3)
	v_lshl_add_u32 v65, v65, 2, v59
	ds_load_b32 v66, v66
	ds_load_b32 v65, v65
	s_wait_dscnt 0x0
	v_cmp_lt_i32_e64 s7, v65, v66
	s_wait_alu 0xf1ff
	s_delay_alu instid0(VALU_DEP_1) | instskip(SKIP_1) | instid1(VALU_DEP_1)
	v_cndmask_b32_e64 v63, v63, v64, s7
	v_cndmask_b32_e64 v62, v67, v62, s7
	v_cmp_ge_i32_e64 s7, v62, v63
	s_or_b32 s9, s7, s9
	s_delay_alu instid0(SALU_CYCLE_1)
	s_and_not1_b32 exec_lo, exec_lo, s9
	s_cbranch_execnz .LBB22_44
; %bb.45:                               ;   in Loop: Header=BB22_2 Depth=1
	s_or_b32 exec_lo, exec_lo, s9
.LBB22_46:                              ;   in Loop: Header=BB22_2 Depth=1
	s_delay_alu instid0(SALU_CYCLE_1) | instskip(SKIP_3) | instid1(VALU_DEP_3)
	s_or_b32 exec_lo, exec_lo, s8
	v_sub_nc_u32_e32 v65, v48, v62
	v_lshl_add_u32 v68, v62, 2, v45
	v_add_nc_u32_e32 v66, v62, v32
                                        ; implicit-def: $vgpr62
	v_lshlrev_b32_e32 v67, 2, v65
	v_cmp_gt_i32_e64 s9, v35, v65
	s_delay_alu instid0(VALU_DEP_3)
	v_cmp_le_i32_e64 s7, v34, v66
	ds_load_b32 v63, v68
	ds_load_b32 v64, v67
	s_wait_dscnt 0x0
	v_cmp_lt_i32_e64 s8, v64, v63
	s_or_b32 s7, s7, s8
	s_wait_alu 0xfffe
	s_and_b32 s7, s9, s7
	s_wait_alu 0xfffe
	s_xor_b32 s8, s7, -1
	s_delay_alu instid0(SALU_CYCLE_1) | instskip(NEXT) | instid1(SALU_CYCLE_1)
	s_and_saveexec_b32 s9, s8
	s_xor_b32 s8, exec_lo, s9
; %bb.47:                               ;   in Loop: Header=BB22_2 Depth=1
	ds_load_b32 v62, v68 offset:4
                                        ; implicit-def: $vgpr67
; %bb.48:                               ;   in Loop: Header=BB22_2 Depth=1
	s_or_saveexec_b32 s8, s8
	v_mov_b32_e32 v68, v64
	s_xor_b32 exec_lo, exec_lo, s8
	s_cbranch_execz .LBB22_50
; %bb.49:                               ;   in Loop: Header=BB22_2 Depth=1
	ds_load_b32 v68, v67 offset:4
	s_wait_dscnt 0x1
	v_mov_b32_e32 v62, v63
.LBB22_50:                              ;   in Loop: Header=BB22_2 Depth=1
	s_or_b32 exec_lo, exec_lo, s8
	v_add_nc_u32_e32 v67, 1, v66
	v_add_nc_u32_e32 v69, 1, v65
	s_wait_dscnt 0x0
	v_cmp_lt_i32_e64 s8, v68, v62
	v_cndmask_b32_e64 v63, v63, v64, s7
	s_wait_loadcnt 0x0
	v_cndmask_b32_e64 v66, v67, v66, s7
	v_cndmask_b32_e64 v65, v65, v69, s7
	s_barrier_signal -1
	s_barrier_wait -1
	global_inv scope:SCOPE_SE
	v_cmp_ge_i32_e64 s9, v66, v34
	v_cmp_lt_i32_e64 s10, v65, v35
	s_or_b32 s7, s9, s8
	s_wait_alu 0xfffe
	s_and_b32 s7, s10, s7
	s_wait_alu 0xfffe
	v_cndmask_b32_e64 v64, v62, v68, s7
	v_mov_b32_e32 v62, v46
	ds_store_2addr_b32 v5, v63, v64 offset1:1
	s_wait_loadcnt_dscnt 0x0
	s_barrier_signal -1
	s_barrier_wait -1
	global_inv scope:SCOPE_SE
	s_and_saveexec_b32 s8, s5
	s_cbranch_execz .LBB22_54
; %bb.51:                               ;   in Loop: Header=BB22_2 Depth=1
	v_dual_mov_b32 v62, v46 :: v_dual_mov_b32 v63, v47
	s_mov_b32 s9, 0
.LBB22_52:                              ;   Parent Loop BB22_2 Depth=1
                                        ; =>  This Inner Loop Header: Depth=2
	s_delay_alu instid0(VALU_DEP_1) | instskip(NEXT) | instid1(VALU_DEP_1)
	v_sub_nc_u32_e32 v64, v63, v62
	v_lshrrev_b32_e32 v64, 1, v64
	s_delay_alu instid0(VALU_DEP_1) | instskip(NEXT) | instid1(VALU_DEP_1)
	v_add_nc_u32_e32 v64, v64, v62
	v_not_b32_e32 v65, v64
	v_lshl_add_u32 v66, v64, 2, v49
	v_add_nc_u32_e32 v67, 1, v64
	s_delay_alu instid0(VALU_DEP_3)
	v_lshl_add_u32 v65, v65, 2, v60
	ds_load_b32 v66, v66
	ds_load_b32 v65, v65
	s_wait_dscnt 0x0
	v_cmp_lt_i32_e64 s7, v65, v66
	s_wait_alu 0xf1ff
	s_delay_alu instid0(VALU_DEP_1) | instskip(SKIP_1) | instid1(VALU_DEP_1)
	v_cndmask_b32_e64 v63, v63, v64, s7
	v_cndmask_b32_e64 v62, v67, v62, s7
	v_cmp_ge_i32_e64 s7, v62, v63
	s_or_b32 s9, s7, s9
	s_delay_alu instid0(SALU_CYCLE_1)
	s_and_not1_b32 exec_lo, exec_lo, s9
	s_cbranch_execnz .LBB22_52
; %bb.53:                               ;   in Loop: Header=BB22_2 Depth=1
	s_or_b32 exec_lo, exec_lo, s9
.LBB22_54:                              ;   in Loop: Header=BB22_2 Depth=1
	s_delay_alu instid0(SALU_CYCLE_1) | instskip(SKIP_3) | instid1(VALU_DEP_3)
	s_or_b32 exec_lo, exec_lo, s8
	v_sub_nc_u32_e32 v65, v52, v62
	v_lshl_add_u32 v68, v62, 2, v49
	v_add_nc_u32_e32 v66, v62, v37
                                        ; implicit-def: $vgpr62
	v_lshlrev_b32_e32 v67, 2, v65
	v_cmp_gt_i32_e64 s9, v41, v65
	s_delay_alu instid0(VALU_DEP_3)
	v_cmp_le_i32_e64 s7, v40, v66
	ds_load_b32 v63, v68
	ds_load_b32 v64, v67
	s_wait_dscnt 0x0
	v_cmp_lt_i32_e64 s8, v64, v63
	s_or_b32 s7, s7, s8
	s_wait_alu 0xfffe
	s_and_b32 s7, s9, s7
	s_wait_alu 0xfffe
	s_xor_b32 s8, s7, -1
	s_delay_alu instid0(SALU_CYCLE_1) | instskip(NEXT) | instid1(SALU_CYCLE_1)
	s_and_saveexec_b32 s9, s8
	s_xor_b32 s8, exec_lo, s9
; %bb.55:                               ;   in Loop: Header=BB22_2 Depth=1
	ds_load_b32 v62, v68 offset:4
                                        ; implicit-def: $vgpr67
; %bb.56:                               ;   in Loop: Header=BB22_2 Depth=1
	s_or_saveexec_b32 s8, s8
	v_mov_b32_e32 v68, v64
	s_xor_b32 exec_lo, exec_lo, s8
	s_cbranch_execz .LBB22_58
; %bb.57:                               ;   in Loop: Header=BB22_2 Depth=1
	ds_load_b32 v68, v67 offset:4
	s_wait_dscnt 0x1
	v_mov_b32_e32 v62, v63
.LBB22_58:                              ;   in Loop: Header=BB22_2 Depth=1
	s_or_b32 exec_lo, exec_lo, s8
	v_add_nc_u32_e32 v67, 1, v66
	v_add_nc_u32_e32 v69, 1, v65
	s_wait_dscnt 0x0
	v_cmp_lt_i32_e64 s8, v68, v62
	v_cndmask_b32_e64 v63, v63, v64, s7
	s_wait_loadcnt 0x0
	v_cndmask_b32_e64 v66, v67, v66, s7
	v_cndmask_b32_e64 v65, v65, v69, s7
	s_barrier_signal -1
	s_barrier_wait -1
	global_inv scope:SCOPE_SE
	v_cmp_ge_i32_e64 s9, v66, v40
	v_cmp_lt_i32_e64 s10, v65, v41
	s_or_b32 s7, s9, s8
	s_wait_alu 0xfffe
	s_and_b32 s7, s10, s7
	s_wait_alu 0xfffe
	v_cndmask_b32_e64 v64, v62, v68, s7
	v_mov_b32_e32 v62, v50
	ds_store_2addr_b32 v5, v63, v64 offset1:1
	s_wait_loadcnt_dscnt 0x0
	s_barrier_signal -1
	s_barrier_wait -1
	global_inv scope:SCOPE_SE
	s_and_saveexec_b32 s8, s6
	s_cbranch_execz .LBB22_62
; %bb.59:                               ;   in Loop: Header=BB22_2 Depth=1
	v_dual_mov_b32 v62, v50 :: v_dual_mov_b32 v63, v51
	s_mov_b32 s9, 0
.LBB22_60:                              ;   Parent Loop BB22_2 Depth=1
                                        ; =>  This Inner Loop Header: Depth=2
	s_delay_alu instid0(VALU_DEP_1) | instskip(NEXT) | instid1(VALU_DEP_1)
	v_sub_nc_u32_e32 v64, v63, v62
	v_lshrrev_b32_e32 v64, 1, v64
	s_delay_alu instid0(VALU_DEP_1) | instskip(NEXT) | instid1(VALU_DEP_1)
	v_add_nc_u32_e32 v64, v64, v62
	v_not_b32_e32 v65, v64
	v_lshlrev_b32_e32 v66, 2, v64
	v_add_nc_u32_e32 v67, 1, v64
	s_delay_alu instid0(VALU_DEP_3)
	v_lshl_add_u32 v65, v65, 2, v61
	ds_load_b32 v66, v66
	ds_load_b32 v65, v65
	s_wait_dscnt 0x0
	v_cmp_lt_i32_e64 s7, v65, v66
	s_wait_alu 0xf1ff
	s_delay_alu instid0(VALU_DEP_1) | instskip(SKIP_1) | instid1(VALU_DEP_1)
	v_cndmask_b32_e64 v63, v63, v64, s7
	v_cndmask_b32_e64 v62, v67, v62, s7
	v_cmp_ge_i32_e64 s7, v62, v63
	s_or_b32 s9, s7, s9
	s_delay_alu instid0(SALU_CYCLE_1)
	s_and_not1_b32 exec_lo, exec_lo, s9
	s_cbranch_execnz .LBB22_60
; %bb.61:                               ;   in Loop: Header=BB22_2 Depth=1
	s_or_b32 exec_lo, exec_lo, s9
.LBB22_62:                              ;   in Loop: Header=BB22_2 Depth=1
	s_delay_alu instid0(SALU_CYCLE_1) | instskip(SKIP_3) | instid1(VALU_DEP_3)
	s_or_b32 exec_lo, exec_lo, s8
	v_sub_nc_u32_e32 v63, v53, v62
	v_lshlrev_b32_e32 v68, 2, v62
	v_cmp_le_i32_e64 s7, 0x100, v62
                                        ; implicit-def: $vgpr66
	v_lshlrev_b32_e32 v67, 2, v63
	v_cmp_gt_i32_e64 s9, 0x200, v63
	ds_load_b32 v64, v68
	ds_load_b32 v65, v67
	s_wait_dscnt 0x0
	v_cmp_lt_i32_e64 s8, v65, v64
	s_or_b32 s7, s7, s8
	s_wait_alu 0xfffe
	s_and_b32 s7, s9, s7
	s_wait_alu 0xfffe
	s_xor_b32 s8, s7, -1
	s_delay_alu instid0(SALU_CYCLE_1) | instskip(NEXT) | instid1(SALU_CYCLE_1)
	s_and_saveexec_b32 s9, s8
	s_xor_b32 s8, exec_lo, s9
; %bb.63:                               ;   in Loop: Header=BB22_2 Depth=1
	ds_load_b32 v66, v68 offset:4
	v_add_nc_u32_e32 v62, 1, v62
                                        ; implicit-def: $vgpr67
; %bb.64:                               ;   in Loop: Header=BB22_2 Depth=1
	s_or_saveexec_b32 s8, s8
	v_mov_b32_e32 v68, v65
	s_xor_b32 exec_lo, exec_lo, s8
	s_cbranch_execz .LBB22_1
; %bb.65:                               ;   in Loop: Header=BB22_2 Depth=1
	ds_load_b32 v68, v67 offset:4
	s_wait_dscnt 0x1
	v_dual_mov_b32 v66, v64 :: v_dual_add_nc_u32 v63, 1, v63
	s_branch .LBB22_1
.LBB22_66:
	v_lshlrev_b32_e32 v0, 2, v0
	s_add_nc_u64 s[0:1], s[14:15], s[16:17]
	s_clause 0x1
	global_store_b32 v0, v62, s[0:1]
	global_store_b32 v0, v63, s[0:1] offset:1024
	s_endpgm
	.section	.rodata,"a",@progbits
	.p2align	6, 0x0
	.amdhsa_kernel _Z16sort_keys_kernelIiLj256ELj2EN10test_utils4lessELj10EEvPKT_PS2_T2_
		.amdhsa_group_segment_fixed_size 2052
		.amdhsa_private_segment_fixed_size 0
		.amdhsa_kernarg_size 20
		.amdhsa_user_sgpr_count 2
		.amdhsa_user_sgpr_dispatch_ptr 0
		.amdhsa_user_sgpr_queue_ptr 0
		.amdhsa_user_sgpr_kernarg_segment_ptr 1
		.amdhsa_user_sgpr_dispatch_id 0
		.amdhsa_user_sgpr_private_segment_size 0
		.amdhsa_wavefront_size32 1
		.amdhsa_uses_dynamic_stack 0
		.amdhsa_enable_private_segment 0
		.amdhsa_system_sgpr_workgroup_id_x 1
		.amdhsa_system_sgpr_workgroup_id_y 0
		.amdhsa_system_sgpr_workgroup_id_z 0
		.amdhsa_system_sgpr_workgroup_info 0
		.amdhsa_system_vgpr_workitem_id 0
		.amdhsa_next_free_vgpr 70
		.amdhsa_next_free_sgpr 18
		.amdhsa_reserve_vcc 1
		.amdhsa_float_round_mode_32 0
		.amdhsa_float_round_mode_16_64 0
		.amdhsa_float_denorm_mode_32 3
		.amdhsa_float_denorm_mode_16_64 3
		.amdhsa_fp16_overflow 0
		.amdhsa_workgroup_processor_mode 1
		.amdhsa_memory_ordered 1
		.amdhsa_forward_progress 1
		.amdhsa_inst_pref_size 34
		.amdhsa_round_robin_scheduling 0
		.amdhsa_exception_fp_ieee_invalid_op 0
		.amdhsa_exception_fp_denorm_src 0
		.amdhsa_exception_fp_ieee_div_zero 0
		.amdhsa_exception_fp_ieee_overflow 0
		.amdhsa_exception_fp_ieee_underflow 0
		.amdhsa_exception_fp_ieee_inexact 0
		.amdhsa_exception_int_div_zero 0
	.end_amdhsa_kernel
	.section	.text._Z16sort_keys_kernelIiLj256ELj2EN10test_utils4lessELj10EEvPKT_PS2_T2_,"axG",@progbits,_Z16sort_keys_kernelIiLj256ELj2EN10test_utils4lessELj10EEvPKT_PS2_T2_,comdat
.Lfunc_end22:
	.size	_Z16sort_keys_kernelIiLj256ELj2EN10test_utils4lessELj10EEvPKT_PS2_T2_, .Lfunc_end22-_Z16sort_keys_kernelIiLj256ELj2EN10test_utils4lessELj10EEvPKT_PS2_T2_
                                        ; -- End function
	.set _Z16sort_keys_kernelIiLj256ELj2EN10test_utils4lessELj10EEvPKT_PS2_T2_.num_vgpr, 70
	.set _Z16sort_keys_kernelIiLj256ELj2EN10test_utils4lessELj10EEvPKT_PS2_T2_.num_agpr, 0
	.set _Z16sort_keys_kernelIiLj256ELj2EN10test_utils4lessELj10EEvPKT_PS2_T2_.numbered_sgpr, 18
	.set _Z16sort_keys_kernelIiLj256ELj2EN10test_utils4lessELj10EEvPKT_PS2_T2_.num_named_barrier, 0
	.set _Z16sort_keys_kernelIiLj256ELj2EN10test_utils4lessELj10EEvPKT_PS2_T2_.private_seg_size, 0
	.set _Z16sort_keys_kernelIiLj256ELj2EN10test_utils4lessELj10EEvPKT_PS2_T2_.uses_vcc, 1
	.set _Z16sort_keys_kernelIiLj256ELj2EN10test_utils4lessELj10EEvPKT_PS2_T2_.uses_flat_scratch, 0
	.set _Z16sort_keys_kernelIiLj256ELj2EN10test_utils4lessELj10EEvPKT_PS2_T2_.has_dyn_sized_stack, 0
	.set _Z16sort_keys_kernelIiLj256ELj2EN10test_utils4lessELj10EEvPKT_PS2_T2_.has_recursion, 0
	.set _Z16sort_keys_kernelIiLj256ELj2EN10test_utils4lessELj10EEvPKT_PS2_T2_.has_indirect_call, 0
	.section	.AMDGPU.csdata,"",@progbits
; Kernel info:
; codeLenInByte = 4316
; TotalNumSgprs: 20
; NumVgprs: 70
; ScratchSize: 0
; MemoryBound: 0
; FloatMode: 240
; IeeeMode: 1
; LDSByteSize: 2052 bytes/workgroup (compile time only)
; SGPRBlocks: 0
; VGPRBlocks: 8
; NumSGPRsForWavesPerEU: 20
; NumVGPRsForWavesPerEU: 70
; Occupancy: 16
; WaveLimiterHint : 1
; COMPUTE_PGM_RSRC2:SCRATCH_EN: 0
; COMPUTE_PGM_RSRC2:USER_SGPR: 2
; COMPUTE_PGM_RSRC2:TRAP_HANDLER: 0
; COMPUTE_PGM_RSRC2:TGID_X_EN: 1
; COMPUTE_PGM_RSRC2:TGID_Y_EN: 0
; COMPUTE_PGM_RSRC2:TGID_Z_EN: 0
; COMPUTE_PGM_RSRC2:TIDIG_COMP_CNT: 0
	.section	.text._Z17sort_pairs_kernelIiLj256ELj2EN10test_utils4lessELj10EEvPKT_PS2_T2_,"axG",@progbits,_Z17sort_pairs_kernelIiLj256ELj2EN10test_utils4lessELj10EEvPKT_PS2_T2_,comdat
	.protected	_Z17sort_pairs_kernelIiLj256ELj2EN10test_utils4lessELj10EEvPKT_PS2_T2_ ; -- Begin function _Z17sort_pairs_kernelIiLj256ELj2EN10test_utils4lessELj10EEvPKT_PS2_T2_
	.globl	_Z17sort_pairs_kernelIiLj256ELj2EN10test_utils4lessELj10EEvPKT_PS2_T2_
	.p2align	8
	.type	_Z17sort_pairs_kernelIiLj256ELj2EN10test_utils4lessELj10EEvPKT_PS2_T2_,@function
_Z17sort_pairs_kernelIiLj256ELj2EN10test_utils4lessELj10EEvPKT_PS2_T2_: ; @_Z17sort_pairs_kernelIiLj256ELj2EN10test_utils4lessELj10EEvPKT_PS2_T2_
; %bb.0:
	s_load_b128 s[12:15], s[0:1], 0x0
	s_lshl_b32 s18, ttmp9, 9
	s_mov_b32 s19, 0
	v_lshlrev_b32_e32 v1, 2, v0
	s_lshl_b64 s[16:17], s[18:19], 2
	v_lshlrev_b32_e32 v11, 1, v0
	s_delay_alu instid0(VALU_DEP_1)
	v_and_b32_e32 v2, 0x1fc, v11
	v_and_b32_e32 v3, 0x1f8, v11
	;; [unrolled: 1-line block ×5, first 2 shown]
	v_or_b32_e32 v12, 2, v2
	v_add_nc_u32_e32 v13, 4, v2
	v_or_b32_e32 v15, 4, v3
	v_add_nc_u32_e32 v16, 8, v3
	v_and_b32_e32 v5, 0x1e0, v11
	s_wait_kmcnt 0x0
	s_add_nc_u64 s[0:1], s[12:13], s[16:17]
	v_sub_nc_u32_e32 v61, v13, v12
	s_clause 0x1
	global_load_b32 v63, v1, s[0:1]
	global_load_b32 v62, v1, s[0:1] offset:1024
	v_or_b32_e32 v18, 8, v4
	v_add_nc_u32_e32 v19, 16, v4
	v_sub_nc_u32_e32 v47, v12, v2
	v_sub_nc_u32_e32 v64, v16, v15
	;; [unrolled: 1-line block ×3, first 2 shown]
	v_cmp_ge_i32_e64 s0, v54, v61
	v_and_b32_e32 v56, 14, v11
	v_and_b32_e32 v6, 0x1c0, v11
	v_or_b32_e32 v21, 16, v5
	v_add_nc_u32_e32 v22, 32, v5
	v_lshlrev_b32_e32 v40, 2, v54
	v_add_nc_u32_e32 v33, v12, v54
	v_sub_nc_u32_e32 v48, v15, v3
	v_sub_nc_u32_e32 v65, v19, v18
	v_min_i32_e32 v47, v54, v47
	v_sub_nc_u32_e32 v71, v55, v64
	v_cndmask_b32_e64 v54, 0, v70, s0
	v_cmp_ge_i32_e64 s0, v55, v64
	v_and_b32_e32 v57, 30, v11
	v_and_b32_e32 v7, 0x180, v11
	v_or_b32_e32 v24, 32, v6
	v_add_nc_u32_e32 v25, 64, v6
	v_lshlrev_b32_e32 v41, 2, v55
	v_add_nc_u32_e32 v34, v15, v55
	v_sub_nc_u32_e32 v49, v18, v4
	v_sub_nc_u32_e32 v66, v22, v21
	v_min_i32_e32 v48, v55, v48
	v_sub_nc_u32_e32 v72, v56, v65
	s_wait_alu 0xf1ff
	v_cndmask_b32_e64 v55, 0, v71, s0
	v_cmp_ge_i32_e64 s0, v56, v65
	v_and_b32_e32 v58, 62, v11
	v_and_b32_e32 v8, 0x100, v11
	v_or_b32_e32 v27, 64, v7
	v_add_nc_u32_e32 v28, 0x80, v7
	v_lshlrev_b32_e32 v42, 2, v56
	v_add_nc_u32_e32 v35, v18, v56
	v_sub_nc_u32_e32 v50, v21, v5
	v_sub_nc_u32_e32 v67, v25, v24
	v_min_i32_e32 v49, v56, v49
	v_sub_nc_u32_e32 v73, v57, v66
	s_wait_alu 0xf1ff
	v_cndmask_b32_e64 v56, 0, v72, s0
	v_cmp_ge_i32_e64 s0, v57, v66
	v_and_b32_e32 v59, 0x7e, v11
	v_or_b32_e32 v30, 0x80, v8
	v_add_nc_u32_e32 v31, 0x100, v8
	v_lshlrev_b32_e32 v43, 2, v57
	v_add_nc_u32_e32 v36, v21, v57
	v_sub_nc_u32_e32 v51, v24, v6
	v_sub_nc_u32_e32 v68, v28, v27
	v_min_i32_e32 v50, v57, v50
	v_sub_nc_u32_e32 v74, v58, v67
	s_wait_alu 0xf1ff
	v_cndmask_b32_e64 v57, 0, v73, s0
	v_cmp_ge_i32_e64 s0, v58, v67
	v_and_b32_e32 v60, 0xfe, v11
	v_lshlrev_b32_e32 v44, 2, v58
	v_add_nc_u32_e32 v37, v24, v58
	v_sub_nc_u32_e32 v52, v27, v7
	v_sub_nc_u32_e32 v69, v31, v30
	v_min_i32_e32 v51, v58, v51
	v_sub_nc_u32_e32 v75, v59, v68
	s_wait_alu 0xf1ff
	v_cndmask_b32_e64 v58, 0, v74, s0
	v_cmp_ge_i32_e64 s0, v59, v68
	v_lshlrev_b32_e32 v45, 2, v59
	v_add_nc_u32_e32 v38, v27, v59
	v_sub_nc_u32_e32 v53, v30, v8
	v_min_i32_e32 v52, v59, v52
	v_sub_nc_u32_e32 v76, v60, v69
	s_wait_alu 0xf1ff
	v_cndmask_b32_e64 v59, 0, v75, s0
	v_cmp_ge_i32_e64 s0, v60, v69
	v_lshlrev_b32_e32 v1, 3, v0
	v_lshlrev_b32_e32 v46, 2, v60
	v_add_nc_u32_e32 v39, v30, v60
	v_min_i32_e32 v53, v60, v53
	s_wait_alu 0xf1ff
	v_cndmask_b32_e64 v60, 0, v76, s0
	v_subrev_nc_u32_e64 v9, 0x100, v11 clamp
	v_min_i32_e32 v10, 0x100, v11
	v_add_nc_u32_e32 v11, 0x100, v11
	v_lshlrev_b32_e32 v14, 2, v2
	v_lshlrev_b32_e32 v17, 2, v3
	;; [unrolled: 1-line block ×7, first 2 shown]
	v_lshl_add_u32 v40, v12, 2, v40
	v_lshl_add_u32 v41, v15, 2, v41
	;; [unrolled: 1-line block ×7, first 2 shown]
	v_cmp_lt_i32_e64 s0, v54, v47
	v_cmp_lt_i32_e64 s1, v55, v48
	;; [unrolled: 1-line block ×7, first 2 shown]
	v_add_nc_u32_e32 v61, 0x400, v1
	v_cmp_lt_i32_e32 vcc_lo, v9, v10
	s_wait_loadcnt 0x1
	v_add_nc_u32_e32 v65, 1, v63
	s_wait_loadcnt 0x0
	v_add_nc_u32_e32 v64, 1, v62
	s_branch .LBB23_2
.LBB23_1:                               ;   in Loop: Header=BB23_2 Depth=1
	s_or_b32 exec_lo, exec_lo, s8
	s_delay_alu instid0(VALU_DEP_2)
	v_cmp_le_i32_e64 s8, 0x100, v68
	s_wait_dscnt 0x0
	v_cmp_lt_i32_e64 s9, v72, v69
	v_cmp_gt_i32_e64 s10, 0x200, v65
	s_wait_loadcnt 0x0
	s_barrier_signal -1
	s_barrier_wait -1
	s_or_b32 s8, s8, s9
	global_inv scope:SCOPE_SE
	s_wait_alu 0xfffe
	s_and_b32 s8, s10, s8
	ds_store_2addr_b32 v1, v63, v64 offset1:1
	s_wait_alu 0xfffe
	v_cndmask_b32_e64 v65, v68, v65, s8
	v_lshlrev_b32_e32 v63, 2, v70
	s_wait_loadcnt_dscnt 0x0
	s_barrier_signal -1
	s_barrier_wait -1
	v_lshlrev_b32_e32 v64, 2, v65
	global_inv scope:SCOPE_SE
	v_cndmask_b32_e64 v62, v69, v72, s8
	ds_load_b32 v65, v63
	ds_load_b32 v64, v64
	v_cndmask_b32_e64 v63, v66, v67, s7
	s_add_co_i32 s19, s19, 1
	s_delay_alu instid0(SALU_CYCLE_1)
	s_cmp_eq_u32 s19, 10
	s_cbranch_scc1 .LBB23_66
.LBB23_2:                               ; =>This Loop Header: Depth=1
                                        ;     Child Loop BB23_4 Depth 2
                                        ;     Child Loop BB23_12 Depth 2
	;; [unrolled: 1-line block ×8, first 2 shown]
	s_delay_alu instid0(VALU_DEP_1)
	v_cmp_lt_i32_e64 s7, v62, v63
	s_barrier_signal -1
	s_barrier_wait -1
	global_inv scope:SCOPE_SE
	s_wait_alu 0xf1ff
	v_cndmask_b32_e64 v66, v62, v63, s7
	v_cndmask_b32_e64 v63, v63, v62, s7
	v_mov_b32_e32 v62, v54
	ds_store_2addr_b32 v1, v63, v66 offset1:1
	s_wait_loadcnt_dscnt 0x0
	s_barrier_signal -1
	s_barrier_wait -1
	global_inv scope:SCOPE_SE
	s_and_saveexec_b32 s9, s0
	s_cbranch_execz .LBB23_6
; %bb.3:                                ;   in Loop: Header=BB23_2 Depth=1
	v_dual_mov_b32 v62, v54 :: v_dual_mov_b32 v63, v47
	s_mov_b32 s10, 0
.LBB23_4:                               ;   Parent Loop BB23_2 Depth=1
                                        ; =>  This Inner Loop Header: Depth=2
	s_delay_alu instid0(VALU_DEP_1) | instskip(NEXT) | instid1(VALU_DEP_1)
	v_sub_nc_u32_e32 v66, v63, v62
	v_lshrrev_b32_e32 v66, 1, v66
	s_delay_alu instid0(VALU_DEP_1) | instskip(NEXT) | instid1(VALU_DEP_1)
	v_add_nc_u32_e32 v66, v66, v62
	v_not_b32_e32 v67, v66
	v_lshl_add_u32 v68, v66, 2, v14
	v_add_nc_u32_e32 v69, 1, v66
	s_delay_alu instid0(VALU_DEP_3)
	v_lshl_add_u32 v67, v67, 2, v40
	ds_load_b32 v68, v68
	ds_load_b32 v67, v67
	s_wait_dscnt 0x0
	v_cmp_lt_i32_e64 s8, v67, v68
	s_wait_alu 0xf1ff
	s_delay_alu instid0(VALU_DEP_1) | instskip(SKIP_1) | instid1(VALU_DEP_1)
	v_cndmask_b32_e64 v63, v63, v66, s8
	v_cndmask_b32_e64 v62, v69, v62, s8
	v_cmp_ge_i32_e64 s8, v62, v63
	s_or_b32 s10, s8, s10
	s_delay_alu instid0(SALU_CYCLE_1)
	s_and_not1_b32 exec_lo, exec_lo, s10
	s_cbranch_execnz .LBB23_4
; %bb.5:                                ;   in Loop: Header=BB23_2 Depth=1
	s_or_b32 exec_lo, exec_lo, s10
.LBB23_6:                               ;   in Loop: Header=BB23_2 Depth=1
	s_wait_alu 0xfffe
	s_or_b32 exec_lo, exec_lo, s9
	v_sub_nc_u32_e32 v63, v33, v62
	v_lshl_add_u32 v69, v62, 2, v14
	v_add_nc_u32_e32 v68, v62, v2
                                        ; implicit-def: $vgpr62
	s_delay_alu instid0(VALU_DEP_3) | instskip(SKIP_1) | instid1(VALU_DEP_3)
	v_lshlrev_b32_e32 v70, 2, v63
	v_cmp_gt_i32_e64 s10, v13, v63
	v_cmp_le_i32_e64 s8, v12, v68
	ds_load_b32 v66, v69
	ds_load_b32 v67, v70
	s_wait_dscnt 0x0
	v_cmp_lt_i32_e64 s9, v67, v66
	s_or_b32 s8, s8, s9
	s_wait_alu 0xfffe
	s_and_b32 s8, s10, s8
	s_wait_alu 0xfffe
	s_xor_b32 s9, s8, -1
	s_wait_alu 0xfffe
	s_and_saveexec_b32 s10, s9
	s_delay_alu instid0(SALU_CYCLE_1)
	s_xor_b32 s9, exec_lo, s10
; %bb.7:                                ;   in Loop: Header=BB23_2 Depth=1
	ds_load_b32 v62, v69 offset:4
                                        ; implicit-def: $vgpr70
; %bb.8:                                ;   in Loop: Header=BB23_2 Depth=1
	s_wait_alu 0xfffe
	s_or_saveexec_b32 s9, s9
	v_mov_b32_e32 v69, v67
	s_wait_alu 0xfffe
	s_xor_b32 exec_lo, exec_lo, s9
	s_cbranch_execz .LBB23_10
; %bb.9:                                ;   in Loop: Header=BB23_2 Depth=1
	ds_load_b32 v69, v70 offset:4
	s_wait_dscnt 0x1
	v_mov_b32_e32 v62, v66
.LBB23_10:                              ;   in Loop: Header=BB23_2 Depth=1
	s_or_b32 exec_lo, exec_lo, s9
	v_add_nc_u32_e32 v70, 1, v68
	v_add_nc_u32_e32 v71, 1, v63
	s_wait_dscnt 0x0
	v_cmp_lt_i32_e64 s9, v69, v62
	s_wait_loadcnt 0x0
	s_barrier_signal -1
	v_cndmask_b32_e64 v70, v70, v68, s8
	v_cndmask_b32_e64 v71, v63, v71, s8
	;; [unrolled: 1-line block ×5, first 2 shown]
	v_cmp_ge_i32_e64 s10, v70, v12
	v_cmp_lt_i32_e64 s11, v71, v13
	v_lshlrev_b32_e32 v63, 2, v63
	s_barrier_wait -1
	global_inv scope:SCOPE_SE
	s_or_b32 s7, s10, s9
	ds_store_2addr_b32 v1, v64, v68 offset1:1
	s_wait_alu 0xfffe
	s_and_b32 s7, s11, s7
	s_wait_loadcnt_dscnt 0x0
	s_wait_alu 0xfffe
	v_cndmask_b32_e64 v65, v62, v69, s7
	v_cndmask_b32_e64 v62, v70, v71, s7
	s_barrier_signal -1
	s_barrier_wait -1
	global_inv scope:SCOPE_SE
	v_lshlrev_b32_e32 v64, 2, v62
	ds_load_b32 v62, v63
	ds_load_b32 v63, v64
	v_cndmask_b32_e64 v64, v66, v67, s8
	v_mov_b32_e32 v67, v55
	s_wait_loadcnt_dscnt 0x0
	s_barrier_signal -1
	s_barrier_wait -1
	global_inv scope:SCOPE_SE
	ds_store_2addr_b32 v1, v64, v65 offset1:1
	s_wait_loadcnt_dscnt 0x0
	s_barrier_signal -1
	s_barrier_wait -1
	global_inv scope:SCOPE_SE
	s_and_saveexec_b32 s8, s1
	s_cbranch_execz .LBB23_14
; %bb.11:                               ;   in Loop: Header=BB23_2 Depth=1
	v_dual_mov_b32 v67, v55 :: v_dual_mov_b32 v64, v48
	s_mov_b32 s9, 0
.LBB23_12:                              ;   Parent Loop BB23_2 Depth=1
                                        ; =>  This Inner Loop Header: Depth=2
	s_delay_alu instid0(VALU_DEP_1) | instskip(NEXT) | instid1(VALU_DEP_1)
	v_sub_nc_u32_e32 v65, v64, v67
	v_lshrrev_b32_e32 v65, 1, v65
	s_delay_alu instid0(VALU_DEP_1) | instskip(NEXT) | instid1(VALU_DEP_1)
	v_add_nc_u32_e32 v65, v65, v67
	v_not_b32_e32 v66, v65
	v_lshl_add_u32 v68, v65, 2, v17
	v_add_nc_u32_e32 v69, 1, v65
	s_delay_alu instid0(VALU_DEP_3)
	v_lshl_add_u32 v66, v66, 2, v41
	ds_load_b32 v68, v68
	ds_load_b32 v66, v66
	s_wait_dscnt 0x0
	v_cmp_lt_i32_e64 s7, v66, v68
	s_wait_alu 0xf1ff
	s_delay_alu instid0(VALU_DEP_1) | instskip(SKIP_1) | instid1(VALU_DEP_1)
	v_cndmask_b32_e64 v64, v64, v65, s7
	v_cndmask_b32_e64 v67, v69, v67, s7
	v_cmp_ge_i32_e64 s7, v67, v64
	s_wait_alu 0xfffe
	s_or_b32 s9, s7, s9
	s_wait_alu 0xfffe
	s_and_not1_b32 exec_lo, exec_lo, s9
	s_cbranch_execnz .LBB23_12
; %bb.13:                               ;   in Loop: Header=BB23_2 Depth=1
	s_or_b32 exec_lo, exec_lo, s9
.LBB23_14:                              ;   in Loop: Header=BB23_2 Depth=1
	s_wait_alu 0xfffe
	s_or_b32 exec_lo, exec_lo, s8
	v_sub_nc_u32_e32 v66, v34, v67
	v_lshl_add_u32 v69, v67, 2, v17
	v_add_nc_u32_e32 v67, v67, v3
                                        ; implicit-def: $vgpr68
	s_delay_alu instid0(VALU_DEP_3) | instskip(SKIP_1) | instid1(VALU_DEP_3)
	v_lshlrev_b32_e32 v70, 2, v66
	v_cmp_gt_i32_e64 s9, v16, v66
	v_cmp_le_i32_e64 s7, v15, v67
	ds_load_b32 v64, v69
	ds_load_b32 v65, v70
	s_wait_dscnt 0x0
	v_cmp_lt_i32_e64 s8, v65, v64
	s_or_b32 s7, s7, s8
	s_wait_alu 0xfffe
	s_and_b32 s7, s9, s7
	s_wait_alu 0xfffe
	s_xor_b32 s8, s7, -1
	s_wait_alu 0xfffe
	s_and_saveexec_b32 s9, s8
	s_wait_alu 0xfffe
	s_xor_b32 s8, exec_lo, s9
; %bb.15:                               ;   in Loop: Header=BB23_2 Depth=1
	ds_load_b32 v68, v69 offset:4
                                        ; implicit-def: $vgpr70
; %bb.16:                               ;   in Loop: Header=BB23_2 Depth=1
	s_wait_alu 0xfffe
	s_or_saveexec_b32 s8, s8
	v_mov_b32_e32 v69, v65
	s_wait_alu 0xfffe
	s_xor_b32 exec_lo, exec_lo, s8
	s_cbranch_execz .LBB23_18
; %bb.17:                               ;   in Loop: Header=BB23_2 Depth=1
	ds_load_b32 v69, v70 offset:4
	s_wait_dscnt 0x1
	v_mov_b32_e32 v68, v64
.LBB23_18:                              ;   in Loop: Header=BB23_2 Depth=1
	s_or_b32 exec_lo, exec_lo, s8
	v_add_nc_u32_e32 v70, 1, v67
	v_add_nc_u32_e32 v71, 1, v66
	s_wait_dscnt 0x0
	v_cmp_lt_i32_e64 s8, v69, v68
	s_wait_loadcnt 0x0
	s_barrier_signal -1
	v_cndmask_b32_e64 v70, v70, v67, s7
	v_cndmask_b32_e64 v71, v66, v71, s7
	;; [unrolled: 1-line block ×3, first 2 shown]
	s_barrier_wait -1
	global_inv scope:SCOPE_SE
	v_cmp_ge_i32_e64 s9, v70, v15
	v_cmp_lt_i32_e64 s10, v71, v16
	ds_store_2addr_b32 v1, v62, v63 offset1:1
	v_lshlrev_b32_e32 v62, 2, v66
	s_wait_loadcnt_dscnt 0x0
	s_or_b32 s8, s9, s8
	s_barrier_signal -1
	s_wait_alu 0xfffe
	s_and_b32 s8, s10, s8
	s_barrier_wait -1
	s_wait_alu 0xfffe
	v_cndmask_b32_e64 v67, v68, v69, s8
	v_cndmask_b32_e64 v68, v70, v71, s8
	global_inv scope:SCOPE_SE
	v_cndmask_b32_e64 v64, v64, v65, s7
	v_lshlrev_b32_e32 v63, 2, v68
	ds_load_b32 v62, v62
	ds_load_b32 v63, v63
	s_wait_loadcnt_dscnt 0x0
	s_barrier_signal -1
	s_barrier_wait -1
	global_inv scope:SCOPE_SE
	ds_store_2addr_b32 v1, v64, v67 offset1:1
	v_mov_b32_e32 v67, v56
	s_wait_loadcnt_dscnt 0x0
	s_barrier_signal -1
	s_barrier_wait -1
	global_inv scope:SCOPE_SE
	s_and_saveexec_b32 s8, s2
	s_cbranch_execz .LBB23_22
; %bb.19:                               ;   in Loop: Header=BB23_2 Depth=1
	v_dual_mov_b32 v67, v56 :: v_dual_mov_b32 v64, v49
	s_mov_b32 s9, 0
.LBB23_20:                              ;   Parent Loop BB23_2 Depth=1
                                        ; =>  This Inner Loop Header: Depth=2
	s_delay_alu instid0(VALU_DEP_1) | instskip(NEXT) | instid1(VALU_DEP_1)
	v_sub_nc_u32_e32 v65, v64, v67
	v_lshrrev_b32_e32 v65, 1, v65
	s_delay_alu instid0(VALU_DEP_1) | instskip(NEXT) | instid1(VALU_DEP_1)
	v_add_nc_u32_e32 v65, v65, v67
	v_not_b32_e32 v66, v65
	v_lshl_add_u32 v68, v65, 2, v20
	v_add_nc_u32_e32 v69, 1, v65
	s_delay_alu instid0(VALU_DEP_3)
	v_lshl_add_u32 v66, v66, 2, v42
	ds_load_b32 v68, v68
	ds_load_b32 v66, v66
	s_wait_dscnt 0x0
	v_cmp_lt_i32_e64 s7, v66, v68
	s_wait_alu 0xf1ff
	s_delay_alu instid0(VALU_DEP_1) | instskip(SKIP_1) | instid1(VALU_DEP_1)
	v_cndmask_b32_e64 v64, v64, v65, s7
	v_cndmask_b32_e64 v67, v69, v67, s7
	v_cmp_ge_i32_e64 s7, v67, v64
	s_wait_alu 0xfffe
	s_or_b32 s9, s7, s9
	s_wait_alu 0xfffe
	s_and_not1_b32 exec_lo, exec_lo, s9
	s_cbranch_execnz .LBB23_20
; %bb.21:                               ;   in Loop: Header=BB23_2 Depth=1
	s_or_b32 exec_lo, exec_lo, s9
.LBB23_22:                              ;   in Loop: Header=BB23_2 Depth=1
	s_wait_alu 0xfffe
	s_or_b32 exec_lo, exec_lo, s8
	v_sub_nc_u32_e32 v66, v35, v67
	v_lshl_add_u32 v69, v67, 2, v20
	v_add_nc_u32_e32 v67, v67, v4
                                        ; implicit-def: $vgpr68
	s_delay_alu instid0(VALU_DEP_3) | instskip(SKIP_1) | instid1(VALU_DEP_3)
	v_lshlrev_b32_e32 v70, 2, v66
	v_cmp_gt_i32_e64 s9, v19, v66
	v_cmp_le_i32_e64 s7, v18, v67
	ds_load_b32 v64, v69
	ds_load_b32 v65, v70
	s_wait_dscnt 0x0
	v_cmp_lt_i32_e64 s8, v65, v64
	s_or_b32 s7, s7, s8
	s_wait_alu 0xfffe
	s_and_b32 s7, s9, s7
	s_wait_alu 0xfffe
	s_xor_b32 s8, s7, -1
	s_wait_alu 0xfffe
	s_and_saveexec_b32 s9, s8
	s_wait_alu 0xfffe
	s_xor_b32 s8, exec_lo, s9
; %bb.23:                               ;   in Loop: Header=BB23_2 Depth=1
	ds_load_b32 v68, v69 offset:4
                                        ; implicit-def: $vgpr70
; %bb.24:                               ;   in Loop: Header=BB23_2 Depth=1
	s_wait_alu 0xfffe
	s_or_saveexec_b32 s8, s8
	v_mov_b32_e32 v69, v65
	s_wait_alu 0xfffe
	s_xor_b32 exec_lo, exec_lo, s8
	s_cbranch_execz .LBB23_26
; %bb.25:                               ;   in Loop: Header=BB23_2 Depth=1
	ds_load_b32 v69, v70 offset:4
	s_wait_dscnt 0x1
	v_mov_b32_e32 v68, v64
.LBB23_26:                              ;   in Loop: Header=BB23_2 Depth=1
	s_or_b32 exec_lo, exec_lo, s8
	v_add_nc_u32_e32 v70, 1, v67
	v_add_nc_u32_e32 v71, 1, v66
	s_wait_dscnt 0x0
	v_cmp_lt_i32_e64 s8, v69, v68
	s_wait_loadcnt 0x0
	s_barrier_signal -1
	v_cndmask_b32_e64 v70, v70, v67, s7
	v_cndmask_b32_e64 v71, v66, v71, s7
	v_cndmask_b32_e64 v66, v67, v66, s7
	s_barrier_wait -1
	global_inv scope:SCOPE_SE
	v_cmp_ge_i32_e64 s9, v70, v18
	v_cmp_lt_i32_e64 s10, v71, v19
	ds_store_2addr_b32 v1, v62, v63 offset1:1
	v_lshlrev_b32_e32 v62, 2, v66
	s_wait_loadcnt_dscnt 0x0
	s_or_b32 s8, s9, s8
	s_barrier_signal -1
	s_wait_alu 0xfffe
	s_and_b32 s8, s10, s8
	s_barrier_wait -1
	s_wait_alu 0xfffe
	v_cndmask_b32_e64 v67, v68, v69, s8
	v_cndmask_b32_e64 v68, v70, v71, s8
	global_inv scope:SCOPE_SE
	v_cndmask_b32_e64 v64, v64, v65, s7
	v_lshlrev_b32_e32 v63, 2, v68
	ds_load_b32 v62, v62
	ds_load_b32 v63, v63
	s_wait_loadcnt_dscnt 0x0
	s_barrier_signal -1
	s_barrier_wait -1
	global_inv scope:SCOPE_SE
	ds_store_2addr_b32 v1, v64, v67 offset1:1
	v_mov_b32_e32 v67, v57
	s_wait_loadcnt_dscnt 0x0
	s_barrier_signal -1
	s_barrier_wait -1
	global_inv scope:SCOPE_SE
	s_and_saveexec_b32 s8, s3
	s_cbranch_execz .LBB23_30
; %bb.27:                               ;   in Loop: Header=BB23_2 Depth=1
	v_dual_mov_b32 v67, v57 :: v_dual_mov_b32 v64, v50
	s_mov_b32 s9, 0
.LBB23_28:                              ;   Parent Loop BB23_2 Depth=1
                                        ; =>  This Inner Loop Header: Depth=2
	s_delay_alu instid0(VALU_DEP_1) | instskip(NEXT) | instid1(VALU_DEP_1)
	v_sub_nc_u32_e32 v65, v64, v67
	v_lshrrev_b32_e32 v65, 1, v65
	s_delay_alu instid0(VALU_DEP_1) | instskip(NEXT) | instid1(VALU_DEP_1)
	v_add_nc_u32_e32 v65, v65, v67
	v_not_b32_e32 v66, v65
	v_lshl_add_u32 v68, v65, 2, v23
	v_add_nc_u32_e32 v69, 1, v65
	s_delay_alu instid0(VALU_DEP_3)
	v_lshl_add_u32 v66, v66, 2, v43
	ds_load_b32 v68, v68
	ds_load_b32 v66, v66
	s_wait_dscnt 0x0
	v_cmp_lt_i32_e64 s7, v66, v68
	s_wait_alu 0xf1ff
	s_delay_alu instid0(VALU_DEP_1) | instskip(SKIP_1) | instid1(VALU_DEP_1)
	v_cndmask_b32_e64 v64, v64, v65, s7
	v_cndmask_b32_e64 v67, v69, v67, s7
	v_cmp_ge_i32_e64 s7, v67, v64
	s_wait_alu 0xfffe
	s_or_b32 s9, s7, s9
	s_wait_alu 0xfffe
	s_and_not1_b32 exec_lo, exec_lo, s9
	s_cbranch_execnz .LBB23_28
; %bb.29:                               ;   in Loop: Header=BB23_2 Depth=1
	s_or_b32 exec_lo, exec_lo, s9
.LBB23_30:                              ;   in Loop: Header=BB23_2 Depth=1
	s_wait_alu 0xfffe
	s_or_b32 exec_lo, exec_lo, s8
	v_sub_nc_u32_e32 v66, v36, v67
	v_lshl_add_u32 v69, v67, 2, v23
	v_add_nc_u32_e32 v67, v67, v5
                                        ; implicit-def: $vgpr68
	s_delay_alu instid0(VALU_DEP_3) | instskip(SKIP_1) | instid1(VALU_DEP_3)
	v_lshlrev_b32_e32 v70, 2, v66
	v_cmp_gt_i32_e64 s9, v22, v66
	v_cmp_le_i32_e64 s7, v21, v67
	ds_load_b32 v64, v69
	ds_load_b32 v65, v70
	s_wait_dscnt 0x0
	v_cmp_lt_i32_e64 s8, v65, v64
	s_or_b32 s7, s7, s8
	s_wait_alu 0xfffe
	s_and_b32 s7, s9, s7
	s_wait_alu 0xfffe
	s_xor_b32 s8, s7, -1
	s_wait_alu 0xfffe
	s_and_saveexec_b32 s9, s8
	s_wait_alu 0xfffe
	s_xor_b32 s8, exec_lo, s9
; %bb.31:                               ;   in Loop: Header=BB23_2 Depth=1
	ds_load_b32 v68, v69 offset:4
                                        ; implicit-def: $vgpr70
; %bb.32:                               ;   in Loop: Header=BB23_2 Depth=1
	s_wait_alu 0xfffe
	s_or_saveexec_b32 s8, s8
	v_mov_b32_e32 v69, v65
	s_wait_alu 0xfffe
	s_xor_b32 exec_lo, exec_lo, s8
	s_cbranch_execz .LBB23_34
; %bb.33:                               ;   in Loop: Header=BB23_2 Depth=1
	ds_load_b32 v69, v70 offset:4
	s_wait_dscnt 0x1
	v_mov_b32_e32 v68, v64
.LBB23_34:                              ;   in Loop: Header=BB23_2 Depth=1
	s_or_b32 exec_lo, exec_lo, s8
	v_add_nc_u32_e32 v70, 1, v67
	v_add_nc_u32_e32 v71, 1, v66
	s_wait_dscnt 0x0
	v_cmp_lt_i32_e64 s8, v69, v68
	s_wait_loadcnt 0x0
	s_barrier_signal -1
	v_cndmask_b32_e64 v70, v70, v67, s7
	v_cndmask_b32_e64 v71, v66, v71, s7
	;; [unrolled: 1-line block ×3, first 2 shown]
	s_barrier_wait -1
	global_inv scope:SCOPE_SE
	v_cmp_ge_i32_e64 s9, v70, v21
	v_cmp_lt_i32_e64 s10, v71, v22
	ds_store_2addr_b32 v1, v62, v63 offset1:1
	v_lshlrev_b32_e32 v62, 2, v66
	s_wait_loadcnt_dscnt 0x0
	s_or_b32 s8, s9, s8
	s_barrier_signal -1
	s_wait_alu 0xfffe
	s_and_b32 s8, s10, s8
	s_barrier_wait -1
	s_wait_alu 0xfffe
	v_cndmask_b32_e64 v67, v68, v69, s8
	v_cndmask_b32_e64 v68, v70, v71, s8
	global_inv scope:SCOPE_SE
	v_cndmask_b32_e64 v64, v64, v65, s7
	v_lshlrev_b32_e32 v63, 2, v68
	ds_load_b32 v62, v62
	ds_load_b32 v63, v63
	s_wait_loadcnt_dscnt 0x0
	s_barrier_signal -1
	s_barrier_wait -1
	global_inv scope:SCOPE_SE
	ds_store_2addr_b32 v1, v64, v67 offset1:1
	v_mov_b32_e32 v67, v58
	s_wait_loadcnt_dscnt 0x0
	s_barrier_signal -1
	s_barrier_wait -1
	global_inv scope:SCOPE_SE
	s_and_saveexec_b32 s8, s4
	s_cbranch_execz .LBB23_38
; %bb.35:                               ;   in Loop: Header=BB23_2 Depth=1
	v_dual_mov_b32 v67, v58 :: v_dual_mov_b32 v64, v51
	s_mov_b32 s9, 0
.LBB23_36:                              ;   Parent Loop BB23_2 Depth=1
                                        ; =>  This Inner Loop Header: Depth=2
	s_delay_alu instid0(VALU_DEP_1) | instskip(NEXT) | instid1(VALU_DEP_1)
	v_sub_nc_u32_e32 v65, v64, v67
	v_lshrrev_b32_e32 v65, 1, v65
	s_delay_alu instid0(VALU_DEP_1) | instskip(NEXT) | instid1(VALU_DEP_1)
	v_add_nc_u32_e32 v65, v65, v67
	v_not_b32_e32 v66, v65
	v_lshl_add_u32 v68, v65, 2, v26
	v_add_nc_u32_e32 v69, 1, v65
	s_delay_alu instid0(VALU_DEP_3)
	v_lshl_add_u32 v66, v66, 2, v44
	ds_load_b32 v68, v68
	ds_load_b32 v66, v66
	s_wait_dscnt 0x0
	v_cmp_lt_i32_e64 s7, v66, v68
	s_wait_alu 0xf1ff
	s_delay_alu instid0(VALU_DEP_1) | instskip(SKIP_1) | instid1(VALU_DEP_1)
	v_cndmask_b32_e64 v64, v64, v65, s7
	v_cndmask_b32_e64 v67, v69, v67, s7
	v_cmp_ge_i32_e64 s7, v67, v64
	s_wait_alu 0xfffe
	s_or_b32 s9, s7, s9
	s_wait_alu 0xfffe
	s_and_not1_b32 exec_lo, exec_lo, s9
	s_cbranch_execnz .LBB23_36
; %bb.37:                               ;   in Loop: Header=BB23_2 Depth=1
	s_or_b32 exec_lo, exec_lo, s9
.LBB23_38:                              ;   in Loop: Header=BB23_2 Depth=1
	s_wait_alu 0xfffe
	s_or_b32 exec_lo, exec_lo, s8
	v_sub_nc_u32_e32 v66, v37, v67
	v_lshl_add_u32 v69, v67, 2, v26
	v_add_nc_u32_e32 v67, v67, v6
                                        ; implicit-def: $vgpr68
	s_delay_alu instid0(VALU_DEP_3) | instskip(SKIP_1) | instid1(VALU_DEP_3)
	v_lshlrev_b32_e32 v70, 2, v66
	v_cmp_gt_i32_e64 s9, v25, v66
	v_cmp_le_i32_e64 s7, v24, v67
	ds_load_b32 v64, v69
	ds_load_b32 v65, v70
	s_wait_dscnt 0x0
	v_cmp_lt_i32_e64 s8, v65, v64
	s_or_b32 s7, s7, s8
	s_wait_alu 0xfffe
	s_and_b32 s7, s9, s7
	s_wait_alu 0xfffe
	s_xor_b32 s8, s7, -1
	s_wait_alu 0xfffe
	s_and_saveexec_b32 s9, s8
	s_wait_alu 0xfffe
	s_xor_b32 s8, exec_lo, s9
; %bb.39:                               ;   in Loop: Header=BB23_2 Depth=1
	ds_load_b32 v68, v69 offset:4
                                        ; implicit-def: $vgpr70
; %bb.40:                               ;   in Loop: Header=BB23_2 Depth=1
	s_wait_alu 0xfffe
	s_or_saveexec_b32 s8, s8
	v_mov_b32_e32 v69, v65
	s_wait_alu 0xfffe
	s_xor_b32 exec_lo, exec_lo, s8
	s_cbranch_execz .LBB23_42
; %bb.41:                               ;   in Loop: Header=BB23_2 Depth=1
	ds_load_b32 v69, v70 offset:4
	s_wait_dscnt 0x1
	v_mov_b32_e32 v68, v64
.LBB23_42:                              ;   in Loop: Header=BB23_2 Depth=1
	s_or_b32 exec_lo, exec_lo, s8
	v_add_nc_u32_e32 v70, 1, v67
	v_add_nc_u32_e32 v71, 1, v66
	s_wait_dscnt 0x0
	v_cmp_lt_i32_e64 s8, v69, v68
	s_wait_loadcnt 0x0
	s_barrier_signal -1
	v_cndmask_b32_e64 v70, v70, v67, s7
	v_cndmask_b32_e64 v71, v66, v71, s7
	;; [unrolled: 1-line block ×3, first 2 shown]
	s_barrier_wait -1
	global_inv scope:SCOPE_SE
	v_cmp_ge_i32_e64 s9, v70, v24
	v_cmp_lt_i32_e64 s10, v71, v25
	ds_store_2addr_b32 v1, v62, v63 offset1:1
	v_lshlrev_b32_e32 v62, 2, v66
	s_wait_loadcnt_dscnt 0x0
	s_or_b32 s8, s9, s8
	s_barrier_signal -1
	s_wait_alu 0xfffe
	s_and_b32 s8, s10, s8
	s_barrier_wait -1
	s_wait_alu 0xfffe
	v_cndmask_b32_e64 v67, v68, v69, s8
	v_cndmask_b32_e64 v68, v70, v71, s8
	global_inv scope:SCOPE_SE
	v_cndmask_b32_e64 v64, v64, v65, s7
	v_lshlrev_b32_e32 v63, 2, v68
	ds_load_b32 v62, v62
	ds_load_b32 v63, v63
	s_wait_loadcnt_dscnt 0x0
	s_barrier_signal -1
	s_barrier_wait -1
	global_inv scope:SCOPE_SE
	ds_store_2addr_b32 v1, v64, v67 offset1:1
	v_mov_b32_e32 v67, v59
	s_wait_loadcnt_dscnt 0x0
	s_barrier_signal -1
	s_barrier_wait -1
	global_inv scope:SCOPE_SE
	s_and_saveexec_b32 s8, s5
	s_cbranch_execz .LBB23_46
; %bb.43:                               ;   in Loop: Header=BB23_2 Depth=1
	v_dual_mov_b32 v67, v59 :: v_dual_mov_b32 v64, v52
	s_mov_b32 s9, 0
.LBB23_44:                              ;   Parent Loop BB23_2 Depth=1
                                        ; =>  This Inner Loop Header: Depth=2
	s_delay_alu instid0(VALU_DEP_1) | instskip(NEXT) | instid1(VALU_DEP_1)
	v_sub_nc_u32_e32 v65, v64, v67
	v_lshrrev_b32_e32 v65, 1, v65
	s_delay_alu instid0(VALU_DEP_1) | instskip(NEXT) | instid1(VALU_DEP_1)
	v_add_nc_u32_e32 v65, v65, v67
	v_not_b32_e32 v66, v65
	v_lshl_add_u32 v68, v65, 2, v29
	v_add_nc_u32_e32 v69, 1, v65
	s_delay_alu instid0(VALU_DEP_3)
	v_lshl_add_u32 v66, v66, 2, v45
	ds_load_b32 v68, v68
	ds_load_b32 v66, v66
	s_wait_dscnt 0x0
	v_cmp_lt_i32_e64 s7, v66, v68
	s_wait_alu 0xf1ff
	s_delay_alu instid0(VALU_DEP_1) | instskip(SKIP_1) | instid1(VALU_DEP_1)
	v_cndmask_b32_e64 v64, v64, v65, s7
	v_cndmask_b32_e64 v67, v69, v67, s7
	v_cmp_ge_i32_e64 s7, v67, v64
	s_wait_alu 0xfffe
	s_or_b32 s9, s7, s9
	s_wait_alu 0xfffe
	s_and_not1_b32 exec_lo, exec_lo, s9
	s_cbranch_execnz .LBB23_44
; %bb.45:                               ;   in Loop: Header=BB23_2 Depth=1
	s_or_b32 exec_lo, exec_lo, s9
.LBB23_46:                              ;   in Loop: Header=BB23_2 Depth=1
	s_wait_alu 0xfffe
	s_or_b32 exec_lo, exec_lo, s8
	v_sub_nc_u32_e32 v66, v38, v67
	v_lshl_add_u32 v69, v67, 2, v29
	v_add_nc_u32_e32 v67, v67, v7
                                        ; implicit-def: $vgpr68
	s_delay_alu instid0(VALU_DEP_3) | instskip(SKIP_1) | instid1(VALU_DEP_3)
	v_lshlrev_b32_e32 v70, 2, v66
	v_cmp_gt_i32_e64 s9, v28, v66
	v_cmp_le_i32_e64 s7, v27, v67
	ds_load_b32 v64, v69
	ds_load_b32 v65, v70
	s_wait_dscnt 0x0
	v_cmp_lt_i32_e64 s8, v65, v64
	s_or_b32 s7, s7, s8
	s_wait_alu 0xfffe
	s_and_b32 s7, s9, s7
	s_wait_alu 0xfffe
	s_xor_b32 s8, s7, -1
	s_wait_alu 0xfffe
	s_and_saveexec_b32 s9, s8
	s_wait_alu 0xfffe
	s_xor_b32 s8, exec_lo, s9
; %bb.47:                               ;   in Loop: Header=BB23_2 Depth=1
	ds_load_b32 v68, v69 offset:4
                                        ; implicit-def: $vgpr70
; %bb.48:                               ;   in Loop: Header=BB23_2 Depth=1
	s_wait_alu 0xfffe
	s_or_saveexec_b32 s8, s8
	v_mov_b32_e32 v69, v65
	s_wait_alu 0xfffe
	s_xor_b32 exec_lo, exec_lo, s8
	s_cbranch_execz .LBB23_50
; %bb.49:                               ;   in Loop: Header=BB23_2 Depth=1
	ds_load_b32 v69, v70 offset:4
	s_wait_dscnt 0x1
	v_mov_b32_e32 v68, v64
.LBB23_50:                              ;   in Loop: Header=BB23_2 Depth=1
	s_or_b32 exec_lo, exec_lo, s8
	v_add_nc_u32_e32 v70, 1, v67
	v_add_nc_u32_e32 v71, 1, v66
	s_wait_dscnt 0x0
	v_cmp_lt_i32_e64 s8, v69, v68
	s_wait_loadcnt 0x0
	s_barrier_signal -1
	v_cndmask_b32_e64 v70, v70, v67, s7
	v_cndmask_b32_e64 v71, v66, v71, s7
	;; [unrolled: 1-line block ×3, first 2 shown]
	s_barrier_wait -1
	global_inv scope:SCOPE_SE
	v_cmp_ge_i32_e64 s9, v70, v27
	v_cmp_lt_i32_e64 s10, v71, v28
	ds_store_2addr_b32 v1, v62, v63 offset1:1
	v_lshlrev_b32_e32 v62, 2, v66
	s_wait_loadcnt_dscnt 0x0
	s_or_b32 s8, s9, s8
	s_barrier_signal -1
	s_wait_alu 0xfffe
	s_and_b32 s8, s10, s8
	s_barrier_wait -1
	s_wait_alu 0xfffe
	v_cndmask_b32_e64 v67, v68, v69, s8
	v_cndmask_b32_e64 v68, v70, v71, s8
	global_inv scope:SCOPE_SE
	v_cndmask_b32_e64 v64, v64, v65, s7
	v_lshlrev_b32_e32 v63, 2, v68
	ds_load_b32 v62, v62
	ds_load_b32 v63, v63
	s_wait_loadcnt_dscnt 0x0
	s_barrier_signal -1
	s_barrier_wait -1
	global_inv scope:SCOPE_SE
	ds_store_2addr_b32 v1, v64, v67 offset1:1
	v_mov_b32_e32 v67, v60
	s_wait_loadcnt_dscnt 0x0
	s_barrier_signal -1
	s_barrier_wait -1
	global_inv scope:SCOPE_SE
	s_and_saveexec_b32 s8, s6
	s_cbranch_execz .LBB23_54
; %bb.51:                               ;   in Loop: Header=BB23_2 Depth=1
	v_dual_mov_b32 v67, v60 :: v_dual_mov_b32 v64, v53
	s_mov_b32 s9, 0
.LBB23_52:                              ;   Parent Loop BB23_2 Depth=1
                                        ; =>  This Inner Loop Header: Depth=2
	s_delay_alu instid0(VALU_DEP_1) | instskip(NEXT) | instid1(VALU_DEP_1)
	v_sub_nc_u32_e32 v65, v64, v67
	v_lshrrev_b32_e32 v65, 1, v65
	s_delay_alu instid0(VALU_DEP_1) | instskip(NEXT) | instid1(VALU_DEP_1)
	v_add_nc_u32_e32 v65, v65, v67
	v_not_b32_e32 v66, v65
	v_lshl_add_u32 v68, v65, 2, v32
	v_add_nc_u32_e32 v69, 1, v65
	s_delay_alu instid0(VALU_DEP_3)
	v_lshl_add_u32 v66, v66, 2, v46
	ds_load_b32 v68, v68
	ds_load_b32 v66, v66
	s_wait_dscnt 0x0
	v_cmp_lt_i32_e64 s7, v66, v68
	s_wait_alu 0xf1ff
	s_delay_alu instid0(VALU_DEP_1) | instskip(SKIP_1) | instid1(VALU_DEP_1)
	v_cndmask_b32_e64 v64, v64, v65, s7
	v_cndmask_b32_e64 v67, v69, v67, s7
	v_cmp_ge_i32_e64 s7, v67, v64
	s_wait_alu 0xfffe
	s_or_b32 s9, s7, s9
	s_wait_alu 0xfffe
	s_and_not1_b32 exec_lo, exec_lo, s9
	s_cbranch_execnz .LBB23_52
; %bb.53:                               ;   in Loop: Header=BB23_2 Depth=1
	s_or_b32 exec_lo, exec_lo, s9
.LBB23_54:                              ;   in Loop: Header=BB23_2 Depth=1
	s_wait_alu 0xfffe
	s_or_b32 exec_lo, exec_lo, s8
	v_sub_nc_u32_e32 v64, v39, v67
	v_lshl_add_u32 v69, v67, 2, v32
	v_add_nc_u32_e32 v67, v67, v8
                                        ; implicit-def: $vgpr68
	s_delay_alu instid0(VALU_DEP_3) | instskip(SKIP_1) | instid1(VALU_DEP_3)
	v_lshlrev_b32_e32 v70, 2, v64
	v_cmp_gt_i32_e64 s9, v31, v64
	v_cmp_le_i32_e64 s7, v30, v67
	ds_load_b32 v65, v69
	ds_load_b32 v66, v70
	s_wait_dscnt 0x0
	v_cmp_lt_i32_e64 s8, v66, v65
	s_or_b32 s7, s7, s8
	s_wait_alu 0xfffe
	s_and_b32 s7, s9, s7
	s_wait_alu 0xfffe
	s_xor_b32 s8, s7, -1
	s_wait_alu 0xfffe
	s_and_saveexec_b32 s9, s8
	s_wait_alu 0xfffe
	s_xor_b32 s8, exec_lo, s9
; %bb.55:                               ;   in Loop: Header=BB23_2 Depth=1
	ds_load_b32 v68, v69 offset:4
                                        ; implicit-def: $vgpr70
; %bb.56:                               ;   in Loop: Header=BB23_2 Depth=1
	s_wait_alu 0xfffe
	s_or_saveexec_b32 s8, s8
	v_mov_b32_e32 v69, v66
	s_wait_alu 0xfffe
	s_xor_b32 exec_lo, exec_lo, s8
	s_cbranch_execz .LBB23_58
; %bb.57:                               ;   in Loop: Header=BB23_2 Depth=1
	ds_load_b32 v69, v70 offset:4
	s_wait_dscnt 0x1
	v_mov_b32_e32 v68, v65
.LBB23_58:                              ;   in Loop: Header=BB23_2 Depth=1
	s_or_b32 exec_lo, exec_lo, s8
	v_add_nc_u32_e32 v70, 1, v67
	v_add_nc_u32_e32 v71, 1, v64
	s_wait_dscnt 0x0
	v_cmp_lt_i32_e64 s8, v69, v68
	s_wait_loadcnt 0x0
	s_barrier_signal -1
	v_cndmask_b32_e64 v70, v70, v67, s7
	v_cndmask_b32_e64 v71, v64, v71, s7
	;; [unrolled: 1-line block ×3, first 2 shown]
	s_barrier_wait -1
	global_inv scope:SCOPE_SE
	v_cmp_ge_i32_e64 s9, v70, v30
	v_cmp_lt_i32_e64 s10, v71, v31
	ds_store_2addr_b32 v1, v62, v63 offset1:1
	v_lshlrev_b32_e32 v62, 2, v64
	s_wait_loadcnt_dscnt 0x0
	s_or_b32 s8, s9, s8
	s_barrier_signal -1
	s_wait_alu 0xfffe
	s_and_b32 s8, s10, s8
	s_barrier_wait -1
	s_wait_alu 0xfffe
	v_cndmask_b32_e64 v67, v68, v69, s8
	v_cndmask_b32_e64 v68, v70, v71, s8
	global_inv scope:SCOPE_SE
	v_lshlrev_b32_e32 v64, 2, v68
	ds_load_b32 v63, v62
	ds_load_b32 v64, v64
	v_cndmask_b32_e64 v62, v65, v66, s7
	s_wait_loadcnt_dscnt 0x0
	s_barrier_signal -1
	s_barrier_wait -1
	global_inv scope:SCOPE_SE
	ds_store_2addr_b32 v1, v62, v67 offset1:1
	v_mov_b32_e32 v62, v9
	s_wait_loadcnt_dscnt 0x0
	s_barrier_signal -1
	s_barrier_wait -1
	global_inv scope:SCOPE_SE
	s_and_saveexec_b32 s8, vcc_lo
	s_cbranch_execz .LBB23_62
; %bb.59:                               ;   in Loop: Header=BB23_2 Depth=1
	v_dual_mov_b32 v62, v9 :: v_dual_mov_b32 v65, v10
	s_mov_b32 s9, 0
.LBB23_60:                              ;   Parent Loop BB23_2 Depth=1
                                        ; =>  This Inner Loop Header: Depth=2
	s_delay_alu instid0(VALU_DEP_1) | instskip(NEXT) | instid1(VALU_DEP_1)
	v_sub_nc_u32_e32 v66, v65, v62
	v_lshrrev_b32_e32 v66, 1, v66
	s_delay_alu instid0(VALU_DEP_1) | instskip(NEXT) | instid1(VALU_DEP_1)
	v_add_nc_u32_e32 v66, v66, v62
	v_not_b32_e32 v67, v66
	v_lshlrev_b32_e32 v68, 2, v66
	v_add_nc_u32_e32 v69, 1, v66
	s_delay_alu instid0(VALU_DEP_3)
	v_lshl_add_u32 v67, v67, 2, v61
	ds_load_b32 v68, v68
	ds_load_b32 v67, v67
	s_wait_dscnt 0x0
	v_cmp_lt_i32_e64 s7, v67, v68
	s_wait_alu 0xf1ff
	s_delay_alu instid0(VALU_DEP_1) | instskip(SKIP_1) | instid1(VALU_DEP_1)
	v_cndmask_b32_e64 v65, v65, v66, s7
	v_cndmask_b32_e64 v62, v69, v62, s7
	v_cmp_ge_i32_e64 s7, v62, v65
	s_wait_alu 0xfffe
	s_or_b32 s9, s7, s9
	s_wait_alu 0xfffe
	s_and_not1_b32 exec_lo, exec_lo, s9
	s_cbranch_execnz .LBB23_60
; %bb.61:                               ;   in Loop: Header=BB23_2 Depth=1
	s_or_b32 exec_lo, exec_lo, s9
.LBB23_62:                              ;   in Loop: Header=BB23_2 Depth=1
	s_wait_alu 0xfffe
	s_or_b32 exec_lo, exec_lo, s8
	v_sub_nc_u32_e32 v65, v11, v62
	v_lshlrev_b32_e32 v70, 2, v62
	v_cmp_le_i32_e64 s7, 0x100, v62
                                        ; implicit-def: $vgpr69
                                        ; implicit-def: $vgpr68
	s_delay_alu instid0(VALU_DEP_3)
	v_lshlrev_b32_e32 v71, 2, v65
	v_cmp_gt_i32_e64 s9, 0x200, v65
	ds_load_b32 v66, v70
	ds_load_b32 v67, v71
	s_wait_dscnt 0x0
	v_cmp_lt_i32_e64 s8, v67, v66
	s_or_b32 s7, s7, s8
	s_wait_alu 0xfffe
	s_and_b32 s7, s9, s7
	s_wait_alu 0xfffe
	s_xor_b32 s8, s7, -1
	s_wait_alu 0xfffe
	s_and_saveexec_b32 s9, s8
	s_wait_alu 0xfffe
	s_xor_b32 s8, exec_lo, s9
; %bb.63:                               ;   in Loop: Header=BB23_2 Depth=1
	ds_load_b32 v69, v70 offset:4
	v_add_nc_u32_e32 v68, 1, v62
                                        ; implicit-def: $vgpr71
; %bb.64:                               ;   in Loop: Header=BB23_2 Depth=1
	s_wait_alu 0xfffe
	s_or_saveexec_b32 s8, s8
	v_mov_b32_e32 v70, v62
	v_mov_b32_e32 v72, v67
	s_wait_alu 0xfffe
	s_xor_b32 exec_lo, exec_lo, s8
	s_cbranch_execz .LBB23_1
; %bb.65:                               ;   in Loop: Header=BB23_2 Depth=1
	ds_load_b32 v72, v71 offset:4
	s_wait_dscnt 0x1
	v_dual_mov_b32 v70, v65 :: v_dual_add_nc_u32 v69, 1, v65
	s_delay_alu instid0(VALU_DEP_1)
	v_dual_mov_b32 v68, v62 :: v_dual_mov_b32 v65, v69
	v_mov_b32_e32 v69, v66
	s_branch .LBB23_1
.LBB23_66:
	s_wait_dscnt 0x1
	v_add_nc_u32_e32 v1, v63, v65
	v_lshlrev_b32_e32 v0, 2, v0
	s_wait_dscnt 0x0
	v_add_nc_u32_e32 v2, v62, v64
	s_add_nc_u64 s[0:1], s[14:15], s[16:17]
	s_clause 0x1
	global_store_b32 v0, v1, s[0:1]
	global_store_b32 v0, v2, s[0:1] offset:1024
	s_endpgm
	.section	.rodata,"a",@progbits
	.p2align	6, 0x0
	.amdhsa_kernel _Z17sort_pairs_kernelIiLj256ELj2EN10test_utils4lessELj10EEvPKT_PS2_T2_
		.amdhsa_group_segment_fixed_size 2052
		.amdhsa_private_segment_fixed_size 0
		.amdhsa_kernarg_size 20
		.amdhsa_user_sgpr_count 2
		.amdhsa_user_sgpr_dispatch_ptr 0
		.amdhsa_user_sgpr_queue_ptr 0
		.amdhsa_user_sgpr_kernarg_segment_ptr 1
		.amdhsa_user_sgpr_dispatch_id 0
		.amdhsa_user_sgpr_private_segment_size 0
		.amdhsa_wavefront_size32 1
		.amdhsa_uses_dynamic_stack 0
		.amdhsa_enable_private_segment 0
		.amdhsa_system_sgpr_workgroup_id_x 1
		.amdhsa_system_sgpr_workgroup_id_y 0
		.amdhsa_system_sgpr_workgroup_id_z 0
		.amdhsa_system_sgpr_workgroup_info 0
		.amdhsa_system_vgpr_workitem_id 0
		.amdhsa_next_free_vgpr 77
		.amdhsa_next_free_sgpr 20
		.amdhsa_reserve_vcc 1
		.amdhsa_float_round_mode_32 0
		.amdhsa_float_round_mode_16_64 0
		.amdhsa_float_denorm_mode_32 3
		.amdhsa_float_denorm_mode_16_64 3
		.amdhsa_fp16_overflow 0
		.amdhsa_workgroup_processor_mode 1
		.amdhsa_memory_ordered 1
		.amdhsa_forward_progress 1
		.amdhsa_inst_pref_size 42
		.amdhsa_round_robin_scheduling 0
		.amdhsa_exception_fp_ieee_invalid_op 0
		.amdhsa_exception_fp_denorm_src 0
		.amdhsa_exception_fp_ieee_div_zero 0
		.amdhsa_exception_fp_ieee_overflow 0
		.amdhsa_exception_fp_ieee_underflow 0
		.amdhsa_exception_fp_ieee_inexact 0
		.amdhsa_exception_int_div_zero 0
	.end_amdhsa_kernel
	.section	.text._Z17sort_pairs_kernelIiLj256ELj2EN10test_utils4lessELj10EEvPKT_PS2_T2_,"axG",@progbits,_Z17sort_pairs_kernelIiLj256ELj2EN10test_utils4lessELj10EEvPKT_PS2_T2_,comdat
.Lfunc_end23:
	.size	_Z17sort_pairs_kernelIiLj256ELj2EN10test_utils4lessELj10EEvPKT_PS2_T2_, .Lfunc_end23-_Z17sort_pairs_kernelIiLj256ELj2EN10test_utils4lessELj10EEvPKT_PS2_T2_
                                        ; -- End function
	.set _Z17sort_pairs_kernelIiLj256ELj2EN10test_utils4lessELj10EEvPKT_PS2_T2_.num_vgpr, 77
	.set _Z17sort_pairs_kernelIiLj256ELj2EN10test_utils4lessELj10EEvPKT_PS2_T2_.num_agpr, 0
	.set _Z17sort_pairs_kernelIiLj256ELj2EN10test_utils4lessELj10EEvPKT_PS2_T2_.numbered_sgpr, 20
	.set _Z17sort_pairs_kernelIiLj256ELj2EN10test_utils4lessELj10EEvPKT_PS2_T2_.num_named_barrier, 0
	.set _Z17sort_pairs_kernelIiLj256ELj2EN10test_utils4lessELj10EEvPKT_PS2_T2_.private_seg_size, 0
	.set _Z17sort_pairs_kernelIiLj256ELj2EN10test_utils4lessELj10EEvPKT_PS2_T2_.uses_vcc, 1
	.set _Z17sort_pairs_kernelIiLj256ELj2EN10test_utils4lessELj10EEvPKT_PS2_T2_.uses_flat_scratch, 0
	.set _Z17sort_pairs_kernelIiLj256ELj2EN10test_utils4lessELj10EEvPKT_PS2_T2_.has_dyn_sized_stack, 0
	.set _Z17sort_pairs_kernelIiLj256ELj2EN10test_utils4lessELj10EEvPKT_PS2_T2_.has_recursion, 0
	.set _Z17sort_pairs_kernelIiLj256ELj2EN10test_utils4lessELj10EEvPKT_PS2_T2_.has_indirect_call, 0
	.section	.AMDGPU.csdata,"",@progbits
; Kernel info:
; codeLenInByte = 5304
; TotalNumSgprs: 22
; NumVgprs: 77
; ScratchSize: 0
; MemoryBound: 0
; FloatMode: 240
; IeeeMode: 1
; LDSByteSize: 2052 bytes/workgroup (compile time only)
; SGPRBlocks: 0
; VGPRBlocks: 9
; NumSGPRsForWavesPerEU: 22
; NumVGPRsForWavesPerEU: 77
; Occupancy: 16
; WaveLimiterHint : 1
; COMPUTE_PGM_RSRC2:SCRATCH_EN: 0
; COMPUTE_PGM_RSRC2:USER_SGPR: 2
; COMPUTE_PGM_RSRC2:TRAP_HANDLER: 0
; COMPUTE_PGM_RSRC2:TGID_X_EN: 1
; COMPUTE_PGM_RSRC2:TGID_Y_EN: 0
; COMPUTE_PGM_RSRC2:TGID_Z_EN: 0
; COMPUTE_PGM_RSRC2:TIDIG_COMP_CNT: 0
	.section	.text._Z16sort_keys_kernelIiLj256ELj3EN10test_utils4lessELj10EEvPKT_PS2_T2_,"axG",@progbits,_Z16sort_keys_kernelIiLj256ELj3EN10test_utils4lessELj10EEvPKT_PS2_T2_,comdat
	.protected	_Z16sort_keys_kernelIiLj256ELj3EN10test_utils4lessELj10EEvPKT_PS2_T2_ ; -- Begin function _Z16sort_keys_kernelIiLj256ELj3EN10test_utils4lessELj10EEvPKT_PS2_T2_
	.globl	_Z16sort_keys_kernelIiLj256ELj3EN10test_utils4lessELj10EEvPKT_PS2_T2_
	.p2align	8
	.type	_Z16sort_keys_kernelIiLj256ELj3EN10test_utils4lessELj10EEvPKT_PS2_T2_,@function
_Z16sort_keys_kernelIiLj256ELj3EN10test_utils4lessELj10EEvPKT_PS2_T2_: ; @_Z16sort_keys_kernelIiLj256ELj3EN10test_utils4lessELj10EEvPKT_PS2_T2_
; %bb.0:
	s_load_b128 s[12:15], s[0:1], 0x0
	s_mul_i32 s16, ttmp9, 0x300
	s_mov_b32 s17, 0
	v_lshlrev_b32_e32 v1, 2, v0
	s_lshl_b64 s[18:19], s[16:17], 2
	v_and_b32_e32 v19, 0xf0, v0
	v_and_b32_e32 v25, 0xe0, v0
	;; [unrolled: 1-line block ×5, first 2 shown]
	v_mul_u32_u24_e32 v24, 3, v19
	v_mul_u32_u24_e32 v31, 3, v25
	;; [unrolled: 1-line block ×3, first 2 shown]
	v_cmp_eq_u32_e32 vcc_lo, 1, v4
	v_and_b32_e32 v4, 0xfc, v0
	v_min_u32_e32 v69, 0x2e8, v24
	v_min_u32_e32 v23, 0x2d0, v24
	;; [unrolled: 1-line block ×4, first 2 shown]
	v_and_b32_e32 v75, 31, v0
	s_wait_kmcnt 0x0
	s_add_nc_u64 s[0:1], s[12:13], s[18:19]
	v_add_nc_u32_e32 v22, 24, v69
	s_clause 0x2
	global_load_b32 v71, v1, s[0:1]
	global_load_b32 v72, v1, s[0:1] offset:1024
	global_load_b32 v70, v1, s[0:1] offset:2048
	v_and_b32_e32 v1, 0xfe, v0
	v_add_nc_u32_e32 v23, 48, v23
	v_add_nc_u32_e32 v27, 48, v74
	v_add_nc_u32_e32 v28, 0x60, v28
	v_and_b32_e32 v37, 0x80, v0
	v_mul_u32_u24_e32 v3, 3, v1
	v_sub_nc_u32_e32 v29, v23, v22
	v_cndmask_b32_e64 v64, 0, 3, vcc_lo
	v_mul_u32_u24_e32 v11, 3, v4
	v_mul_u32_u24_e32 v15, 3, v10
	v_min_u32_e32 v63, 0x2fd, v3
	v_min_u32_e32 v2, 0x2fa, v3
	v_sub_nc_u32_e32 v32, v58, v29
	v_cmp_ge_i32_e64 s2, v58, v29
	v_min_u32_e32 v3, 0x300, v3
	v_add_nc_u32_e32 v1, 3, v63
	v_add_nc_u32_e32 v2, 6, v2
	v_mul_u32_u24_e32 v59, 3, v75
	v_cndmask_b32_e64 v29, 0, v32, s2
	v_and_b32_e32 v32, 0xc0, v0
	v_sub_nc_u32_e32 v33, v28, v27
	v_sub_nc_u32_e32 v5, v2, v1
	v_mul_u32_u24_e32 v42, 3, v37
	v_sub_nc_u32_e32 v7, v1, v3
	v_mul_u32_u24_e32 v38, 3, v32
	v_min_u32_e32 v65, 0x2fa, v11
	v_sub_nc_u32_e32 v6, v64, v5
	v_cmp_ge_i32_e32 vcc_lo, v64, v5
	v_min_u32_e32 v8, 0x2f4, v11
	v_min_u32_e32 v67, 0x2f4, v15
	;; [unrolled: 1-line block ×3, first 2 shown]
	v_sub_nc_u32_e32 v34, v59, v33
	v_min_u32_e32 v76, 0x2a0, v38
	v_min_u32_e32 v35, 0x240, v38
	v_cmp_ge_i32_e64 s3, v59, v33
	v_min_u32_e32 v78, 0x240, v42
	v_min_u32_e32 v40, 0x180, v42
	s_wait_alu 0xfffd
	v_cndmask_b32_e32 v5, 0, v6, vcc_lo
	v_min_i32_e32 v6, v64, v7
	v_and_b32_e32 v66, 3, v0
	v_add_nc_u32_e32 v7, 6, v65
	v_add_nc_u32_e32 v8, 12, v8
	v_and_b32_e32 v68, 7, v0
	v_add_nc_u32_e32 v12, 12, v67
	v_add_nc_u32_e32 v13, 24, v13
	s_wait_alu 0xf1ff
	v_cndmask_b32_e64 v33, 0, v34, s3
	v_and_b32_e32 v77, 63, v0
	v_add_nc_u32_e32 v34, 0x60, v76
	v_add_nc_u32_e32 v35, 0xc0, v35
	v_and_b32_e32 v79, 0x7f, v0
	v_add_nc_u32_e32 v39, 0xc0, v78
	v_add_nc_u32_e32 v40, 0x180, v40
	v_mul_u32_u24_e32 v53, 3, v66
	v_sub_nc_u32_e32 v14, v8, v7
	v_min_u32_e32 v11, 0x300, v11
	v_mul_u32_u24_e32 v57, 3, v68
	v_sub_nc_u32_e32 v18, v13, v12
	v_min_u32_e32 v15, 0x300, v15
	v_min_u32_e32 v24, 0x300, v24
	;; [unrolled: 1-line block ×3, first 2 shown]
	v_mul_u32_u24_e32 v60, 3, v77
	v_sub_nc_u32_e32 v41, v35, v34
	v_min_u32_e32 v38, 0x300, v38
	v_mul_u32_u24_e32 v61, 3, v79
	v_sub_nc_u32_e32 v47, v40, v39
	v_min_u32_e32 v42, 0x300, v42
	v_sub_nc_u32_e32 v16, v53, v14
	v_sub_nc_u32_e32 v17, v7, v11
	v_cmp_ge_i32_e64 s0, v53, v14
	v_sub_nc_u32_e32 v20, v57, v18
	v_sub_nc_u32_e32 v21, v12, v15
	v_cmp_ge_i32_e64 s1, v57, v18
	v_sub_nc_u32_e32 v30, v22, v24
	v_sub_nc_u32_e32 v36, v27, v31
	;; [unrolled: 1-line block ×4, first 2 shown]
	v_cmp_ge_i32_e64 s4, v60, v41
	v_sub_nc_u32_e32 v48, v61, v47
	v_sub_nc_u32_e32 v49, v39, v42
	v_mul_u32_u24_e32 v46, 3, v0
	v_cmp_ge_i32_e64 s5, v61, v47
	v_cndmask_b32_e64 v14, 0, v16, s0
	v_min_i32_e32 v16, v53, v17
	v_cndmask_b32_e64 v18, 0, v20, s1
	v_min_i32_e32 v19, v57, v21
	v_min_i32_e32 v30, v58, v30
	;; [unrolled: 1-line block ×3, first 2 shown]
	v_cndmask_b32_e64 v41, 0, v43, s4
	v_min_i32_e32 v43, v60, v44
	v_cndmask_b32_e64 v47, 0, v48, s5
	v_min_i32_e32 v48, v61, v49
	v_subrev_nc_u32_e64 v51, 0x180, v46 clamp
	v_min_i32_e32 v52, 0x180, v46
	v_lshlrev_b32_e32 v55, 2, v64
	v_lshlrev_b32_e32 v56, 2, v53
	;; [unrolled: 1-line block ×7, first 2 shown]
	v_mul_u32_u24_e32 v4, 12, v0
	v_lshlrev_b32_e32 v9, 2, v3
	v_add_nc_u32_e32 v10, v1, v64
	v_lshlrev_b32_e32 v17, 2, v11
	v_cmp_lt_i32_e64 s0, v14, v16
	v_mad_u32_u24 v20, v66, 3, v7
	v_lshlrev_b32_e32 v21, 2, v15
	v_cmp_lt_i32_e64 s1, v18, v19
	v_mad_u32_u24 v25, v68, 3, v12
	;; [unrolled: 3-line block ×6, first 2 shown]
	v_cmp_lt_i32_e64 s6, v51, v52
	v_mad_u32_u24 v54, v0, 3, 0x180
	v_lshl_add_u32 v55, v63, 2, v55
	v_lshl_add_u32 v56, v65, 2, v56
	;; [unrolled: 1-line block ×7, first 2 shown]
	v_lshlrev_b32_e32 v62, 2, v46
	v_add_nc_u32_e32 v63, v63, v64
	v_mad_u32_u24 v64, v66, 3, v65
	v_mad_u32_u24 v65, v68, 3, v67
	;; [unrolled: 1-line block ×6, first 2 shown]
	v_cmp_lt_i32_e32 vcc_lo, v5, v6
	s_branch .LBB24_2
.LBB24_1:                               ;   in Loop: Header=BB24_2 Depth=1
	s_or_b32 exec_lo, exec_lo, s9
	v_cmp_le_i32_e64 s9, 0x180, v77
	s_wait_dscnt 0x0
	v_cmp_lt_i32_e64 s10, v78, v75
	v_cmp_gt_i32_e64 s11, 0x300, v72
	v_cndmask_b32_e64 v71, v70, v71, s7
	v_cndmask_b32_e64 v72, v73, v74, s8
	s_add_co_i32 s17, s17, 1
	s_or_b32 s7, s9, s10
	s_wait_alu 0xfffe
	s_and_b32 s7, s11, s7
	s_cmp_eq_u32 s17, 10
	s_wait_alu 0xfffe
	v_cndmask_b32_e64 v70, v75, v78, s7
	s_cbranch_scc1 .LBB24_98
.LBB24_2:                               ; =>This Loop Header: Depth=1
                                        ;     Child Loop BB24_4 Depth 2
                                        ;     Child Loop BB24_16 Depth 2
	;; [unrolled: 1-line block ×8, first 2 shown]
	s_wait_loadcnt 0x1
	v_cmp_lt_i32_e64 s7, v72, v71
	v_max_i32_e32 v73, v72, v71
	v_min_i32_e32 v75, v72, v71
	s_wait_loadcnt 0x0
	s_barrier_signal -1
	s_wait_alu 0xf1ff
	v_cndmask_b32_e64 v74, v71, v72, s7
	v_cndmask_b32_e64 v71, v72, v71, s7
	v_cmp_lt_i32_e64 s7, v70, v73
	v_min_i32_e32 v72, v70, v73
	v_cmp_lt_i32_e64 s8, v70, v75
	s_barrier_wait -1
	global_inv scope:SCOPE_SE
	s_wait_alu 0xf1ff
	v_cndmask_b32_e64 v76, v70, v73, s7
	v_cndmask_b32_e64 v70, v71, v70, s7
	;; [unrolled: 1-line block ×3, first 2 shown]
	v_mov_b32_e32 v72, v5
	s_delay_alu instid0(VALU_DEP_3)
	v_cndmask_b32_e64 v70, v70, v75, s8
	ds_store_2addr_b32 v4, v71, v70 offset1:1
	ds_store_b32 v4, v76 offset:8
	s_wait_loadcnt_dscnt 0x0
	s_barrier_signal -1
	s_barrier_wait -1
	global_inv scope:SCOPE_SE
	s_and_saveexec_b32 s8, vcc_lo
	s_cbranch_execz .LBB24_6
; %bb.3:                                ;   in Loop: Header=BB24_2 Depth=1
	v_mov_b32_e32 v72, v5
	v_mov_b32_e32 v70, v6
	s_mov_b32 s9, 0
.LBB24_4:                               ;   Parent Loop BB24_2 Depth=1
                                        ; =>  This Inner Loop Header: Depth=2
	s_delay_alu instid0(VALU_DEP_1) | instskip(NEXT) | instid1(VALU_DEP_1)
	v_sub_nc_u32_e32 v71, v70, v72
	v_lshrrev_b32_e32 v71, 1, v71
	s_delay_alu instid0(VALU_DEP_1) | instskip(NEXT) | instid1(VALU_DEP_1)
	v_add_nc_u32_e32 v71, v71, v72
	v_not_b32_e32 v73, v71
	v_lshl_add_u32 v74, v71, 2, v9
	v_add_nc_u32_e32 v75, 1, v71
	s_delay_alu instid0(VALU_DEP_3)
	v_lshl_add_u32 v73, v73, 2, v55
	ds_load_b32 v74, v74
	ds_load_b32 v73, v73 offset:12
	s_wait_dscnt 0x0
	v_cmp_lt_i32_e64 s7, v73, v74
	s_wait_alu 0xf1ff
	s_delay_alu instid0(VALU_DEP_1) | instskip(SKIP_1) | instid1(VALU_DEP_1)
	v_cndmask_b32_e64 v70, v70, v71, s7
	v_cndmask_b32_e64 v72, v75, v72, s7
	v_cmp_ge_i32_e64 s7, v72, v70
	s_wait_alu 0xfffe
	s_or_b32 s9, s7, s9
	s_wait_alu 0xfffe
	s_and_not1_b32 exec_lo, exec_lo, s9
	s_cbranch_execnz .LBB24_4
; %bb.5:                                ;   in Loop: Header=BB24_2 Depth=1
	s_or_b32 exec_lo, exec_lo, s9
.LBB24_6:                               ;   in Loop: Header=BB24_2 Depth=1
	s_wait_alu 0xfffe
	s_or_b32 exec_lo, exec_lo, s8
	v_sub_nc_u32_e32 v70, v63, v72
	v_lshl_add_u32 v73, v72, 2, v9
	v_add_nc_u32_e32 v74, v72, v3
	v_sub_nc_u32_e32 v75, v10, v72
                                        ; implicit-def: $vgpr72
	s_delay_alu instid0(VALU_DEP_4)
	v_lshlrev_b32_e32 v76, 2, v70
	ds_load_b32 v70, v73
	ds_load_b32 v71, v76 offset:12
	v_cmp_le_i32_e64 s7, v1, v74
	v_cmp_gt_i32_e64 s9, v2, v75
	s_wait_dscnt 0x0
	v_cmp_lt_i32_e64 s8, v71, v70
	s_or_b32 s7, s7, s8
	s_wait_alu 0xfffe
	s_and_b32 s7, s9, s7
	s_wait_alu 0xfffe
	s_xor_b32 s8, s7, -1
	s_wait_alu 0xfffe
	s_and_saveexec_b32 s9, s8
	s_wait_alu 0xfffe
	s_xor_b32 s8, exec_lo, s9
; %bb.7:                                ;   in Loop: Header=BB24_2 Depth=1
	ds_load_b32 v72, v73 offset:4
                                        ; implicit-def: $vgpr76
; %bb.8:                                ;   in Loop: Header=BB24_2 Depth=1
	s_wait_alu 0xfffe
	s_or_saveexec_b32 s8, s8
	v_mov_b32_e32 v73, v71
	s_wait_alu 0xfffe
	s_xor_b32 exec_lo, exec_lo, s8
	s_cbranch_execz .LBB24_10
; %bb.9:                                ;   in Loop: Header=BB24_2 Depth=1
	ds_load_b32 v73, v76 offset:16
	s_wait_dscnt 0x1
	v_mov_b32_e32 v72, v70
.LBB24_10:                              ;   in Loop: Header=BB24_2 Depth=1
	s_or_b32 exec_lo, exec_lo, s8
	v_add_nc_u32_e32 v76, 1, v74
	v_add_nc_u32_e32 v77, 1, v75
	s_wait_dscnt 0x0
	v_cmp_lt_i32_e64 s9, v73, v72
	s_delay_alu instid0(VALU_DEP_3) | instskip(NEXT) | instid1(VALU_DEP_3)
	v_cndmask_b32_e64 v76, v76, v74, s7
	v_cndmask_b32_e64 v75, v75, v77, s7
                                        ; implicit-def: $vgpr74
	s_delay_alu instid0(VALU_DEP_2) | instskip(NEXT) | instid1(VALU_DEP_2)
	v_cmp_ge_i32_e64 s8, v76, v1
	v_cmp_lt_i32_e64 s10, v75, v2
	s_or_b32 s8, s8, s9
	s_wait_alu 0xfffe
	s_and_b32 s8, s10, s8
	s_wait_alu 0xfffe
	s_xor_b32 s9, s8, -1
	s_wait_alu 0xfffe
	s_and_saveexec_b32 s10, s9
	s_delay_alu instid0(SALU_CYCLE_1)
	s_xor_b32 s9, exec_lo, s10
; %bb.11:                               ;   in Loop: Header=BB24_2 Depth=1
	v_lshlrev_b32_e32 v74, 2, v76
	ds_load_b32 v74, v74 offset:4
; %bb.12:                               ;   in Loop: Header=BB24_2 Depth=1
	s_wait_alu 0xfffe
	s_or_saveexec_b32 s9, s9
	v_mov_b32_e32 v77, v73
	s_wait_alu 0xfffe
	s_xor_b32 exec_lo, exec_lo, s9
	s_cbranch_execz .LBB24_14
; %bb.13:                               ;   in Loop: Header=BB24_2 Depth=1
	s_wait_dscnt 0x0
	v_lshlrev_b32_e32 v74, 2, v75
	ds_load_b32 v77, v74 offset:4
	v_mov_b32_e32 v74, v72
.LBB24_14:                              ;   in Loop: Header=BB24_2 Depth=1
	s_or_b32 exec_lo, exec_lo, s9
	v_add_nc_u32_e32 v78, 1, v76
	v_add_nc_u32_e32 v79, 1, v75
	v_cndmask_b32_e64 v73, v72, v73, s8
	v_mov_b32_e32 v72, v14
	s_wait_dscnt 0x0
	v_cmp_lt_i32_e64 s9, v77, v74
	v_cndmask_b32_e64 v76, v78, v76, s8
	v_cndmask_b32_e64 v75, v75, v79, s8
	;; [unrolled: 1-line block ×3, first 2 shown]
	s_wait_loadcnt 0x0
	s_barrier_signal -1
	v_cmp_ge_i32_e64 s10, v76, v1
	v_cmp_lt_i32_e64 s8, v75, v2
	s_barrier_wait -1
	global_inv scope:SCOPE_SE
	s_or_b32 s7, s10, s9
	s_wait_alu 0xfffe
	s_and_b32 s7, s8, s7
	s_wait_alu 0xfffe
	v_cndmask_b32_e64 v71, v74, v77, s7
	ds_store_2addr_b32 v4, v70, v73 offset1:1
	ds_store_b32 v4, v71 offset:8
	s_wait_loadcnt_dscnt 0x0
	s_barrier_signal -1
	s_barrier_wait -1
	global_inv scope:SCOPE_SE
	s_and_saveexec_b32 s8, s0
	s_cbranch_execz .LBB24_18
; %bb.15:                               ;   in Loop: Header=BB24_2 Depth=1
	v_mov_b32_e32 v72, v14
	v_mov_b32_e32 v70, v16
	s_mov_b32 s9, 0
.LBB24_16:                              ;   Parent Loop BB24_2 Depth=1
                                        ; =>  This Inner Loop Header: Depth=2
	s_delay_alu instid0(VALU_DEP_1) | instskip(NEXT) | instid1(VALU_DEP_1)
	v_sub_nc_u32_e32 v71, v70, v72
	v_lshrrev_b32_e32 v71, 1, v71
	s_delay_alu instid0(VALU_DEP_1) | instskip(NEXT) | instid1(VALU_DEP_1)
	v_add_nc_u32_e32 v71, v71, v72
	v_not_b32_e32 v73, v71
	v_lshl_add_u32 v74, v71, 2, v17
	v_add_nc_u32_e32 v75, 1, v71
	s_delay_alu instid0(VALU_DEP_3)
	v_lshl_add_u32 v73, v73, 2, v56
	ds_load_b32 v74, v74
	ds_load_b32 v73, v73 offset:24
	s_wait_dscnt 0x0
	v_cmp_lt_i32_e64 s7, v73, v74
	s_wait_alu 0xf1ff
	s_delay_alu instid0(VALU_DEP_1) | instskip(SKIP_1) | instid1(VALU_DEP_1)
	v_cndmask_b32_e64 v70, v70, v71, s7
	v_cndmask_b32_e64 v72, v75, v72, s7
	v_cmp_ge_i32_e64 s7, v72, v70
	s_wait_alu 0xfffe
	s_or_b32 s9, s7, s9
	s_wait_alu 0xfffe
	s_and_not1_b32 exec_lo, exec_lo, s9
	s_cbranch_execnz .LBB24_16
; %bb.17:                               ;   in Loop: Header=BB24_2 Depth=1
	s_or_b32 exec_lo, exec_lo, s9
.LBB24_18:                              ;   in Loop: Header=BB24_2 Depth=1
	s_wait_alu 0xfffe
	s_or_b32 exec_lo, exec_lo, s8
	v_sub_nc_u32_e32 v70, v64, v72
	v_lshl_add_u32 v73, v72, 2, v17
	v_add_nc_u32_e32 v74, v72, v11
	v_sub_nc_u32_e32 v75, v20, v72
                                        ; implicit-def: $vgpr72
	s_delay_alu instid0(VALU_DEP_4)
	v_lshlrev_b32_e32 v76, 2, v70
	ds_load_b32 v70, v73
	ds_load_b32 v71, v76 offset:24
	v_cmp_le_i32_e64 s7, v7, v74
	v_cmp_gt_i32_e64 s9, v8, v75
	s_wait_dscnt 0x0
	v_cmp_lt_i32_e64 s8, v71, v70
	s_or_b32 s7, s7, s8
	s_wait_alu 0xfffe
	s_and_b32 s7, s9, s7
	s_wait_alu 0xfffe
	s_xor_b32 s8, s7, -1
	s_wait_alu 0xfffe
	s_and_saveexec_b32 s9, s8
	s_wait_alu 0xfffe
	s_xor_b32 s8, exec_lo, s9
; %bb.19:                               ;   in Loop: Header=BB24_2 Depth=1
	ds_load_b32 v72, v73 offset:4
                                        ; implicit-def: $vgpr76
; %bb.20:                               ;   in Loop: Header=BB24_2 Depth=1
	s_wait_alu 0xfffe
	s_or_saveexec_b32 s8, s8
	v_mov_b32_e32 v73, v71
	s_wait_alu 0xfffe
	s_xor_b32 exec_lo, exec_lo, s8
	s_cbranch_execz .LBB24_22
; %bb.21:                               ;   in Loop: Header=BB24_2 Depth=1
	ds_load_b32 v73, v76 offset:28
	s_wait_dscnt 0x1
	v_mov_b32_e32 v72, v70
.LBB24_22:                              ;   in Loop: Header=BB24_2 Depth=1
	s_or_b32 exec_lo, exec_lo, s8
	v_add_nc_u32_e32 v76, 1, v74
	v_add_nc_u32_e32 v77, 1, v75
	s_wait_dscnt 0x0
	v_cmp_lt_i32_e64 s9, v73, v72
	s_delay_alu instid0(VALU_DEP_3) | instskip(NEXT) | instid1(VALU_DEP_3)
	v_cndmask_b32_e64 v76, v76, v74, s7
	v_cndmask_b32_e64 v75, v75, v77, s7
                                        ; implicit-def: $vgpr74
	s_delay_alu instid0(VALU_DEP_2) | instskip(NEXT) | instid1(VALU_DEP_2)
	v_cmp_ge_i32_e64 s8, v76, v7
	v_cmp_lt_i32_e64 s10, v75, v8
	s_or_b32 s8, s8, s9
	s_wait_alu 0xfffe
	s_and_b32 s8, s10, s8
	s_wait_alu 0xfffe
	s_xor_b32 s9, s8, -1
	s_wait_alu 0xfffe
	s_and_saveexec_b32 s10, s9
	s_delay_alu instid0(SALU_CYCLE_1)
	s_xor_b32 s9, exec_lo, s10
; %bb.23:                               ;   in Loop: Header=BB24_2 Depth=1
	v_lshlrev_b32_e32 v74, 2, v76
	ds_load_b32 v74, v74 offset:4
; %bb.24:                               ;   in Loop: Header=BB24_2 Depth=1
	s_wait_alu 0xfffe
	s_or_saveexec_b32 s9, s9
	v_mov_b32_e32 v77, v73
	s_wait_alu 0xfffe
	s_xor_b32 exec_lo, exec_lo, s9
	s_cbranch_execz .LBB24_26
; %bb.25:                               ;   in Loop: Header=BB24_2 Depth=1
	s_wait_dscnt 0x0
	v_lshlrev_b32_e32 v74, 2, v75
	ds_load_b32 v77, v74 offset:4
	v_mov_b32_e32 v74, v72
.LBB24_26:                              ;   in Loop: Header=BB24_2 Depth=1
	s_or_b32 exec_lo, exec_lo, s9
	v_add_nc_u32_e32 v78, 1, v76
	v_add_nc_u32_e32 v79, 1, v75
	v_cndmask_b32_e64 v73, v72, v73, s8
	v_mov_b32_e32 v72, v18
	s_wait_dscnt 0x0
	v_cmp_lt_i32_e64 s9, v77, v74
	v_cndmask_b32_e64 v76, v78, v76, s8
	v_cndmask_b32_e64 v75, v75, v79, s8
	;; [unrolled: 1-line block ×3, first 2 shown]
	s_wait_loadcnt 0x0
	s_barrier_signal -1
	v_cmp_ge_i32_e64 s10, v76, v7
	v_cmp_lt_i32_e64 s8, v75, v8
	s_barrier_wait -1
	global_inv scope:SCOPE_SE
	s_or_b32 s7, s10, s9
	s_wait_alu 0xfffe
	s_and_b32 s7, s8, s7
	s_wait_alu 0xfffe
	v_cndmask_b32_e64 v71, v74, v77, s7
	ds_store_2addr_b32 v4, v70, v73 offset1:1
	ds_store_b32 v4, v71 offset:8
	s_wait_loadcnt_dscnt 0x0
	s_barrier_signal -1
	s_barrier_wait -1
	global_inv scope:SCOPE_SE
	s_and_saveexec_b32 s8, s1
	s_cbranch_execz .LBB24_30
; %bb.27:                               ;   in Loop: Header=BB24_2 Depth=1
	v_mov_b32_e32 v72, v18
	v_mov_b32_e32 v70, v19
	s_mov_b32 s9, 0
.LBB24_28:                              ;   Parent Loop BB24_2 Depth=1
                                        ; =>  This Inner Loop Header: Depth=2
	s_delay_alu instid0(VALU_DEP_1) | instskip(NEXT) | instid1(VALU_DEP_1)
	v_sub_nc_u32_e32 v71, v70, v72
	v_lshrrev_b32_e32 v71, 1, v71
	s_delay_alu instid0(VALU_DEP_1) | instskip(NEXT) | instid1(VALU_DEP_1)
	v_add_nc_u32_e32 v71, v71, v72
	v_not_b32_e32 v73, v71
	v_lshl_add_u32 v74, v71, 2, v21
	v_add_nc_u32_e32 v75, 1, v71
	s_delay_alu instid0(VALU_DEP_3)
	v_lshl_add_u32 v73, v73, 2, v57
	ds_load_b32 v74, v74
	ds_load_b32 v73, v73 offset:48
	s_wait_dscnt 0x0
	v_cmp_lt_i32_e64 s7, v73, v74
	s_wait_alu 0xf1ff
	s_delay_alu instid0(VALU_DEP_1) | instskip(SKIP_1) | instid1(VALU_DEP_1)
	v_cndmask_b32_e64 v70, v70, v71, s7
	v_cndmask_b32_e64 v72, v75, v72, s7
	v_cmp_ge_i32_e64 s7, v72, v70
	s_wait_alu 0xfffe
	s_or_b32 s9, s7, s9
	s_wait_alu 0xfffe
	s_and_not1_b32 exec_lo, exec_lo, s9
	s_cbranch_execnz .LBB24_28
; %bb.29:                               ;   in Loop: Header=BB24_2 Depth=1
	s_or_b32 exec_lo, exec_lo, s9
.LBB24_30:                              ;   in Loop: Header=BB24_2 Depth=1
	s_wait_alu 0xfffe
	s_or_b32 exec_lo, exec_lo, s8
	v_sub_nc_u32_e32 v70, v65, v72
	v_lshl_add_u32 v73, v72, 2, v21
	v_add_nc_u32_e32 v74, v72, v15
	v_sub_nc_u32_e32 v75, v25, v72
                                        ; implicit-def: $vgpr72
	s_delay_alu instid0(VALU_DEP_4)
	v_lshlrev_b32_e32 v76, 2, v70
	ds_load_b32 v70, v73
	ds_load_b32 v71, v76 offset:48
	v_cmp_le_i32_e64 s7, v12, v74
	v_cmp_gt_i32_e64 s9, v13, v75
	s_wait_dscnt 0x0
	v_cmp_lt_i32_e64 s8, v71, v70
	s_or_b32 s7, s7, s8
	s_wait_alu 0xfffe
	s_and_b32 s7, s9, s7
	s_wait_alu 0xfffe
	s_xor_b32 s8, s7, -1
	s_wait_alu 0xfffe
	s_and_saveexec_b32 s9, s8
	s_wait_alu 0xfffe
	s_xor_b32 s8, exec_lo, s9
; %bb.31:                               ;   in Loop: Header=BB24_2 Depth=1
	ds_load_b32 v72, v73 offset:4
                                        ; implicit-def: $vgpr76
; %bb.32:                               ;   in Loop: Header=BB24_2 Depth=1
	s_wait_alu 0xfffe
	s_or_saveexec_b32 s8, s8
	v_mov_b32_e32 v73, v71
	s_wait_alu 0xfffe
	s_xor_b32 exec_lo, exec_lo, s8
	s_cbranch_execz .LBB24_34
; %bb.33:                               ;   in Loop: Header=BB24_2 Depth=1
	ds_load_b32 v73, v76 offset:52
	s_wait_dscnt 0x1
	v_mov_b32_e32 v72, v70
.LBB24_34:                              ;   in Loop: Header=BB24_2 Depth=1
	s_or_b32 exec_lo, exec_lo, s8
	v_add_nc_u32_e32 v76, 1, v74
	v_add_nc_u32_e32 v77, 1, v75
	s_wait_dscnt 0x0
	v_cmp_lt_i32_e64 s9, v73, v72
	s_delay_alu instid0(VALU_DEP_3) | instskip(NEXT) | instid1(VALU_DEP_3)
	v_cndmask_b32_e64 v76, v76, v74, s7
	v_cndmask_b32_e64 v75, v75, v77, s7
                                        ; implicit-def: $vgpr74
	s_delay_alu instid0(VALU_DEP_2) | instskip(NEXT) | instid1(VALU_DEP_2)
	v_cmp_ge_i32_e64 s8, v76, v12
	v_cmp_lt_i32_e64 s10, v75, v13
	s_or_b32 s8, s8, s9
	s_wait_alu 0xfffe
	s_and_b32 s8, s10, s8
	s_wait_alu 0xfffe
	s_xor_b32 s9, s8, -1
	s_wait_alu 0xfffe
	s_and_saveexec_b32 s10, s9
	s_delay_alu instid0(SALU_CYCLE_1)
	s_xor_b32 s9, exec_lo, s10
; %bb.35:                               ;   in Loop: Header=BB24_2 Depth=1
	v_lshlrev_b32_e32 v74, 2, v76
	ds_load_b32 v74, v74 offset:4
; %bb.36:                               ;   in Loop: Header=BB24_2 Depth=1
	s_wait_alu 0xfffe
	s_or_saveexec_b32 s9, s9
	v_mov_b32_e32 v77, v73
	s_wait_alu 0xfffe
	s_xor_b32 exec_lo, exec_lo, s9
	s_cbranch_execz .LBB24_38
; %bb.37:                               ;   in Loop: Header=BB24_2 Depth=1
	s_wait_dscnt 0x0
	v_lshlrev_b32_e32 v74, 2, v75
	ds_load_b32 v77, v74 offset:4
	v_mov_b32_e32 v74, v72
.LBB24_38:                              ;   in Loop: Header=BB24_2 Depth=1
	s_or_b32 exec_lo, exec_lo, s9
	v_add_nc_u32_e32 v78, 1, v76
	v_add_nc_u32_e32 v79, 1, v75
	v_cndmask_b32_e64 v73, v72, v73, s8
	v_mov_b32_e32 v72, v29
	s_wait_dscnt 0x0
	v_cmp_lt_i32_e64 s9, v77, v74
	v_cndmask_b32_e64 v76, v78, v76, s8
	v_cndmask_b32_e64 v75, v75, v79, s8
	;; [unrolled: 1-line block ×3, first 2 shown]
	s_wait_loadcnt 0x0
	s_barrier_signal -1
	v_cmp_ge_i32_e64 s10, v76, v12
	v_cmp_lt_i32_e64 s8, v75, v13
	s_barrier_wait -1
	global_inv scope:SCOPE_SE
	s_or_b32 s7, s10, s9
	s_wait_alu 0xfffe
	s_and_b32 s7, s8, s7
	s_wait_alu 0xfffe
	v_cndmask_b32_e64 v71, v74, v77, s7
	ds_store_2addr_b32 v4, v70, v73 offset1:1
	ds_store_b32 v4, v71 offset:8
	s_wait_loadcnt_dscnt 0x0
	s_barrier_signal -1
	s_barrier_wait -1
	global_inv scope:SCOPE_SE
	s_and_saveexec_b32 s8, s2
	s_cbranch_execz .LBB24_42
; %bb.39:                               ;   in Loop: Header=BB24_2 Depth=1
	v_mov_b32_e32 v72, v29
	v_mov_b32_e32 v70, v30
	s_mov_b32 s9, 0
.LBB24_40:                              ;   Parent Loop BB24_2 Depth=1
                                        ; =>  This Inner Loop Header: Depth=2
	s_delay_alu instid0(VALU_DEP_1) | instskip(NEXT) | instid1(VALU_DEP_1)
	v_sub_nc_u32_e32 v71, v70, v72
	v_lshrrev_b32_e32 v71, 1, v71
	s_delay_alu instid0(VALU_DEP_1) | instskip(NEXT) | instid1(VALU_DEP_1)
	v_add_nc_u32_e32 v71, v71, v72
	v_not_b32_e32 v73, v71
	v_lshl_add_u32 v74, v71, 2, v26
	v_add_nc_u32_e32 v75, 1, v71
	s_delay_alu instid0(VALU_DEP_3)
	v_lshl_add_u32 v73, v73, 2, v58
	ds_load_b32 v74, v74
	ds_load_b32 v73, v73 offset:96
	s_wait_dscnt 0x0
	v_cmp_lt_i32_e64 s7, v73, v74
	s_wait_alu 0xf1ff
	s_delay_alu instid0(VALU_DEP_1) | instskip(SKIP_1) | instid1(VALU_DEP_1)
	v_cndmask_b32_e64 v70, v70, v71, s7
	v_cndmask_b32_e64 v72, v75, v72, s7
	v_cmp_ge_i32_e64 s7, v72, v70
	s_wait_alu 0xfffe
	s_or_b32 s9, s7, s9
	s_wait_alu 0xfffe
	s_and_not1_b32 exec_lo, exec_lo, s9
	s_cbranch_execnz .LBB24_40
; %bb.41:                               ;   in Loop: Header=BB24_2 Depth=1
	s_or_b32 exec_lo, exec_lo, s9
.LBB24_42:                              ;   in Loop: Header=BB24_2 Depth=1
	s_wait_alu 0xfffe
	s_or_b32 exec_lo, exec_lo, s8
	v_sub_nc_u32_e32 v70, v66, v72
	v_lshl_add_u32 v73, v72, 2, v26
	v_add_nc_u32_e32 v74, v72, v24
	v_sub_nc_u32_e32 v75, v32, v72
                                        ; implicit-def: $vgpr72
	s_delay_alu instid0(VALU_DEP_4)
	v_lshlrev_b32_e32 v76, 2, v70
	ds_load_b32 v70, v73
	ds_load_b32 v71, v76 offset:96
	v_cmp_le_i32_e64 s7, v22, v74
	v_cmp_gt_i32_e64 s9, v23, v75
	s_wait_dscnt 0x0
	v_cmp_lt_i32_e64 s8, v71, v70
	s_or_b32 s7, s7, s8
	s_wait_alu 0xfffe
	s_and_b32 s7, s9, s7
	s_wait_alu 0xfffe
	s_xor_b32 s8, s7, -1
	s_wait_alu 0xfffe
	s_and_saveexec_b32 s9, s8
	s_wait_alu 0xfffe
	s_xor_b32 s8, exec_lo, s9
; %bb.43:                               ;   in Loop: Header=BB24_2 Depth=1
	ds_load_b32 v72, v73 offset:4
                                        ; implicit-def: $vgpr76
; %bb.44:                               ;   in Loop: Header=BB24_2 Depth=1
	s_wait_alu 0xfffe
	s_or_saveexec_b32 s8, s8
	v_mov_b32_e32 v73, v71
	s_wait_alu 0xfffe
	s_xor_b32 exec_lo, exec_lo, s8
	s_cbranch_execz .LBB24_46
; %bb.45:                               ;   in Loop: Header=BB24_2 Depth=1
	ds_load_b32 v73, v76 offset:100
	s_wait_dscnt 0x1
	v_mov_b32_e32 v72, v70
.LBB24_46:                              ;   in Loop: Header=BB24_2 Depth=1
	s_or_b32 exec_lo, exec_lo, s8
	v_add_nc_u32_e32 v76, 1, v74
	v_add_nc_u32_e32 v77, 1, v75
	s_wait_dscnt 0x0
	v_cmp_lt_i32_e64 s9, v73, v72
	s_delay_alu instid0(VALU_DEP_3) | instskip(NEXT) | instid1(VALU_DEP_3)
	v_cndmask_b32_e64 v76, v76, v74, s7
	v_cndmask_b32_e64 v75, v75, v77, s7
                                        ; implicit-def: $vgpr74
	s_delay_alu instid0(VALU_DEP_2) | instskip(NEXT) | instid1(VALU_DEP_2)
	v_cmp_ge_i32_e64 s8, v76, v22
	v_cmp_lt_i32_e64 s10, v75, v23
	s_or_b32 s8, s8, s9
	s_wait_alu 0xfffe
	s_and_b32 s8, s10, s8
	s_wait_alu 0xfffe
	s_xor_b32 s9, s8, -1
	s_wait_alu 0xfffe
	s_and_saveexec_b32 s10, s9
	s_delay_alu instid0(SALU_CYCLE_1)
	s_xor_b32 s9, exec_lo, s10
; %bb.47:                               ;   in Loop: Header=BB24_2 Depth=1
	v_lshlrev_b32_e32 v74, 2, v76
	ds_load_b32 v74, v74 offset:4
; %bb.48:                               ;   in Loop: Header=BB24_2 Depth=1
	s_wait_alu 0xfffe
	s_or_saveexec_b32 s9, s9
	v_mov_b32_e32 v77, v73
	s_wait_alu 0xfffe
	s_xor_b32 exec_lo, exec_lo, s9
	s_cbranch_execz .LBB24_50
; %bb.49:                               ;   in Loop: Header=BB24_2 Depth=1
	s_wait_dscnt 0x0
	v_lshlrev_b32_e32 v74, 2, v75
	ds_load_b32 v77, v74 offset:4
	v_mov_b32_e32 v74, v72
.LBB24_50:                              ;   in Loop: Header=BB24_2 Depth=1
	s_or_b32 exec_lo, exec_lo, s9
	v_add_nc_u32_e32 v78, 1, v76
	v_add_nc_u32_e32 v79, 1, v75
	v_cndmask_b32_e64 v73, v72, v73, s8
	v_mov_b32_e32 v72, v33
	s_wait_dscnt 0x0
	v_cmp_lt_i32_e64 s9, v77, v74
	v_cndmask_b32_e64 v76, v78, v76, s8
	v_cndmask_b32_e64 v75, v75, v79, s8
	;; [unrolled: 1-line block ×3, first 2 shown]
	s_wait_loadcnt 0x0
	s_barrier_signal -1
	v_cmp_ge_i32_e64 s10, v76, v22
	v_cmp_lt_i32_e64 s8, v75, v23
	s_barrier_wait -1
	global_inv scope:SCOPE_SE
	s_or_b32 s7, s10, s9
	s_wait_alu 0xfffe
	s_and_b32 s7, s8, s7
	s_wait_alu 0xfffe
	v_cndmask_b32_e64 v71, v74, v77, s7
	ds_store_2addr_b32 v4, v70, v73 offset1:1
	ds_store_b32 v4, v71 offset:8
	s_wait_loadcnt_dscnt 0x0
	s_barrier_signal -1
	s_barrier_wait -1
	global_inv scope:SCOPE_SE
	s_and_saveexec_b32 s8, s3
	s_cbranch_execz .LBB24_54
; %bb.51:                               ;   in Loop: Header=BB24_2 Depth=1
	v_mov_b32_e32 v72, v33
	v_mov_b32_e32 v70, v36
	s_mov_b32 s9, 0
.LBB24_52:                              ;   Parent Loop BB24_2 Depth=1
                                        ; =>  This Inner Loop Header: Depth=2
	s_delay_alu instid0(VALU_DEP_1) | instskip(NEXT) | instid1(VALU_DEP_1)
	v_sub_nc_u32_e32 v71, v70, v72
	v_lshrrev_b32_e32 v71, 1, v71
	s_delay_alu instid0(VALU_DEP_1) | instskip(NEXT) | instid1(VALU_DEP_1)
	v_add_nc_u32_e32 v71, v71, v72
	v_not_b32_e32 v73, v71
	v_lshl_add_u32 v74, v71, 2, v37
	v_add_nc_u32_e32 v75, 1, v71
	s_delay_alu instid0(VALU_DEP_3)
	v_lshl_add_u32 v73, v73, 2, v59
	ds_load_b32 v74, v74
	ds_load_b32 v73, v73 offset:192
	s_wait_dscnt 0x0
	v_cmp_lt_i32_e64 s7, v73, v74
	s_wait_alu 0xf1ff
	s_delay_alu instid0(VALU_DEP_1) | instskip(SKIP_1) | instid1(VALU_DEP_1)
	v_cndmask_b32_e64 v70, v70, v71, s7
	v_cndmask_b32_e64 v72, v75, v72, s7
	v_cmp_ge_i32_e64 s7, v72, v70
	s_wait_alu 0xfffe
	s_or_b32 s9, s7, s9
	s_wait_alu 0xfffe
	s_and_not1_b32 exec_lo, exec_lo, s9
	s_cbranch_execnz .LBB24_52
; %bb.53:                               ;   in Loop: Header=BB24_2 Depth=1
	s_or_b32 exec_lo, exec_lo, s9
.LBB24_54:                              ;   in Loop: Header=BB24_2 Depth=1
	s_wait_alu 0xfffe
	s_or_b32 exec_lo, exec_lo, s8
	v_sub_nc_u32_e32 v70, v67, v72
	v_lshl_add_u32 v73, v72, 2, v37
	v_add_nc_u32_e32 v74, v72, v31
	v_sub_nc_u32_e32 v75, v44, v72
                                        ; implicit-def: $vgpr72
	s_delay_alu instid0(VALU_DEP_4)
	v_lshlrev_b32_e32 v76, 2, v70
	ds_load_b32 v70, v73
	ds_load_b32 v71, v76 offset:192
	v_cmp_le_i32_e64 s7, v27, v74
	v_cmp_gt_i32_e64 s9, v28, v75
	s_wait_dscnt 0x0
	v_cmp_lt_i32_e64 s8, v71, v70
	s_or_b32 s7, s7, s8
	s_wait_alu 0xfffe
	s_and_b32 s7, s9, s7
	s_wait_alu 0xfffe
	s_xor_b32 s8, s7, -1
	s_wait_alu 0xfffe
	s_and_saveexec_b32 s9, s8
	s_wait_alu 0xfffe
	s_xor_b32 s8, exec_lo, s9
; %bb.55:                               ;   in Loop: Header=BB24_2 Depth=1
	ds_load_b32 v72, v73 offset:4
                                        ; implicit-def: $vgpr76
; %bb.56:                               ;   in Loop: Header=BB24_2 Depth=1
	s_wait_alu 0xfffe
	s_or_saveexec_b32 s8, s8
	v_mov_b32_e32 v73, v71
	s_wait_alu 0xfffe
	s_xor_b32 exec_lo, exec_lo, s8
	s_cbranch_execz .LBB24_58
; %bb.57:                               ;   in Loop: Header=BB24_2 Depth=1
	ds_load_b32 v73, v76 offset:196
	s_wait_dscnt 0x1
	v_mov_b32_e32 v72, v70
.LBB24_58:                              ;   in Loop: Header=BB24_2 Depth=1
	s_or_b32 exec_lo, exec_lo, s8
	v_add_nc_u32_e32 v76, 1, v74
	v_add_nc_u32_e32 v77, 1, v75
	s_wait_dscnt 0x0
	v_cmp_lt_i32_e64 s9, v73, v72
	s_delay_alu instid0(VALU_DEP_3) | instskip(NEXT) | instid1(VALU_DEP_3)
	v_cndmask_b32_e64 v76, v76, v74, s7
	v_cndmask_b32_e64 v75, v75, v77, s7
                                        ; implicit-def: $vgpr74
	s_delay_alu instid0(VALU_DEP_2) | instskip(NEXT) | instid1(VALU_DEP_2)
	v_cmp_ge_i32_e64 s8, v76, v27
	v_cmp_lt_i32_e64 s10, v75, v28
	s_or_b32 s8, s8, s9
	s_wait_alu 0xfffe
	s_and_b32 s8, s10, s8
	s_wait_alu 0xfffe
	s_xor_b32 s9, s8, -1
	s_wait_alu 0xfffe
	s_and_saveexec_b32 s10, s9
	s_delay_alu instid0(SALU_CYCLE_1)
	s_xor_b32 s9, exec_lo, s10
; %bb.59:                               ;   in Loop: Header=BB24_2 Depth=1
	v_lshlrev_b32_e32 v74, 2, v76
	ds_load_b32 v74, v74 offset:4
; %bb.60:                               ;   in Loop: Header=BB24_2 Depth=1
	s_wait_alu 0xfffe
	s_or_saveexec_b32 s9, s9
	v_mov_b32_e32 v77, v73
	s_wait_alu 0xfffe
	s_xor_b32 exec_lo, exec_lo, s9
	s_cbranch_execz .LBB24_62
; %bb.61:                               ;   in Loop: Header=BB24_2 Depth=1
	s_wait_dscnt 0x0
	v_lshlrev_b32_e32 v74, 2, v75
	ds_load_b32 v77, v74 offset:4
	v_mov_b32_e32 v74, v72
.LBB24_62:                              ;   in Loop: Header=BB24_2 Depth=1
	s_or_b32 exec_lo, exec_lo, s9
	v_add_nc_u32_e32 v78, 1, v76
	v_add_nc_u32_e32 v79, 1, v75
	v_cndmask_b32_e64 v73, v72, v73, s8
	v_mov_b32_e32 v72, v41
	s_wait_dscnt 0x0
	v_cmp_lt_i32_e64 s9, v77, v74
	v_cndmask_b32_e64 v76, v78, v76, s8
	v_cndmask_b32_e64 v75, v75, v79, s8
	;; [unrolled: 1-line block ×3, first 2 shown]
	s_wait_loadcnt 0x0
	s_barrier_signal -1
	v_cmp_ge_i32_e64 s10, v76, v27
	v_cmp_lt_i32_e64 s8, v75, v28
	s_barrier_wait -1
	global_inv scope:SCOPE_SE
	s_or_b32 s7, s10, s9
	s_wait_alu 0xfffe
	s_and_b32 s7, s8, s7
	s_wait_alu 0xfffe
	v_cndmask_b32_e64 v71, v74, v77, s7
	ds_store_2addr_b32 v4, v70, v73 offset1:1
	ds_store_b32 v4, v71 offset:8
	s_wait_loadcnt_dscnt 0x0
	s_barrier_signal -1
	s_barrier_wait -1
	global_inv scope:SCOPE_SE
	s_and_saveexec_b32 s8, s4
	s_cbranch_execz .LBB24_66
; %bb.63:                               ;   in Loop: Header=BB24_2 Depth=1
	v_mov_b32_e32 v72, v41
	v_mov_b32_e32 v70, v43
	s_mov_b32 s9, 0
.LBB24_64:                              ;   Parent Loop BB24_2 Depth=1
                                        ; =>  This Inner Loop Header: Depth=2
	s_delay_alu instid0(VALU_DEP_1) | instskip(NEXT) | instid1(VALU_DEP_1)
	v_sub_nc_u32_e32 v71, v70, v72
	v_lshrrev_b32_e32 v71, 1, v71
	s_delay_alu instid0(VALU_DEP_1) | instskip(NEXT) | instid1(VALU_DEP_1)
	v_add_nc_u32_e32 v71, v71, v72
	v_not_b32_e32 v73, v71
	v_lshl_add_u32 v74, v71, 2, v45
	v_add_nc_u32_e32 v75, 1, v71
	s_delay_alu instid0(VALU_DEP_3)
	v_lshl_add_u32 v73, v73, 2, v60
	ds_load_b32 v74, v74
	ds_load_b32 v73, v73 offset:384
	s_wait_dscnt 0x0
	v_cmp_lt_i32_e64 s7, v73, v74
	s_wait_alu 0xf1ff
	s_delay_alu instid0(VALU_DEP_1) | instskip(SKIP_1) | instid1(VALU_DEP_1)
	v_cndmask_b32_e64 v70, v70, v71, s7
	v_cndmask_b32_e64 v72, v75, v72, s7
	v_cmp_ge_i32_e64 s7, v72, v70
	s_wait_alu 0xfffe
	s_or_b32 s9, s7, s9
	s_wait_alu 0xfffe
	s_and_not1_b32 exec_lo, exec_lo, s9
	s_cbranch_execnz .LBB24_64
; %bb.65:                               ;   in Loop: Header=BB24_2 Depth=1
	s_or_b32 exec_lo, exec_lo, s9
.LBB24_66:                              ;   in Loop: Header=BB24_2 Depth=1
	s_wait_alu 0xfffe
	s_or_b32 exec_lo, exec_lo, s8
	v_sub_nc_u32_e32 v70, v68, v72
	v_lshl_add_u32 v73, v72, 2, v45
	v_add_nc_u32_e32 v74, v72, v38
	v_sub_nc_u32_e32 v75, v49, v72
                                        ; implicit-def: $vgpr72
	s_delay_alu instid0(VALU_DEP_4)
	v_lshlrev_b32_e32 v76, 2, v70
	ds_load_b32 v70, v73
	ds_load_b32 v71, v76 offset:384
	v_cmp_le_i32_e64 s7, v34, v74
	v_cmp_gt_i32_e64 s9, v35, v75
	s_wait_dscnt 0x0
	v_cmp_lt_i32_e64 s8, v71, v70
	s_or_b32 s7, s7, s8
	s_wait_alu 0xfffe
	s_and_b32 s7, s9, s7
	s_wait_alu 0xfffe
	s_xor_b32 s8, s7, -1
	s_wait_alu 0xfffe
	s_and_saveexec_b32 s9, s8
	s_wait_alu 0xfffe
	s_xor_b32 s8, exec_lo, s9
; %bb.67:                               ;   in Loop: Header=BB24_2 Depth=1
	ds_load_b32 v72, v73 offset:4
                                        ; implicit-def: $vgpr76
; %bb.68:                               ;   in Loop: Header=BB24_2 Depth=1
	s_wait_alu 0xfffe
	s_or_saveexec_b32 s8, s8
	v_mov_b32_e32 v73, v71
	s_wait_alu 0xfffe
	s_xor_b32 exec_lo, exec_lo, s8
	s_cbranch_execz .LBB24_70
; %bb.69:                               ;   in Loop: Header=BB24_2 Depth=1
	ds_load_b32 v73, v76 offset:388
	s_wait_dscnt 0x1
	v_mov_b32_e32 v72, v70
.LBB24_70:                              ;   in Loop: Header=BB24_2 Depth=1
	s_or_b32 exec_lo, exec_lo, s8
	v_add_nc_u32_e32 v76, 1, v74
	v_add_nc_u32_e32 v77, 1, v75
	s_wait_dscnt 0x0
	v_cmp_lt_i32_e64 s9, v73, v72
	s_delay_alu instid0(VALU_DEP_3) | instskip(NEXT) | instid1(VALU_DEP_3)
	v_cndmask_b32_e64 v76, v76, v74, s7
	v_cndmask_b32_e64 v75, v75, v77, s7
                                        ; implicit-def: $vgpr74
	s_delay_alu instid0(VALU_DEP_2) | instskip(NEXT) | instid1(VALU_DEP_2)
	v_cmp_ge_i32_e64 s8, v76, v34
	v_cmp_lt_i32_e64 s10, v75, v35
	s_or_b32 s8, s8, s9
	s_wait_alu 0xfffe
	s_and_b32 s8, s10, s8
	s_wait_alu 0xfffe
	s_xor_b32 s9, s8, -1
	s_wait_alu 0xfffe
	s_and_saveexec_b32 s10, s9
	s_delay_alu instid0(SALU_CYCLE_1)
	s_xor_b32 s9, exec_lo, s10
; %bb.71:                               ;   in Loop: Header=BB24_2 Depth=1
	v_lshlrev_b32_e32 v74, 2, v76
	ds_load_b32 v74, v74 offset:4
; %bb.72:                               ;   in Loop: Header=BB24_2 Depth=1
	s_wait_alu 0xfffe
	s_or_saveexec_b32 s9, s9
	v_mov_b32_e32 v77, v73
	s_wait_alu 0xfffe
	s_xor_b32 exec_lo, exec_lo, s9
	s_cbranch_execz .LBB24_74
; %bb.73:                               ;   in Loop: Header=BB24_2 Depth=1
	s_wait_dscnt 0x0
	v_lshlrev_b32_e32 v74, 2, v75
	ds_load_b32 v77, v74 offset:4
	v_mov_b32_e32 v74, v72
.LBB24_74:                              ;   in Loop: Header=BB24_2 Depth=1
	s_or_b32 exec_lo, exec_lo, s9
	v_add_nc_u32_e32 v78, 1, v76
	v_add_nc_u32_e32 v79, 1, v75
	v_cndmask_b32_e64 v73, v72, v73, s8
	v_mov_b32_e32 v72, v47
	s_wait_dscnt 0x0
	v_cmp_lt_i32_e64 s9, v77, v74
	v_cndmask_b32_e64 v76, v78, v76, s8
	v_cndmask_b32_e64 v75, v75, v79, s8
	;; [unrolled: 1-line block ×3, first 2 shown]
	s_wait_loadcnt 0x0
	s_barrier_signal -1
	v_cmp_ge_i32_e64 s10, v76, v34
	v_cmp_lt_i32_e64 s8, v75, v35
	s_barrier_wait -1
	global_inv scope:SCOPE_SE
	s_or_b32 s7, s10, s9
	s_wait_alu 0xfffe
	s_and_b32 s7, s8, s7
	s_wait_alu 0xfffe
	v_cndmask_b32_e64 v71, v74, v77, s7
	ds_store_2addr_b32 v4, v70, v73 offset1:1
	ds_store_b32 v4, v71 offset:8
	s_wait_loadcnt_dscnt 0x0
	s_barrier_signal -1
	s_barrier_wait -1
	global_inv scope:SCOPE_SE
	s_and_saveexec_b32 s8, s5
	s_cbranch_execz .LBB24_78
; %bb.75:                               ;   in Loop: Header=BB24_2 Depth=1
	v_mov_b32_e32 v72, v47
	v_mov_b32_e32 v70, v48
	s_mov_b32 s9, 0
.LBB24_76:                              ;   Parent Loop BB24_2 Depth=1
                                        ; =>  This Inner Loop Header: Depth=2
	s_delay_alu instid0(VALU_DEP_1) | instskip(NEXT) | instid1(VALU_DEP_1)
	v_sub_nc_u32_e32 v71, v70, v72
	v_lshrrev_b32_e32 v71, 1, v71
	s_delay_alu instid0(VALU_DEP_1) | instskip(NEXT) | instid1(VALU_DEP_1)
	v_add_nc_u32_e32 v71, v71, v72
	v_not_b32_e32 v73, v71
	v_lshl_add_u32 v74, v71, 2, v50
	v_add_nc_u32_e32 v75, 1, v71
	s_delay_alu instid0(VALU_DEP_3)
	v_lshl_add_u32 v73, v73, 2, v61
	ds_load_b32 v74, v74
	ds_load_b32 v73, v73 offset:768
	s_wait_dscnt 0x0
	v_cmp_lt_i32_e64 s7, v73, v74
	s_wait_alu 0xf1ff
	s_delay_alu instid0(VALU_DEP_1) | instskip(SKIP_1) | instid1(VALU_DEP_1)
	v_cndmask_b32_e64 v70, v70, v71, s7
	v_cndmask_b32_e64 v72, v75, v72, s7
	v_cmp_ge_i32_e64 s7, v72, v70
	s_wait_alu 0xfffe
	s_or_b32 s9, s7, s9
	s_wait_alu 0xfffe
	s_and_not1_b32 exec_lo, exec_lo, s9
	s_cbranch_execnz .LBB24_76
; %bb.77:                               ;   in Loop: Header=BB24_2 Depth=1
	s_or_b32 exec_lo, exec_lo, s9
.LBB24_78:                              ;   in Loop: Header=BB24_2 Depth=1
	s_wait_alu 0xfffe
	s_or_b32 exec_lo, exec_lo, s8
	v_sub_nc_u32_e32 v70, v69, v72
	v_lshl_add_u32 v73, v72, 2, v50
	v_add_nc_u32_e32 v74, v72, v42
	v_sub_nc_u32_e32 v75, v53, v72
                                        ; implicit-def: $vgpr72
	s_delay_alu instid0(VALU_DEP_4)
	v_lshlrev_b32_e32 v76, 2, v70
	ds_load_b32 v70, v73
	ds_load_b32 v71, v76 offset:768
	v_cmp_le_i32_e64 s7, v39, v74
	v_cmp_gt_i32_e64 s9, v40, v75
	s_wait_dscnt 0x0
	v_cmp_lt_i32_e64 s8, v71, v70
	s_or_b32 s7, s7, s8
	s_wait_alu 0xfffe
	s_and_b32 s7, s9, s7
	s_wait_alu 0xfffe
	s_xor_b32 s8, s7, -1
	s_wait_alu 0xfffe
	s_and_saveexec_b32 s9, s8
	s_wait_alu 0xfffe
	s_xor_b32 s8, exec_lo, s9
; %bb.79:                               ;   in Loop: Header=BB24_2 Depth=1
	ds_load_b32 v72, v73 offset:4
                                        ; implicit-def: $vgpr76
; %bb.80:                               ;   in Loop: Header=BB24_2 Depth=1
	s_wait_alu 0xfffe
	s_or_saveexec_b32 s8, s8
	v_mov_b32_e32 v73, v71
	s_wait_alu 0xfffe
	s_xor_b32 exec_lo, exec_lo, s8
	s_cbranch_execz .LBB24_82
; %bb.81:                               ;   in Loop: Header=BB24_2 Depth=1
	ds_load_b32 v73, v76 offset:772
	s_wait_dscnt 0x1
	v_mov_b32_e32 v72, v70
.LBB24_82:                              ;   in Loop: Header=BB24_2 Depth=1
	s_or_b32 exec_lo, exec_lo, s8
	v_add_nc_u32_e32 v76, 1, v74
	v_add_nc_u32_e32 v77, 1, v75
	s_wait_dscnt 0x0
	v_cmp_lt_i32_e64 s9, v73, v72
	s_delay_alu instid0(VALU_DEP_3) | instskip(NEXT) | instid1(VALU_DEP_3)
	v_cndmask_b32_e64 v76, v76, v74, s7
	v_cndmask_b32_e64 v75, v75, v77, s7
                                        ; implicit-def: $vgpr74
	s_delay_alu instid0(VALU_DEP_2) | instskip(NEXT) | instid1(VALU_DEP_2)
	v_cmp_ge_i32_e64 s8, v76, v39
	v_cmp_lt_i32_e64 s10, v75, v40
	s_or_b32 s8, s8, s9
	s_wait_alu 0xfffe
	s_and_b32 s8, s10, s8
	s_wait_alu 0xfffe
	s_xor_b32 s9, s8, -1
	s_wait_alu 0xfffe
	s_and_saveexec_b32 s10, s9
	s_delay_alu instid0(SALU_CYCLE_1)
	s_xor_b32 s9, exec_lo, s10
; %bb.83:                               ;   in Loop: Header=BB24_2 Depth=1
	v_lshlrev_b32_e32 v74, 2, v76
	ds_load_b32 v74, v74 offset:4
; %bb.84:                               ;   in Loop: Header=BB24_2 Depth=1
	s_wait_alu 0xfffe
	s_or_saveexec_b32 s9, s9
	v_mov_b32_e32 v77, v73
	s_wait_alu 0xfffe
	s_xor_b32 exec_lo, exec_lo, s9
	s_cbranch_execz .LBB24_86
; %bb.85:                               ;   in Loop: Header=BB24_2 Depth=1
	s_wait_dscnt 0x0
	v_lshlrev_b32_e32 v74, 2, v75
	ds_load_b32 v77, v74 offset:4
	v_mov_b32_e32 v74, v72
.LBB24_86:                              ;   in Loop: Header=BB24_2 Depth=1
	s_or_b32 exec_lo, exec_lo, s9
	v_add_nc_u32_e32 v78, 1, v76
	v_add_nc_u32_e32 v79, 1, v75
	v_cndmask_b32_e64 v73, v72, v73, s8
	v_mov_b32_e32 v72, v51
	s_wait_dscnt 0x0
	v_cmp_lt_i32_e64 s9, v77, v74
	v_cndmask_b32_e64 v76, v78, v76, s8
	v_cndmask_b32_e64 v75, v75, v79, s8
	v_cndmask_b32_e64 v70, v70, v71, s7
	s_wait_loadcnt 0x0
	s_barrier_signal -1
	v_cmp_ge_i32_e64 s10, v76, v39
	v_cmp_lt_i32_e64 s8, v75, v40
	s_barrier_wait -1
	global_inv scope:SCOPE_SE
	s_or_b32 s7, s10, s9
	s_wait_alu 0xfffe
	s_and_b32 s7, s8, s7
	s_wait_alu 0xfffe
	v_cndmask_b32_e64 v71, v74, v77, s7
	ds_store_2addr_b32 v4, v70, v73 offset1:1
	ds_store_b32 v4, v71 offset:8
	s_wait_loadcnt_dscnt 0x0
	s_barrier_signal -1
	s_barrier_wait -1
	global_inv scope:SCOPE_SE
	s_and_saveexec_b32 s8, s6
	s_cbranch_execz .LBB24_90
; %bb.87:                               ;   in Loop: Header=BB24_2 Depth=1
	v_mov_b32_e32 v72, v51
	v_mov_b32_e32 v70, v52
	s_mov_b32 s9, 0
.LBB24_88:                              ;   Parent Loop BB24_2 Depth=1
                                        ; =>  This Inner Loop Header: Depth=2
	s_delay_alu instid0(VALU_DEP_1) | instskip(NEXT) | instid1(VALU_DEP_1)
	v_sub_nc_u32_e32 v71, v70, v72
	v_lshrrev_b32_e32 v71, 1, v71
	s_delay_alu instid0(VALU_DEP_1) | instskip(NEXT) | instid1(VALU_DEP_1)
	v_add_nc_u32_e32 v71, v71, v72
	v_not_b32_e32 v73, v71
	v_lshlrev_b32_e32 v74, 2, v71
	v_add_nc_u32_e32 v75, 1, v71
	s_delay_alu instid0(VALU_DEP_3)
	v_lshl_add_u32 v73, v73, 2, v62
	ds_load_b32 v74, v74
	ds_load_b32 v73, v73 offset:1536
	s_wait_dscnt 0x0
	v_cmp_lt_i32_e64 s7, v73, v74
	s_wait_alu 0xf1ff
	s_delay_alu instid0(VALU_DEP_1) | instskip(SKIP_1) | instid1(VALU_DEP_1)
	v_cndmask_b32_e64 v70, v70, v71, s7
	v_cndmask_b32_e64 v72, v75, v72, s7
	v_cmp_ge_i32_e64 s7, v72, v70
	s_wait_alu 0xfffe
	s_or_b32 s9, s7, s9
	s_wait_alu 0xfffe
	s_and_not1_b32 exec_lo, exec_lo, s9
	s_cbranch_execnz .LBB24_88
; %bb.89:                               ;   in Loop: Header=BB24_2 Depth=1
	s_or_b32 exec_lo, exec_lo, s9
.LBB24_90:                              ;   in Loop: Header=BB24_2 Depth=1
	s_wait_alu 0xfffe
	s_or_b32 exec_lo, exec_lo, s8
	v_sub_nc_u32_e32 v70, v46, v72
	v_lshlrev_b32_e32 v74, 2, v72
	v_sub_nc_u32_e32 v75, v54, v72
	v_cmp_le_i32_e64 s7, 0x180, v72
                                        ; implicit-def: $vgpr73
	s_delay_alu instid0(VALU_DEP_4)
	v_lshlrev_b32_e32 v76, 2, v70
	ds_load_b32 v70, v74
	ds_load_b32 v71, v76 offset:1536
	v_cmp_gt_i32_e64 s9, 0x300, v75
	s_wait_dscnt 0x0
	v_cmp_lt_i32_e64 s8, v71, v70
	s_or_b32 s7, s7, s8
	s_wait_alu 0xfffe
	s_and_b32 s7, s9, s7
	s_wait_alu 0xfffe
	s_xor_b32 s8, s7, -1
	s_wait_alu 0xfffe
	s_and_saveexec_b32 s9, s8
	s_wait_alu 0xfffe
	s_xor_b32 s8, exec_lo, s9
; %bb.91:                               ;   in Loop: Header=BB24_2 Depth=1
	ds_load_b32 v73, v74 offset:4
                                        ; implicit-def: $vgpr76
; %bb.92:                               ;   in Loop: Header=BB24_2 Depth=1
	s_wait_alu 0xfffe
	s_or_saveexec_b32 s8, s8
	v_mov_b32_e32 v74, v71
	s_wait_alu 0xfffe
	s_xor_b32 exec_lo, exec_lo, s8
	s_cbranch_execz .LBB24_94
; %bb.93:                               ;   in Loop: Header=BB24_2 Depth=1
	ds_load_b32 v74, v76 offset:1540
	s_wait_dscnt 0x1
	v_mov_b32_e32 v73, v70
.LBB24_94:                              ;   in Loop: Header=BB24_2 Depth=1
	s_or_b32 exec_lo, exec_lo, s8
	v_add_nc_u32_e32 v76, 1, v72
	v_add_nc_u32_e32 v77, 1, v75
	s_wait_dscnt 0x0
	v_cmp_lt_i32_e64 s9, v74, v73
	s_delay_alu instid0(VALU_DEP_3) | instskip(NEXT) | instid1(VALU_DEP_3)
	v_cndmask_b32_e64 v76, v76, v72, s7
	v_cndmask_b32_e64 v72, v75, v77, s7
                                        ; implicit-def: $vgpr75
                                        ; implicit-def: $vgpr77
	s_delay_alu instid0(VALU_DEP_2) | instskip(NEXT) | instid1(VALU_DEP_2)
	v_cmp_le_i32_e64 s8, 0x180, v76
	v_cmp_gt_i32_e64 s10, 0x300, v72
	s_or_b32 s8, s8, s9
	s_wait_alu 0xfffe
	s_and_b32 s8, s10, s8
	s_wait_alu 0xfffe
	s_xor_b32 s9, s8, -1
	s_wait_alu 0xfffe
	s_and_saveexec_b32 s10, s9
	s_delay_alu instid0(SALU_CYCLE_1)
	s_xor_b32 s9, exec_lo, s10
; %bb.95:                               ;   in Loop: Header=BB24_2 Depth=1
	v_lshlrev_b32_e32 v75, 2, v76
	v_add_nc_u32_e32 v77, 1, v76
                                        ; implicit-def: $vgpr76
	ds_load_b32 v75, v75 offset:4
; %bb.96:                               ;   in Loop: Header=BB24_2 Depth=1
	s_wait_alu 0xfffe
	s_or_saveexec_b32 s9, s9
	v_mov_b32_e32 v78, v74
	s_wait_alu 0xfffe
	s_xor_b32 exec_lo, exec_lo, s9
	s_cbranch_execz .LBB24_1
; %bb.97:                               ;   in Loop: Header=BB24_2 Depth=1
	s_wait_dscnt 0x0
	v_lshlrev_b32_e32 v75, 2, v72
	v_dual_mov_b32 v77, v76 :: v_dual_add_nc_u32 v72, 1, v72
	ds_load_b32 v78, v75 offset:4
	v_mov_b32_e32 v75, v73
	s_branch .LBB24_1
.LBB24_98:
	v_lshlrev_b32_e32 v0, 2, v0
	s_add_nc_u64 s[0:1], s[14:15], s[18:19]
	s_clause 0x2
	global_store_b32 v0, v71, s[0:1]
	global_store_b32 v0, v72, s[0:1] offset:1024
	global_store_b32 v0, v70, s[0:1] offset:2048
	s_endpgm
	.section	.rodata,"a",@progbits
	.p2align	6, 0x0
	.amdhsa_kernel _Z16sort_keys_kernelIiLj256ELj3EN10test_utils4lessELj10EEvPKT_PS2_T2_
		.amdhsa_group_segment_fixed_size 3076
		.amdhsa_private_segment_fixed_size 0
		.amdhsa_kernarg_size 20
		.amdhsa_user_sgpr_count 2
		.amdhsa_user_sgpr_dispatch_ptr 0
		.amdhsa_user_sgpr_queue_ptr 0
		.amdhsa_user_sgpr_kernarg_segment_ptr 1
		.amdhsa_user_sgpr_dispatch_id 0
		.amdhsa_user_sgpr_private_segment_size 0
		.amdhsa_wavefront_size32 1
		.amdhsa_uses_dynamic_stack 0
		.amdhsa_enable_private_segment 0
		.amdhsa_system_sgpr_workgroup_id_x 1
		.amdhsa_system_sgpr_workgroup_id_y 0
		.amdhsa_system_sgpr_workgroup_id_z 0
		.amdhsa_system_sgpr_workgroup_info 0
		.amdhsa_system_vgpr_workitem_id 0
		.amdhsa_next_free_vgpr 80
		.amdhsa_next_free_sgpr 20
		.amdhsa_reserve_vcc 1
		.amdhsa_float_round_mode_32 0
		.amdhsa_float_round_mode_16_64 0
		.amdhsa_float_denorm_mode_32 3
		.amdhsa_float_denorm_mode_16_64 3
		.amdhsa_fp16_overflow 0
		.amdhsa_workgroup_processor_mode 1
		.amdhsa_memory_ordered 1
		.amdhsa_forward_progress 1
		.amdhsa_inst_pref_size 50
		.amdhsa_round_robin_scheduling 0
		.amdhsa_exception_fp_ieee_invalid_op 0
		.amdhsa_exception_fp_denorm_src 0
		.amdhsa_exception_fp_ieee_div_zero 0
		.amdhsa_exception_fp_ieee_overflow 0
		.amdhsa_exception_fp_ieee_underflow 0
		.amdhsa_exception_fp_ieee_inexact 0
		.amdhsa_exception_int_div_zero 0
	.end_amdhsa_kernel
	.section	.text._Z16sort_keys_kernelIiLj256ELj3EN10test_utils4lessELj10EEvPKT_PS2_T2_,"axG",@progbits,_Z16sort_keys_kernelIiLj256ELj3EN10test_utils4lessELj10EEvPKT_PS2_T2_,comdat
.Lfunc_end24:
	.size	_Z16sort_keys_kernelIiLj256ELj3EN10test_utils4lessELj10EEvPKT_PS2_T2_, .Lfunc_end24-_Z16sort_keys_kernelIiLj256ELj3EN10test_utils4lessELj10EEvPKT_PS2_T2_
                                        ; -- End function
	.set _Z16sort_keys_kernelIiLj256ELj3EN10test_utils4lessELj10EEvPKT_PS2_T2_.num_vgpr, 80
	.set _Z16sort_keys_kernelIiLj256ELj3EN10test_utils4lessELj10EEvPKT_PS2_T2_.num_agpr, 0
	.set _Z16sort_keys_kernelIiLj256ELj3EN10test_utils4lessELj10EEvPKT_PS2_T2_.numbered_sgpr, 20
	.set _Z16sort_keys_kernelIiLj256ELj3EN10test_utils4lessELj10EEvPKT_PS2_T2_.num_named_barrier, 0
	.set _Z16sort_keys_kernelIiLj256ELj3EN10test_utils4lessELj10EEvPKT_PS2_T2_.private_seg_size, 0
	.set _Z16sort_keys_kernelIiLj256ELj3EN10test_utils4lessELj10EEvPKT_PS2_T2_.uses_vcc, 1
	.set _Z16sort_keys_kernelIiLj256ELj3EN10test_utils4lessELj10EEvPKT_PS2_T2_.uses_flat_scratch, 0
	.set _Z16sort_keys_kernelIiLj256ELj3EN10test_utils4lessELj10EEvPKT_PS2_T2_.has_dyn_sized_stack, 0
	.set _Z16sort_keys_kernelIiLj256ELj3EN10test_utils4lessELj10EEvPKT_PS2_T2_.has_recursion, 0
	.set _Z16sort_keys_kernelIiLj256ELj3EN10test_utils4lessELj10EEvPKT_PS2_T2_.has_indirect_call, 0
	.section	.AMDGPU.csdata,"",@progbits
; Kernel info:
; codeLenInByte = 6276
; TotalNumSgprs: 22
; NumVgprs: 80
; ScratchSize: 0
; MemoryBound: 0
; FloatMode: 240
; IeeeMode: 1
; LDSByteSize: 3076 bytes/workgroup (compile time only)
; SGPRBlocks: 0
; VGPRBlocks: 9
; NumSGPRsForWavesPerEU: 22
; NumVGPRsForWavesPerEU: 80
; Occupancy: 16
; WaveLimiterHint : 1
; COMPUTE_PGM_RSRC2:SCRATCH_EN: 0
; COMPUTE_PGM_RSRC2:USER_SGPR: 2
; COMPUTE_PGM_RSRC2:TRAP_HANDLER: 0
; COMPUTE_PGM_RSRC2:TGID_X_EN: 1
; COMPUTE_PGM_RSRC2:TGID_Y_EN: 0
; COMPUTE_PGM_RSRC2:TGID_Z_EN: 0
; COMPUTE_PGM_RSRC2:TIDIG_COMP_CNT: 0
	.section	.text._Z17sort_pairs_kernelIiLj256ELj3EN10test_utils4lessELj10EEvPKT_PS2_T2_,"axG",@progbits,_Z17sort_pairs_kernelIiLj256ELj3EN10test_utils4lessELj10EEvPKT_PS2_T2_,comdat
	.protected	_Z17sort_pairs_kernelIiLj256ELj3EN10test_utils4lessELj10EEvPKT_PS2_T2_ ; -- Begin function _Z17sort_pairs_kernelIiLj256ELj3EN10test_utils4lessELj10EEvPKT_PS2_T2_
	.globl	_Z17sort_pairs_kernelIiLj256ELj3EN10test_utils4lessELj10EEvPKT_PS2_T2_
	.p2align	8
	.type	_Z17sort_pairs_kernelIiLj256ELj3EN10test_utils4lessELj10EEvPKT_PS2_T2_,@function
_Z17sort_pairs_kernelIiLj256ELj3EN10test_utils4lessELj10EEvPKT_PS2_T2_: ; @_Z17sort_pairs_kernelIiLj256ELj3EN10test_utils4lessELj10EEvPKT_PS2_T2_
; %bb.0:
	s_load_b128 s[12:15], s[0:1], 0x0
	s_mul_i32 s18, ttmp9, 0x300
	s_mov_b32 s19, 0
	v_lshlrev_b32_e32 v1, 2, v0
	s_lshl_b64 s[16:17], s[18:19], 2
	v_and_b32_e32 v4, 0xfe, v0
	v_and_b32_e32 v6, 0xfc, v0
	v_and_b32_e32 v7, 0xf8, v0
	v_and_b32_e32 v8, 0xf0, v0
	v_and_b32_e32 v5, 1, v0
	v_mul_u32_u24_e32 v12, 3, v4
	v_and_b32_e32 v9, 0xe0, v0
	v_and_b32_e32 v10, 0xc0, v0
	;; [unrolled: 1-line block ×3, first 2 shown]
	v_mul_u32_u24_e32 v13, 3, v6
	v_mul_u32_u24_e32 v14, 3, v7
	;; [unrolled: 1-line block ×3, first 2 shown]
	v_min_u32_e32 v42, 0x2fd, v12
	v_min_u32_e32 v19, 0x2fa, v12
	v_cmp_eq_u32_e32 vcc_lo, 1, v5
	s_wait_kmcnt 0x0
	s_add_nc_u64 s[0:1], s[12:13], s[16:17]
	v_mul_u32_u24_e32 v16, 3, v9
	s_clause 0x2
	global_load_b32 v72, v1, s[0:1]
	global_load_b32 v71, v1, s[0:1] offset:1024
	global_load_b32 v70, v1, s[0:1] offset:2048
	v_mul_u32_u24_e32 v17, 3, v10
	v_mul_u32_u24_e32 v18, 3, v11
	v_min_u32_e32 v43, 0x2fa, v13
	v_min_u32_e32 v20, 0x2f4, v13
	;; [unrolled: 1-line block ×8, first 2 shown]
	v_add_nc_u32_e32 v14, 3, v42
	v_add_nc_u32_e32 v15, 6, v19
	v_and_b32_e32 v49, 3, v0
	v_cndmask_b32_e64 v62, 0, 3, vcc_lo
	v_min_u32_e32 v7, 0x300, v12
	v_min_u32_e32 v8, 0x300, v13
	;; [unrolled: 1-line block ×8, first 2 shown]
	v_add_nc_u32_e32 v17, 6, v43
	v_add_nc_u32_e32 v18, 12, v20
	v_sub_nc_u32_e32 v73, v15, v14
	v_and_b32_e32 v50, 7, v0
	v_mul_u32_u24_e32 v63, 3, v49
	v_lshlrev_b32_e32 v35, 2, v62
	v_add_nc_u32_e32 v20, 12, v44
	v_add_nc_u32_e32 v21, 24, v21
	v_sub_nc_u32_e32 v55, v14, v7
	v_sub_nc_u32_e32 v74, v18, v17
	v_sub_nc_u32_e32 v81, v62, v73
	v_cmp_ge_i32_e64 s0, v62, v73
	v_and_b32_e32 v51, 15, v0
	v_mul_u32_u24_e32 v64, 3, v50
	v_min_u32_e32 v46, 0x2d0, v16
	v_min_u32_e32 v27, 0x2a0, v16
	v_add_nc_u32_e32 v23, 24, v45
	v_add_nc_u32_e32 v24, 48, v24
	v_lshl_add_u32 v35, v42, 2, v35
	v_add_nc_u32_e32 v42, v42, v62
	v_add_nc_u32_e32 v48, v14, v62
	v_sub_nc_u32_e32 v56, v17, v8
	v_sub_nc_u32_e32 v75, v21, v20
	v_min_i32_e32 v55, v62, v55
	v_sub_nc_u32_e32 v82, v63, v74
	v_cndmask_b32_e64 v62, 0, v81, s0
	v_cmp_ge_i32_e64 s0, v63, v74
	v_and_b32_e32 v52, 31, v0
	v_mul_u32_u24_e32 v65, 3, v51
	v_lshlrev_b32_e32 v36, 2, v63
	v_add_nc_u32_e32 v26, 48, v46
	v_add_nc_u32_e32 v27, 0x60, v27
	v_sub_nc_u32_e32 v57, v20, v9
	v_sub_nc_u32_e32 v77, v24, v23
	v_min_i32_e32 v56, v63, v56
	v_sub_nc_u32_e32 v83, v64, v75
	s_wait_alu 0xf1ff
	v_cndmask_b32_e64 v63, 0, v82, s0
	v_cmp_ge_i32_e64 s0, v64, v75
	v_and_b32_e32 v53, 63, v0
	v_mul_u32_u24_e32 v66, 3, v52
	v_min_u32_e32 v11, 0x300, v16
	v_lshlrev_b32_e32 v37, 2, v64
	v_add_nc_u32_e32 v29, 0x60, v47
	v_add_nc_u32_e32 v30, 0xc0, v30
	v_sub_nc_u32_e32 v58, v23, v10
	v_sub_nc_u32_e32 v78, v27, v26
	v_min_i32_e32 v57, v64, v57
	v_sub_nc_u32_e32 v84, v65, v77
	s_wait_alu 0xf1ff
	v_cndmask_b32_e64 v64, 0, v83, s0
	v_cmp_ge_i32_e64 s0, v65, v77
	v_and_b32_e32 v69, 0x7f, v0
	v_mul_u32_u24_e32 v67, 3, v53
	v_lshlrev_b32_e32 v38, 2, v65
	v_add_nc_u32_e32 v32, 0xc0, v76
	v_add_nc_u32_e32 v33, 0x180, v33
	v_sub_nc_u32_e32 v59, v26, v11
	v_sub_nc_u32_e32 v79, v30, v29
	v_min_i32_e32 v58, v65, v58
	v_sub_nc_u32_e32 v85, v66, v78
	s_wait_alu 0xf1ff
	v_cndmask_b32_e64 v65, 0, v84, s0
	v_cmp_ge_i32_e64 s0, v66, v78
	v_mul_u32_u24_e32 v68, 3, v69
	v_lshlrev_b32_e32 v39, 2, v66
	v_sub_nc_u32_e32 v60, v29, v12
	v_sub_nc_u32_e32 v80, v33, v32
	v_min_i32_e32 v59, v66, v59
	v_sub_nc_u32_e32 v86, v67, v79
	s_wait_alu 0xf1ff
	v_cndmask_b32_e64 v66, 0, v85, s0
	v_cmp_ge_i32_e64 s0, v67, v79
	v_lshlrev_b32_e32 v40, 2, v67
	v_sub_nc_u32_e32 v61, v32, v13
	v_min_i32_e32 v60, v67, v60
	v_sub_nc_u32_e32 v87, v68, v80
	s_wait_alu 0xf1ff
	v_cndmask_b32_e64 v67, 0, v86, s0
	v_cmp_ge_i32_e64 s0, v68, v80
	v_mul_u32_u24_e32 v2, 3, v0
	v_lshlrev_b32_e32 v41, 2, v68
	v_min_i32_e32 v61, v68, v61
	v_mul_u32_u24_e32 v1, 12, v0
	s_wait_alu 0xf1ff
	v_cndmask_b32_e64 v68, 0, v87, s0
	v_mad_u32_u24 v3, v0, 3, 0x180
	v_subrev_nc_u32_e64 v4, 0x180, v2 clamp
	v_min_i32_e32 v5, 0x180, v2
	v_lshlrev_b32_e32 v6, 2, v2
	v_lshlrev_b32_e32 v16, 2, v7
	;; [unrolled: 1-line block ×8, first 2 shown]
	v_lshl_add_u32 v36, v43, 2, v36
	v_lshl_add_u32 v37, v44, 2, v37
	;; [unrolled: 1-line block ×6, first 2 shown]
	v_mad_u32_u24 v43, v49, 3, v43
	v_mad_u32_u24 v44, v50, 3, v44
	;; [unrolled: 1-line block ×11, first 2 shown]
	v_cmp_lt_i32_e64 s0, v62, v55
	v_cmp_lt_i32_e64 s1, v63, v56
	;; [unrolled: 1-line block ×7, first 2 shown]
	v_mad_u32_u24 v69, v69, 3, v76
	v_cmp_lt_i32_e32 vcc_lo, v4, v5
	s_wait_loadcnt 0x2
	v_add_nc_u32_e32 v75, 1, v72
	s_wait_loadcnt 0x1
	v_add_nc_u32_e32 v74, 1, v71
	;; [unrolled: 2-line block ×3, first 2 shown]
	s_branch .LBB25_2
.LBB25_1:                               ;   in Loop: Header=BB25_2 Depth=1
	s_or_b32 exec_lo, exec_lo, s9
	s_delay_alu instid0(VALU_DEP_1)
	v_cmp_le_i32_e64 s9, 0x180, v80
	s_wait_dscnt 0x0
	v_cmp_lt_i32_e64 s10, v84, v81
	v_cmp_gt_i32_e64 s11, 0x300, v75
	v_cndmask_b32_e64 v74, v70, v74, s7
	s_wait_loadcnt 0x0
	s_barrier_signal -1
	s_or_b32 s9, s9, s10
	s_barrier_wait -1
	s_wait_alu 0xfffe
	s_and_b32 s9, s11, s9
	global_inv scope:SCOPE_SE
	s_wait_alu 0xfffe
	v_cndmask_b32_e64 v75, v80, v75, s9
	ds_store_2addr_b32 v1, v71, v72 offset1:1
	ds_store_b32 v1, v73 offset:8
	v_lshlrev_b32_e32 v71, 2, v74
	v_lshlrev_b32_e32 v72, 2, v82
	s_wait_loadcnt_dscnt 0x0
	v_lshlrev_b32_e32 v73, 2, v75
	s_barrier_signal -1
	s_barrier_wait -1
	global_inv scope:SCOPE_SE
	ds_load_b32 v75, v71
	ds_load_b32 v74, v72
	;; [unrolled: 1-line block ×3, first 2 shown]
	v_cndmask_b32_e64 v70, v81, v84, s9
	v_cndmask_b32_e64 v72, v76, v77, s7
	;; [unrolled: 1-line block ×3, first 2 shown]
	s_add_co_i32 s19, s19, 1
	s_delay_alu instid0(SALU_CYCLE_1)
	s_cmp_eq_u32 s19, 10
	s_cbranch_scc1 .LBB25_98
.LBB25_2:                               ; =>This Loop Header: Depth=1
                                        ;     Child Loop BB25_4 Depth 2
                                        ;     Child Loop BB25_16 Depth 2
	;; [unrolled: 1-line block ×8, first 2 shown]
	s_delay_alu instid0(VALU_DEP_1)
	v_cmp_lt_i32_e64 s9, v71, v72
	v_max_i32_e32 v76, v71, v72
	s_barrier_signal -1
	s_barrier_wait -1
	s_wait_alu 0xf1ff
	v_cndmask_b32_e64 v77, v72, v71, s9
	v_cndmask_b32_e64 v71, v71, v72, s9
	v_cmp_lt_i32_e64 s7, v70, v76
	v_min_i32_e32 v72, v70, v76
	global_inv scope:SCOPE_SE
	s_wait_alu 0xf1ff
	v_cndmask_b32_e64 v76, v70, v76, s7
	v_cndmask_b32_e64 v70, v71, v70, s7
	v_cmp_lt_i32_e64 s8, v72, v77
	v_mov_b32_e32 v71, v62
	s_wait_alu 0xf1ff
	s_delay_alu instid0(VALU_DEP_2)
	v_cndmask_b32_e64 v70, v70, v77, s8
	v_cndmask_b32_e64 v72, v77, v72, s8
	ds_store_2addr_b32 v1, v72, v70 offset1:1
	ds_store_b32 v1, v76 offset:8
	s_wait_loadcnt_dscnt 0x0
	s_barrier_signal -1
	s_barrier_wait -1
	global_inv scope:SCOPE_SE
	s_and_saveexec_b32 s11, s0
	s_cbranch_execz .LBB25_6
; %bb.3:                                ;   in Loop: Header=BB25_2 Depth=1
	v_dual_mov_b32 v71, v62 :: v_dual_mov_b32 v70, v55
	s_mov_b32 s12, 0
.LBB25_4:                               ;   Parent Loop BB25_2 Depth=1
                                        ; =>  This Inner Loop Header: Depth=2
	s_delay_alu instid0(VALU_DEP_1) | instskip(NEXT) | instid1(VALU_DEP_1)
	v_sub_nc_u32_e32 v72, v70, v71
	v_lshrrev_b32_e32 v72, 1, v72
	s_delay_alu instid0(VALU_DEP_1) | instskip(NEXT) | instid1(VALU_DEP_1)
	v_add_nc_u32_e32 v72, v72, v71
	v_not_b32_e32 v76, v72
	v_lshl_add_u32 v77, v72, 2, v16
	v_add_nc_u32_e32 v78, 1, v72
	s_delay_alu instid0(VALU_DEP_3)
	v_lshl_add_u32 v76, v76, 2, v35
	ds_load_b32 v77, v77
	ds_load_b32 v76, v76 offset:12
	s_wait_dscnt 0x0
	v_cmp_lt_i32_e64 s10, v76, v77
	s_wait_alu 0xf1ff
	s_delay_alu instid0(VALU_DEP_1) | instskip(SKIP_1) | instid1(VALU_DEP_1)
	v_cndmask_b32_e64 v70, v70, v72, s10
	v_cndmask_b32_e64 v71, v78, v71, s10
	v_cmp_ge_i32_e64 s10, v71, v70
	s_or_b32 s12, s10, s12
	s_delay_alu instid0(SALU_CYCLE_1)
	s_and_not1_b32 exec_lo, exec_lo, s12
	s_cbranch_execnz .LBB25_4
; %bb.5:                                ;   in Loop: Header=BB25_2 Depth=1
	s_or_b32 exec_lo, exec_lo, s12
.LBB25_6:                               ;   in Loop: Header=BB25_2 Depth=1
	s_wait_alu 0xfffe
	s_or_b32 exec_lo, exec_lo, s11
	v_sub_nc_u32_e32 v70, v42, v71
	v_lshl_add_u32 v79, v71, 2, v16
                                        ; implicit-def: $vgpr78
	s_delay_alu instid0(VALU_DEP_2)
	v_lshlrev_b32_e32 v72, 2, v70
	v_add_nc_u32_e32 v70, v71, v7
	v_sub_nc_u32_e32 v71, v48, v71
	ds_load_b32 v76, v79
	ds_load_b32 v77, v72 offset:12
	v_cmp_le_i32_e64 s10, v14, v70
	v_cmp_gt_i32_e64 s12, v15, v71
	s_wait_dscnt 0x0
	v_cmp_lt_i32_e64 s11, v77, v76
	s_or_b32 s10, s10, s11
	s_wait_alu 0xfffe
	s_and_b32 s10, s12, s10
	s_wait_alu 0xfffe
	s_xor_b32 s11, s10, -1
	s_wait_alu 0xfffe
	s_and_saveexec_b32 s12, s11
	s_delay_alu instid0(SALU_CYCLE_1)
	s_xor_b32 s11, exec_lo, s12
; %bb.7:                                ;   in Loop: Header=BB25_2 Depth=1
	ds_load_b32 v78, v79 offset:4
                                        ; implicit-def: $vgpr72
; %bb.8:                                ;   in Loop: Header=BB25_2 Depth=1
	s_wait_alu 0xfffe
	s_or_saveexec_b32 s11, s11
	v_mov_b32_e32 v79, v77
	s_wait_alu 0xfffe
	s_xor_b32 exec_lo, exec_lo, s11
	s_cbranch_execz .LBB25_10
; %bb.9:                                ;   in Loop: Header=BB25_2 Depth=1
	ds_load_b32 v79, v72 offset:16
	s_wait_dscnt 0x1
	v_mov_b32_e32 v78, v76
.LBB25_10:                              ;   in Loop: Header=BB25_2 Depth=1
	s_or_b32 exec_lo, exec_lo, s11
	v_add_nc_u32_e32 v72, 1, v70
	v_add_nc_u32_e32 v80, 1, v71
	s_wait_dscnt 0x0
	v_cmp_lt_i32_e64 s12, v79, v78
	s_delay_alu instid0(VALU_DEP_3) | instskip(NEXT) | instid1(VALU_DEP_3)
	v_cndmask_b32_e64 v81, v72, v70, s10
	v_cndmask_b32_e64 v80, v71, v80, s10
                                        ; implicit-def: $vgpr72
	s_delay_alu instid0(VALU_DEP_2) | instskip(NEXT) | instid1(VALU_DEP_2)
	v_cmp_ge_i32_e64 s11, v81, v14
	v_cmp_lt_i32_e64 s13, v80, v15
	s_or_b32 s11, s11, s12
	s_wait_alu 0xfffe
	s_and_b32 s11, s13, s11
	s_wait_alu 0xfffe
	s_xor_b32 s12, s11, -1
	s_delay_alu instid0(SALU_CYCLE_1) | instskip(NEXT) | instid1(SALU_CYCLE_1)
	s_and_saveexec_b32 s13, s12
	s_xor_b32 s12, exec_lo, s13
; %bb.11:                               ;   in Loop: Header=BB25_2 Depth=1
	v_lshlrev_b32_e32 v72, 2, v81
	ds_load_b32 v72, v72 offset:4
; %bb.12:                               ;   in Loop: Header=BB25_2 Depth=1
	s_or_saveexec_b32 s12, s12
	v_mov_b32_e32 v82, v79
	s_xor_b32 exec_lo, exec_lo, s12
	s_cbranch_execz .LBB25_14
; %bb.13:                               ;   in Loop: Header=BB25_2 Depth=1
	s_wait_dscnt 0x0
	v_lshlrev_b32_e32 v72, 2, v80
	ds_load_b32 v82, v72 offset:4
	v_mov_b32_e32 v72, v78
.LBB25_14:                              ;   in Loop: Header=BB25_2 Depth=1
	s_or_b32 exec_lo, exec_lo, s12
	v_add_nc_u32_e32 v83, 1, v81
	v_add_nc_u32_e32 v84, 1, v80
	v_cndmask_b32_e64 v85, v81, v80, s11
	v_cndmask_b32_e64 v70, v70, v71, s10
	;; [unrolled: 1-line block ×6, first 2 shown]
	s_wait_dscnt 0x0
	v_cmp_lt_i32_e64 s9, v82, v72
	v_cndmask_b32_e64 v80, v71, v73, s7
	v_cmp_ge_i32_e64 s12, v81, v14
	v_cndmask_b32_e64 v71, v73, v71, s7
	v_cmp_lt_i32_e64 s13, v75, v15
	v_lshlrev_b32_e32 v70, 2, v70
	v_cndmask_b32_e64 v73, v80, v74, s8
	s_or_b32 s7, s12, s9
	v_cndmask_b32_e64 v74, v74, v80, s8
	s_wait_alu 0xfffe
	s_and_b32 s7, s13, s7
	s_wait_loadcnt 0x0
	s_wait_alu 0xfffe
	v_cndmask_b32_e64 v80, v72, v82, s7
	v_cndmask_b32_e64 v72, v81, v75, s7
	s_barrier_signal -1
	s_barrier_wait -1
	global_inv scope:SCOPE_SE
	ds_store_2addr_b32 v1, v74, v73 offset1:1
	ds_store_b32 v1, v71 offset:8
	v_lshlrev_b32_e32 v71, 2, v85
	v_lshlrev_b32_e32 v72, 2, v72
	s_wait_loadcnt_dscnt 0x0
	s_barrier_signal -1
	s_barrier_wait -1
	global_inv scope:SCOPE_SE
	ds_load_b32 v70, v70
	ds_load_b32 v71, v71
	;; [unrolled: 1-line block ×3, first 2 shown]
	v_cndmask_b32_e64 v73, v78, v79, s11
	v_cndmask_b32_e64 v74, v76, v77, s10
	v_mov_b32_e32 v75, v63
	s_wait_loadcnt_dscnt 0x0
	s_barrier_signal -1
	s_barrier_wait -1
	global_inv scope:SCOPE_SE
	ds_store_2addr_b32 v1, v74, v73 offset1:1
	ds_store_b32 v1, v80 offset:8
	s_wait_loadcnt_dscnt 0x0
	s_barrier_signal -1
	s_barrier_wait -1
	global_inv scope:SCOPE_SE
	s_and_saveexec_b32 s8, s1
	s_cbranch_execz .LBB25_18
; %bb.15:                               ;   in Loop: Header=BB25_2 Depth=1
	v_mov_b32_e32 v75, v63
	v_mov_b32_e32 v73, v56
	s_mov_b32 s9, 0
.LBB25_16:                              ;   Parent Loop BB25_2 Depth=1
                                        ; =>  This Inner Loop Header: Depth=2
	s_delay_alu instid0(VALU_DEP_1) | instskip(NEXT) | instid1(VALU_DEP_1)
	v_sub_nc_u32_e32 v74, v73, v75
	v_lshrrev_b32_e32 v74, 1, v74
	s_delay_alu instid0(VALU_DEP_1) | instskip(NEXT) | instid1(VALU_DEP_1)
	v_add_nc_u32_e32 v74, v74, v75
	v_not_b32_e32 v76, v74
	v_lshl_add_u32 v77, v74, 2, v19
	v_add_nc_u32_e32 v78, 1, v74
	s_delay_alu instid0(VALU_DEP_3)
	v_lshl_add_u32 v76, v76, 2, v36
	ds_load_b32 v77, v77
	ds_load_b32 v76, v76 offset:24
	s_wait_dscnt 0x0
	v_cmp_lt_i32_e64 s7, v76, v77
	s_wait_alu 0xf1ff
	s_delay_alu instid0(VALU_DEP_1) | instskip(SKIP_1) | instid1(VALU_DEP_1)
	v_cndmask_b32_e64 v73, v73, v74, s7
	v_cndmask_b32_e64 v75, v78, v75, s7
	v_cmp_ge_i32_e64 s7, v75, v73
	s_wait_alu 0xfffe
	s_or_b32 s9, s7, s9
	s_wait_alu 0xfffe
	s_and_not1_b32 exec_lo, exec_lo, s9
	s_cbranch_execnz .LBB25_16
; %bb.17:                               ;   in Loop: Header=BB25_2 Depth=1
	s_or_b32 exec_lo, exec_lo, s9
.LBB25_18:                              ;   in Loop: Header=BB25_2 Depth=1
	s_wait_alu 0xfffe
	s_or_b32 exec_lo, exec_lo, s8
	v_sub_nc_u32_e32 v73, v43, v75
	v_lshl_add_u32 v76, v75, 2, v19
	v_add_nc_u32_e32 v77, v75, v8
	v_sub_nc_u32_e32 v78, v49, v75
                                        ; implicit-def: $vgpr75
	s_delay_alu instid0(VALU_DEP_4)
	v_lshlrev_b32_e32 v79, 2, v73
	ds_load_b32 v73, v76
	ds_load_b32 v74, v79 offset:24
	v_cmp_le_i32_e64 s7, v17, v77
	v_cmp_gt_i32_e64 s9, v18, v78
	s_wait_dscnt 0x0
	v_cmp_lt_i32_e64 s8, v74, v73
	s_or_b32 s7, s7, s8
	s_wait_alu 0xfffe
	s_and_b32 s7, s9, s7
	s_wait_alu 0xfffe
	s_xor_b32 s8, s7, -1
	s_wait_alu 0xfffe
	s_and_saveexec_b32 s9, s8
	s_wait_alu 0xfffe
	s_xor_b32 s8, exec_lo, s9
; %bb.19:                               ;   in Loop: Header=BB25_2 Depth=1
	ds_load_b32 v75, v76 offset:4
                                        ; implicit-def: $vgpr79
; %bb.20:                               ;   in Loop: Header=BB25_2 Depth=1
	s_wait_alu 0xfffe
	s_or_saveexec_b32 s8, s8
	v_mov_b32_e32 v76, v74
	s_wait_alu 0xfffe
	s_xor_b32 exec_lo, exec_lo, s8
	s_cbranch_execz .LBB25_22
; %bb.21:                               ;   in Loop: Header=BB25_2 Depth=1
	ds_load_b32 v76, v79 offset:28
	s_wait_dscnt 0x1
	v_mov_b32_e32 v75, v73
.LBB25_22:                              ;   in Loop: Header=BB25_2 Depth=1
	s_or_b32 exec_lo, exec_lo, s8
	v_add_nc_u32_e32 v79, 1, v77
	v_add_nc_u32_e32 v80, 1, v78
	s_wait_dscnt 0x0
	v_cmp_lt_i32_e64 s9, v76, v75
	s_delay_alu instid0(VALU_DEP_3) | instskip(NEXT) | instid1(VALU_DEP_3)
	v_cndmask_b32_e64 v81, v79, v77, s7
	v_cndmask_b32_e64 v80, v78, v80, s7
                                        ; implicit-def: $vgpr79
	s_delay_alu instid0(VALU_DEP_2) | instskip(NEXT) | instid1(VALU_DEP_2)
	v_cmp_ge_i32_e64 s8, v81, v17
	v_cmp_lt_i32_e64 s10, v80, v18
	s_or_b32 s8, s8, s9
	s_wait_alu 0xfffe
	s_and_b32 s8, s10, s8
	s_wait_alu 0xfffe
	s_xor_b32 s9, s8, -1
	s_wait_alu 0xfffe
	s_and_saveexec_b32 s10, s9
	s_wait_alu 0xfffe
	s_xor_b32 s9, exec_lo, s10
; %bb.23:                               ;   in Loop: Header=BB25_2 Depth=1
	v_lshlrev_b32_e32 v79, 2, v81
	ds_load_b32 v79, v79 offset:4
; %bb.24:                               ;   in Loop: Header=BB25_2 Depth=1
	s_wait_alu 0xfffe
	s_or_saveexec_b32 s9, s9
	v_mov_b32_e32 v82, v76
	s_wait_alu 0xfffe
	s_xor_b32 exec_lo, exec_lo, s9
	s_cbranch_execz .LBB25_26
; %bb.25:                               ;   in Loop: Header=BB25_2 Depth=1
	s_wait_dscnt 0x0
	v_lshlrev_b32_e32 v79, 2, v80
	ds_load_b32 v82, v79 offset:4
	v_mov_b32_e32 v79, v75
.LBB25_26:                              ;   in Loop: Header=BB25_2 Depth=1
	s_or_b32 exec_lo, exec_lo, s9
	v_add_nc_u32_e32 v83, 1, v81
	v_add_nc_u32_e32 v84, 1, v80
	s_wait_dscnt 0x0
	v_cmp_lt_i32_e64 s9, v82, v79
	v_cndmask_b32_e64 v77, v77, v78, s7
	s_wait_loadcnt 0x0
	v_cndmask_b32_e64 v83, v83, v81, s8
	v_cndmask_b32_e64 v81, v81, v80, s8
	;; [unrolled: 1-line block ×3, first 2 shown]
	s_barrier_signal -1
	s_barrier_wait -1
	v_cmp_ge_i32_e64 s10, v83, v17
	global_inv scope:SCOPE_SE
	v_cmp_lt_i32_e64 s11, v80, v18
	ds_store_2addr_b32 v1, v70, v71 offset1:1
	ds_store_b32 v1, v72 offset:8
	v_lshlrev_b32_e32 v70, 2, v77
	s_or_b32 s9, s10, s9
	v_lshlrev_b32_e32 v71, 2, v81
	s_wait_alu 0xfffe
	s_and_b32 s9, s11, s9
	s_wait_loadcnt_dscnt 0x0
	s_wait_alu 0xfffe
	v_cndmask_b32_e64 v78, v79, v82, s9
	v_cndmask_b32_e64 v79, v83, v80, s9
	s_barrier_signal -1
	s_barrier_wait -1
	global_inv scope:SCOPE_SE
	v_cndmask_b32_e64 v75, v75, v76, s8
	v_lshlrev_b32_e32 v72, 2, v79
	v_cndmask_b32_e64 v73, v73, v74, s7
	ds_load_b32 v70, v70
	ds_load_b32 v71, v71
	;; [unrolled: 1-line block ×3, first 2 shown]
	s_wait_loadcnt_dscnt 0x0
	s_barrier_signal -1
	s_barrier_wait -1
	global_inv scope:SCOPE_SE
	ds_store_2addr_b32 v1, v73, v75 offset1:1
	ds_store_b32 v1, v78 offset:8
	v_mov_b32_e32 v75, v64
	s_wait_loadcnt_dscnt 0x0
	s_barrier_signal -1
	s_barrier_wait -1
	global_inv scope:SCOPE_SE
	s_and_saveexec_b32 s8, s2
	s_cbranch_execz .LBB25_30
; %bb.27:                               ;   in Loop: Header=BB25_2 Depth=1
	v_mov_b32_e32 v75, v64
	v_mov_b32_e32 v73, v57
	s_mov_b32 s9, 0
.LBB25_28:                              ;   Parent Loop BB25_2 Depth=1
                                        ; =>  This Inner Loop Header: Depth=2
	s_delay_alu instid0(VALU_DEP_1) | instskip(NEXT) | instid1(VALU_DEP_1)
	v_sub_nc_u32_e32 v74, v73, v75
	v_lshrrev_b32_e32 v74, 1, v74
	s_delay_alu instid0(VALU_DEP_1) | instskip(NEXT) | instid1(VALU_DEP_1)
	v_add_nc_u32_e32 v74, v74, v75
	v_not_b32_e32 v76, v74
	v_lshl_add_u32 v77, v74, 2, v22
	v_add_nc_u32_e32 v78, 1, v74
	s_delay_alu instid0(VALU_DEP_3)
	v_lshl_add_u32 v76, v76, 2, v37
	ds_load_b32 v77, v77
	ds_load_b32 v76, v76 offset:48
	s_wait_dscnt 0x0
	v_cmp_lt_i32_e64 s7, v76, v77
	s_wait_alu 0xf1ff
	s_delay_alu instid0(VALU_DEP_1) | instskip(SKIP_1) | instid1(VALU_DEP_1)
	v_cndmask_b32_e64 v73, v73, v74, s7
	v_cndmask_b32_e64 v75, v78, v75, s7
	v_cmp_ge_i32_e64 s7, v75, v73
	s_wait_alu 0xfffe
	s_or_b32 s9, s7, s9
	s_wait_alu 0xfffe
	s_and_not1_b32 exec_lo, exec_lo, s9
	s_cbranch_execnz .LBB25_28
; %bb.29:                               ;   in Loop: Header=BB25_2 Depth=1
	s_or_b32 exec_lo, exec_lo, s9
.LBB25_30:                              ;   in Loop: Header=BB25_2 Depth=1
	s_wait_alu 0xfffe
	s_or_b32 exec_lo, exec_lo, s8
	v_sub_nc_u32_e32 v73, v44, v75
	v_lshl_add_u32 v76, v75, 2, v22
	v_add_nc_u32_e32 v77, v75, v9
	v_sub_nc_u32_e32 v78, v50, v75
                                        ; implicit-def: $vgpr75
	s_delay_alu instid0(VALU_DEP_4)
	v_lshlrev_b32_e32 v79, 2, v73
	ds_load_b32 v73, v76
	ds_load_b32 v74, v79 offset:48
	v_cmp_le_i32_e64 s7, v20, v77
	v_cmp_gt_i32_e64 s9, v21, v78
	s_wait_dscnt 0x0
	v_cmp_lt_i32_e64 s8, v74, v73
	s_or_b32 s7, s7, s8
	s_wait_alu 0xfffe
	s_and_b32 s7, s9, s7
	s_wait_alu 0xfffe
	s_xor_b32 s8, s7, -1
	s_wait_alu 0xfffe
	s_and_saveexec_b32 s9, s8
	s_wait_alu 0xfffe
	s_xor_b32 s8, exec_lo, s9
; %bb.31:                               ;   in Loop: Header=BB25_2 Depth=1
	ds_load_b32 v75, v76 offset:4
                                        ; implicit-def: $vgpr79
; %bb.32:                               ;   in Loop: Header=BB25_2 Depth=1
	s_wait_alu 0xfffe
	s_or_saveexec_b32 s8, s8
	v_mov_b32_e32 v76, v74
	s_wait_alu 0xfffe
	s_xor_b32 exec_lo, exec_lo, s8
	s_cbranch_execz .LBB25_34
; %bb.33:                               ;   in Loop: Header=BB25_2 Depth=1
	ds_load_b32 v76, v79 offset:52
	s_wait_dscnt 0x1
	v_mov_b32_e32 v75, v73
.LBB25_34:                              ;   in Loop: Header=BB25_2 Depth=1
	s_or_b32 exec_lo, exec_lo, s8
	v_add_nc_u32_e32 v79, 1, v77
	v_add_nc_u32_e32 v80, 1, v78
	s_wait_dscnt 0x0
	v_cmp_lt_i32_e64 s9, v76, v75
	s_delay_alu instid0(VALU_DEP_3) | instskip(NEXT) | instid1(VALU_DEP_3)
	v_cndmask_b32_e64 v81, v79, v77, s7
	v_cndmask_b32_e64 v80, v78, v80, s7
                                        ; implicit-def: $vgpr79
	s_delay_alu instid0(VALU_DEP_2) | instskip(NEXT) | instid1(VALU_DEP_2)
	v_cmp_ge_i32_e64 s8, v81, v20
	v_cmp_lt_i32_e64 s10, v80, v21
	s_or_b32 s8, s8, s9
	s_wait_alu 0xfffe
	s_and_b32 s8, s10, s8
	s_wait_alu 0xfffe
	s_xor_b32 s9, s8, -1
	s_wait_alu 0xfffe
	s_and_saveexec_b32 s10, s9
	s_wait_alu 0xfffe
	s_xor_b32 s9, exec_lo, s10
; %bb.35:                               ;   in Loop: Header=BB25_2 Depth=1
	v_lshlrev_b32_e32 v79, 2, v81
	ds_load_b32 v79, v79 offset:4
; %bb.36:                               ;   in Loop: Header=BB25_2 Depth=1
	s_wait_alu 0xfffe
	s_or_saveexec_b32 s9, s9
	v_mov_b32_e32 v82, v76
	s_wait_alu 0xfffe
	s_xor_b32 exec_lo, exec_lo, s9
	s_cbranch_execz .LBB25_38
; %bb.37:                               ;   in Loop: Header=BB25_2 Depth=1
	s_wait_dscnt 0x0
	v_lshlrev_b32_e32 v79, 2, v80
	ds_load_b32 v82, v79 offset:4
	v_mov_b32_e32 v79, v75
.LBB25_38:                              ;   in Loop: Header=BB25_2 Depth=1
	s_or_b32 exec_lo, exec_lo, s9
	v_add_nc_u32_e32 v83, 1, v81
	v_add_nc_u32_e32 v84, 1, v80
	s_wait_dscnt 0x0
	v_cmp_lt_i32_e64 s9, v82, v79
	v_cndmask_b32_e64 v77, v77, v78, s7
	s_wait_loadcnt 0x0
	v_cndmask_b32_e64 v83, v83, v81, s8
	v_cndmask_b32_e64 v81, v81, v80, s8
	;; [unrolled: 1-line block ×3, first 2 shown]
	s_barrier_signal -1
	s_barrier_wait -1
	v_cmp_ge_i32_e64 s10, v83, v20
	global_inv scope:SCOPE_SE
	v_cmp_lt_i32_e64 s11, v80, v21
	ds_store_2addr_b32 v1, v70, v71 offset1:1
	ds_store_b32 v1, v72 offset:8
	v_lshlrev_b32_e32 v70, 2, v77
	s_or_b32 s9, s10, s9
	v_lshlrev_b32_e32 v71, 2, v81
	s_wait_alu 0xfffe
	s_and_b32 s9, s11, s9
	s_wait_loadcnt_dscnt 0x0
	s_wait_alu 0xfffe
	v_cndmask_b32_e64 v78, v79, v82, s9
	v_cndmask_b32_e64 v79, v83, v80, s9
	s_barrier_signal -1
	s_barrier_wait -1
	global_inv scope:SCOPE_SE
	v_cndmask_b32_e64 v75, v75, v76, s8
	v_lshlrev_b32_e32 v72, 2, v79
	v_cndmask_b32_e64 v73, v73, v74, s7
	ds_load_b32 v70, v70
	ds_load_b32 v71, v71
	;; [unrolled: 1-line block ×3, first 2 shown]
	s_wait_loadcnt_dscnt 0x0
	s_barrier_signal -1
	s_barrier_wait -1
	global_inv scope:SCOPE_SE
	ds_store_2addr_b32 v1, v73, v75 offset1:1
	ds_store_b32 v1, v78 offset:8
	v_mov_b32_e32 v75, v65
	s_wait_loadcnt_dscnt 0x0
	s_barrier_signal -1
	s_barrier_wait -1
	global_inv scope:SCOPE_SE
	s_and_saveexec_b32 s8, s3
	s_cbranch_execz .LBB25_42
; %bb.39:                               ;   in Loop: Header=BB25_2 Depth=1
	v_mov_b32_e32 v75, v65
	v_mov_b32_e32 v73, v58
	s_mov_b32 s9, 0
.LBB25_40:                              ;   Parent Loop BB25_2 Depth=1
                                        ; =>  This Inner Loop Header: Depth=2
	s_delay_alu instid0(VALU_DEP_1) | instskip(NEXT) | instid1(VALU_DEP_1)
	v_sub_nc_u32_e32 v74, v73, v75
	v_lshrrev_b32_e32 v74, 1, v74
	s_delay_alu instid0(VALU_DEP_1) | instskip(NEXT) | instid1(VALU_DEP_1)
	v_add_nc_u32_e32 v74, v74, v75
	v_not_b32_e32 v76, v74
	v_lshl_add_u32 v77, v74, 2, v25
	v_add_nc_u32_e32 v78, 1, v74
	s_delay_alu instid0(VALU_DEP_3)
	v_lshl_add_u32 v76, v76, 2, v38
	ds_load_b32 v77, v77
	ds_load_b32 v76, v76 offset:96
	s_wait_dscnt 0x0
	v_cmp_lt_i32_e64 s7, v76, v77
	s_wait_alu 0xf1ff
	s_delay_alu instid0(VALU_DEP_1) | instskip(SKIP_1) | instid1(VALU_DEP_1)
	v_cndmask_b32_e64 v73, v73, v74, s7
	v_cndmask_b32_e64 v75, v78, v75, s7
	v_cmp_ge_i32_e64 s7, v75, v73
	s_wait_alu 0xfffe
	s_or_b32 s9, s7, s9
	s_wait_alu 0xfffe
	s_and_not1_b32 exec_lo, exec_lo, s9
	s_cbranch_execnz .LBB25_40
; %bb.41:                               ;   in Loop: Header=BB25_2 Depth=1
	s_or_b32 exec_lo, exec_lo, s9
.LBB25_42:                              ;   in Loop: Header=BB25_2 Depth=1
	s_wait_alu 0xfffe
	s_or_b32 exec_lo, exec_lo, s8
	v_sub_nc_u32_e32 v73, v45, v75
	v_lshl_add_u32 v76, v75, 2, v25
	v_add_nc_u32_e32 v77, v75, v10
	v_sub_nc_u32_e32 v78, v51, v75
                                        ; implicit-def: $vgpr75
	s_delay_alu instid0(VALU_DEP_4)
	v_lshlrev_b32_e32 v79, 2, v73
	ds_load_b32 v73, v76
	ds_load_b32 v74, v79 offset:96
	v_cmp_le_i32_e64 s7, v23, v77
	v_cmp_gt_i32_e64 s9, v24, v78
	s_wait_dscnt 0x0
	v_cmp_lt_i32_e64 s8, v74, v73
	s_or_b32 s7, s7, s8
	s_wait_alu 0xfffe
	s_and_b32 s7, s9, s7
	s_wait_alu 0xfffe
	s_xor_b32 s8, s7, -1
	s_wait_alu 0xfffe
	s_and_saveexec_b32 s9, s8
	s_wait_alu 0xfffe
	s_xor_b32 s8, exec_lo, s9
; %bb.43:                               ;   in Loop: Header=BB25_2 Depth=1
	ds_load_b32 v75, v76 offset:4
                                        ; implicit-def: $vgpr79
; %bb.44:                               ;   in Loop: Header=BB25_2 Depth=1
	s_wait_alu 0xfffe
	s_or_saveexec_b32 s8, s8
	v_mov_b32_e32 v76, v74
	s_wait_alu 0xfffe
	s_xor_b32 exec_lo, exec_lo, s8
	s_cbranch_execz .LBB25_46
; %bb.45:                               ;   in Loop: Header=BB25_2 Depth=1
	ds_load_b32 v76, v79 offset:100
	s_wait_dscnt 0x1
	v_mov_b32_e32 v75, v73
.LBB25_46:                              ;   in Loop: Header=BB25_2 Depth=1
	s_or_b32 exec_lo, exec_lo, s8
	v_add_nc_u32_e32 v79, 1, v77
	v_add_nc_u32_e32 v80, 1, v78
	s_wait_dscnt 0x0
	v_cmp_lt_i32_e64 s9, v76, v75
	s_delay_alu instid0(VALU_DEP_3) | instskip(NEXT) | instid1(VALU_DEP_3)
	v_cndmask_b32_e64 v81, v79, v77, s7
	v_cndmask_b32_e64 v80, v78, v80, s7
                                        ; implicit-def: $vgpr79
	s_delay_alu instid0(VALU_DEP_2) | instskip(NEXT) | instid1(VALU_DEP_2)
	v_cmp_ge_i32_e64 s8, v81, v23
	v_cmp_lt_i32_e64 s10, v80, v24
	s_or_b32 s8, s8, s9
	s_wait_alu 0xfffe
	s_and_b32 s8, s10, s8
	s_wait_alu 0xfffe
	s_xor_b32 s9, s8, -1
	s_wait_alu 0xfffe
	s_and_saveexec_b32 s10, s9
	s_wait_alu 0xfffe
	s_xor_b32 s9, exec_lo, s10
; %bb.47:                               ;   in Loop: Header=BB25_2 Depth=1
	v_lshlrev_b32_e32 v79, 2, v81
	ds_load_b32 v79, v79 offset:4
; %bb.48:                               ;   in Loop: Header=BB25_2 Depth=1
	s_wait_alu 0xfffe
	s_or_saveexec_b32 s9, s9
	v_mov_b32_e32 v82, v76
	s_wait_alu 0xfffe
	s_xor_b32 exec_lo, exec_lo, s9
	s_cbranch_execz .LBB25_50
; %bb.49:                               ;   in Loop: Header=BB25_2 Depth=1
	s_wait_dscnt 0x0
	v_lshlrev_b32_e32 v79, 2, v80
	ds_load_b32 v82, v79 offset:4
	v_mov_b32_e32 v79, v75
.LBB25_50:                              ;   in Loop: Header=BB25_2 Depth=1
	s_or_b32 exec_lo, exec_lo, s9
	v_add_nc_u32_e32 v83, 1, v81
	v_add_nc_u32_e32 v84, 1, v80
	s_wait_dscnt 0x0
	v_cmp_lt_i32_e64 s9, v82, v79
	v_cndmask_b32_e64 v77, v77, v78, s7
	s_wait_loadcnt 0x0
	v_cndmask_b32_e64 v83, v83, v81, s8
	v_cndmask_b32_e64 v81, v81, v80, s8
	;; [unrolled: 1-line block ×3, first 2 shown]
	s_barrier_signal -1
	s_barrier_wait -1
	v_cmp_ge_i32_e64 s10, v83, v23
	global_inv scope:SCOPE_SE
	v_cmp_lt_i32_e64 s11, v80, v24
	ds_store_2addr_b32 v1, v70, v71 offset1:1
	ds_store_b32 v1, v72 offset:8
	v_lshlrev_b32_e32 v70, 2, v77
	s_or_b32 s9, s10, s9
	v_lshlrev_b32_e32 v71, 2, v81
	s_wait_alu 0xfffe
	s_and_b32 s9, s11, s9
	s_wait_loadcnt_dscnt 0x0
	s_wait_alu 0xfffe
	v_cndmask_b32_e64 v78, v79, v82, s9
	v_cndmask_b32_e64 v79, v83, v80, s9
	s_barrier_signal -1
	s_barrier_wait -1
	global_inv scope:SCOPE_SE
	v_cndmask_b32_e64 v75, v75, v76, s8
	v_lshlrev_b32_e32 v72, 2, v79
	v_cndmask_b32_e64 v73, v73, v74, s7
	ds_load_b32 v70, v70
	ds_load_b32 v71, v71
	;; [unrolled: 1-line block ×3, first 2 shown]
	s_wait_loadcnt_dscnt 0x0
	s_barrier_signal -1
	s_barrier_wait -1
	global_inv scope:SCOPE_SE
	ds_store_2addr_b32 v1, v73, v75 offset1:1
	ds_store_b32 v1, v78 offset:8
	v_mov_b32_e32 v75, v66
	s_wait_loadcnt_dscnt 0x0
	s_barrier_signal -1
	s_barrier_wait -1
	global_inv scope:SCOPE_SE
	s_and_saveexec_b32 s8, s4
	s_cbranch_execz .LBB25_54
; %bb.51:                               ;   in Loop: Header=BB25_2 Depth=1
	v_mov_b32_e32 v75, v66
	v_mov_b32_e32 v73, v59
	s_mov_b32 s9, 0
.LBB25_52:                              ;   Parent Loop BB25_2 Depth=1
                                        ; =>  This Inner Loop Header: Depth=2
	s_delay_alu instid0(VALU_DEP_1) | instskip(NEXT) | instid1(VALU_DEP_1)
	v_sub_nc_u32_e32 v74, v73, v75
	v_lshrrev_b32_e32 v74, 1, v74
	s_delay_alu instid0(VALU_DEP_1) | instskip(NEXT) | instid1(VALU_DEP_1)
	v_add_nc_u32_e32 v74, v74, v75
	v_not_b32_e32 v76, v74
	v_lshl_add_u32 v77, v74, 2, v28
	v_add_nc_u32_e32 v78, 1, v74
	s_delay_alu instid0(VALU_DEP_3)
	v_lshl_add_u32 v76, v76, 2, v39
	ds_load_b32 v77, v77
	ds_load_b32 v76, v76 offset:192
	s_wait_dscnt 0x0
	v_cmp_lt_i32_e64 s7, v76, v77
	s_wait_alu 0xf1ff
	s_delay_alu instid0(VALU_DEP_1) | instskip(SKIP_1) | instid1(VALU_DEP_1)
	v_cndmask_b32_e64 v73, v73, v74, s7
	v_cndmask_b32_e64 v75, v78, v75, s7
	v_cmp_ge_i32_e64 s7, v75, v73
	s_wait_alu 0xfffe
	s_or_b32 s9, s7, s9
	s_wait_alu 0xfffe
	s_and_not1_b32 exec_lo, exec_lo, s9
	s_cbranch_execnz .LBB25_52
; %bb.53:                               ;   in Loop: Header=BB25_2 Depth=1
	s_or_b32 exec_lo, exec_lo, s9
.LBB25_54:                              ;   in Loop: Header=BB25_2 Depth=1
	s_wait_alu 0xfffe
	s_or_b32 exec_lo, exec_lo, s8
	v_sub_nc_u32_e32 v73, v46, v75
	v_lshl_add_u32 v76, v75, 2, v28
	v_add_nc_u32_e32 v77, v75, v11
	v_sub_nc_u32_e32 v78, v52, v75
                                        ; implicit-def: $vgpr75
	s_delay_alu instid0(VALU_DEP_4)
	v_lshlrev_b32_e32 v79, 2, v73
	ds_load_b32 v73, v76
	ds_load_b32 v74, v79 offset:192
	v_cmp_le_i32_e64 s7, v26, v77
	v_cmp_gt_i32_e64 s9, v27, v78
	s_wait_dscnt 0x0
	v_cmp_lt_i32_e64 s8, v74, v73
	s_or_b32 s7, s7, s8
	s_wait_alu 0xfffe
	s_and_b32 s7, s9, s7
	s_wait_alu 0xfffe
	s_xor_b32 s8, s7, -1
	s_wait_alu 0xfffe
	s_and_saveexec_b32 s9, s8
	s_wait_alu 0xfffe
	s_xor_b32 s8, exec_lo, s9
; %bb.55:                               ;   in Loop: Header=BB25_2 Depth=1
	ds_load_b32 v75, v76 offset:4
                                        ; implicit-def: $vgpr79
; %bb.56:                               ;   in Loop: Header=BB25_2 Depth=1
	s_wait_alu 0xfffe
	s_or_saveexec_b32 s8, s8
	v_mov_b32_e32 v76, v74
	s_wait_alu 0xfffe
	s_xor_b32 exec_lo, exec_lo, s8
	s_cbranch_execz .LBB25_58
; %bb.57:                               ;   in Loop: Header=BB25_2 Depth=1
	ds_load_b32 v76, v79 offset:196
	s_wait_dscnt 0x1
	v_mov_b32_e32 v75, v73
.LBB25_58:                              ;   in Loop: Header=BB25_2 Depth=1
	s_or_b32 exec_lo, exec_lo, s8
	v_add_nc_u32_e32 v79, 1, v77
	v_add_nc_u32_e32 v80, 1, v78
	s_wait_dscnt 0x0
	v_cmp_lt_i32_e64 s9, v76, v75
	s_delay_alu instid0(VALU_DEP_3) | instskip(NEXT) | instid1(VALU_DEP_3)
	v_cndmask_b32_e64 v81, v79, v77, s7
	v_cndmask_b32_e64 v80, v78, v80, s7
                                        ; implicit-def: $vgpr79
	s_delay_alu instid0(VALU_DEP_2) | instskip(NEXT) | instid1(VALU_DEP_2)
	v_cmp_ge_i32_e64 s8, v81, v26
	v_cmp_lt_i32_e64 s10, v80, v27
	s_or_b32 s8, s8, s9
	s_wait_alu 0xfffe
	s_and_b32 s8, s10, s8
	s_wait_alu 0xfffe
	s_xor_b32 s9, s8, -1
	s_wait_alu 0xfffe
	s_and_saveexec_b32 s10, s9
	s_wait_alu 0xfffe
	s_xor_b32 s9, exec_lo, s10
; %bb.59:                               ;   in Loop: Header=BB25_2 Depth=1
	v_lshlrev_b32_e32 v79, 2, v81
	ds_load_b32 v79, v79 offset:4
; %bb.60:                               ;   in Loop: Header=BB25_2 Depth=1
	s_wait_alu 0xfffe
	s_or_saveexec_b32 s9, s9
	v_mov_b32_e32 v82, v76
	s_wait_alu 0xfffe
	s_xor_b32 exec_lo, exec_lo, s9
	s_cbranch_execz .LBB25_62
; %bb.61:                               ;   in Loop: Header=BB25_2 Depth=1
	s_wait_dscnt 0x0
	v_lshlrev_b32_e32 v79, 2, v80
	ds_load_b32 v82, v79 offset:4
	v_mov_b32_e32 v79, v75
.LBB25_62:                              ;   in Loop: Header=BB25_2 Depth=1
	s_or_b32 exec_lo, exec_lo, s9
	v_add_nc_u32_e32 v83, 1, v81
	v_add_nc_u32_e32 v84, 1, v80
	s_wait_dscnt 0x0
	v_cmp_lt_i32_e64 s9, v82, v79
	v_cndmask_b32_e64 v77, v77, v78, s7
	s_wait_loadcnt 0x0
	v_cndmask_b32_e64 v83, v83, v81, s8
	v_cndmask_b32_e64 v81, v81, v80, s8
	;; [unrolled: 1-line block ×3, first 2 shown]
	s_barrier_signal -1
	s_barrier_wait -1
	v_cmp_ge_i32_e64 s10, v83, v26
	global_inv scope:SCOPE_SE
	v_cmp_lt_i32_e64 s11, v80, v27
	ds_store_2addr_b32 v1, v70, v71 offset1:1
	ds_store_b32 v1, v72 offset:8
	v_lshlrev_b32_e32 v70, 2, v77
	s_or_b32 s9, s10, s9
	v_lshlrev_b32_e32 v71, 2, v81
	s_wait_alu 0xfffe
	s_and_b32 s9, s11, s9
	s_wait_loadcnt_dscnt 0x0
	s_wait_alu 0xfffe
	v_cndmask_b32_e64 v78, v79, v82, s9
	v_cndmask_b32_e64 v79, v83, v80, s9
	s_barrier_signal -1
	s_barrier_wait -1
	global_inv scope:SCOPE_SE
	v_cndmask_b32_e64 v75, v75, v76, s8
	v_lshlrev_b32_e32 v72, 2, v79
	v_cndmask_b32_e64 v73, v73, v74, s7
	ds_load_b32 v70, v70
	ds_load_b32 v71, v71
	;; [unrolled: 1-line block ×3, first 2 shown]
	s_wait_loadcnt_dscnt 0x0
	s_barrier_signal -1
	s_barrier_wait -1
	global_inv scope:SCOPE_SE
	ds_store_2addr_b32 v1, v73, v75 offset1:1
	ds_store_b32 v1, v78 offset:8
	v_mov_b32_e32 v75, v67
	s_wait_loadcnt_dscnt 0x0
	s_barrier_signal -1
	s_barrier_wait -1
	global_inv scope:SCOPE_SE
	s_and_saveexec_b32 s8, s5
	s_cbranch_execz .LBB25_66
; %bb.63:                               ;   in Loop: Header=BB25_2 Depth=1
	v_mov_b32_e32 v75, v67
	v_mov_b32_e32 v73, v60
	s_mov_b32 s9, 0
.LBB25_64:                              ;   Parent Loop BB25_2 Depth=1
                                        ; =>  This Inner Loop Header: Depth=2
	s_delay_alu instid0(VALU_DEP_1) | instskip(NEXT) | instid1(VALU_DEP_1)
	v_sub_nc_u32_e32 v74, v73, v75
	v_lshrrev_b32_e32 v74, 1, v74
	s_delay_alu instid0(VALU_DEP_1) | instskip(NEXT) | instid1(VALU_DEP_1)
	v_add_nc_u32_e32 v74, v74, v75
	v_not_b32_e32 v76, v74
	v_lshl_add_u32 v77, v74, 2, v31
	v_add_nc_u32_e32 v78, 1, v74
	s_delay_alu instid0(VALU_DEP_3)
	v_lshl_add_u32 v76, v76, 2, v40
	ds_load_b32 v77, v77
	ds_load_b32 v76, v76 offset:384
	s_wait_dscnt 0x0
	v_cmp_lt_i32_e64 s7, v76, v77
	s_wait_alu 0xf1ff
	s_delay_alu instid0(VALU_DEP_1) | instskip(SKIP_1) | instid1(VALU_DEP_1)
	v_cndmask_b32_e64 v73, v73, v74, s7
	v_cndmask_b32_e64 v75, v78, v75, s7
	v_cmp_ge_i32_e64 s7, v75, v73
	s_wait_alu 0xfffe
	s_or_b32 s9, s7, s9
	s_wait_alu 0xfffe
	s_and_not1_b32 exec_lo, exec_lo, s9
	s_cbranch_execnz .LBB25_64
; %bb.65:                               ;   in Loop: Header=BB25_2 Depth=1
	s_or_b32 exec_lo, exec_lo, s9
.LBB25_66:                              ;   in Loop: Header=BB25_2 Depth=1
	s_wait_alu 0xfffe
	s_or_b32 exec_lo, exec_lo, s8
	v_sub_nc_u32_e32 v73, v47, v75
	v_lshl_add_u32 v76, v75, 2, v31
	v_add_nc_u32_e32 v77, v75, v12
	v_sub_nc_u32_e32 v78, v53, v75
                                        ; implicit-def: $vgpr75
	s_delay_alu instid0(VALU_DEP_4)
	v_lshlrev_b32_e32 v79, 2, v73
	ds_load_b32 v73, v76
	ds_load_b32 v74, v79 offset:384
	v_cmp_le_i32_e64 s7, v29, v77
	v_cmp_gt_i32_e64 s9, v30, v78
	s_wait_dscnt 0x0
	v_cmp_lt_i32_e64 s8, v74, v73
	s_or_b32 s7, s7, s8
	s_wait_alu 0xfffe
	s_and_b32 s7, s9, s7
	s_wait_alu 0xfffe
	s_xor_b32 s8, s7, -1
	s_wait_alu 0xfffe
	s_and_saveexec_b32 s9, s8
	s_wait_alu 0xfffe
	s_xor_b32 s8, exec_lo, s9
; %bb.67:                               ;   in Loop: Header=BB25_2 Depth=1
	ds_load_b32 v75, v76 offset:4
                                        ; implicit-def: $vgpr79
; %bb.68:                               ;   in Loop: Header=BB25_2 Depth=1
	s_wait_alu 0xfffe
	s_or_saveexec_b32 s8, s8
	v_mov_b32_e32 v76, v74
	s_wait_alu 0xfffe
	s_xor_b32 exec_lo, exec_lo, s8
	s_cbranch_execz .LBB25_70
; %bb.69:                               ;   in Loop: Header=BB25_2 Depth=1
	ds_load_b32 v76, v79 offset:388
	s_wait_dscnt 0x1
	v_mov_b32_e32 v75, v73
.LBB25_70:                              ;   in Loop: Header=BB25_2 Depth=1
	s_or_b32 exec_lo, exec_lo, s8
	v_add_nc_u32_e32 v79, 1, v77
	v_add_nc_u32_e32 v80, 1, v78
	s_wait_dscnt 0x0
	v_cmp_lt_i32_e64 s9, v76, v75
	s_delay_alu instid0(VALU_DEP_3) | instskip(NEXT) | instid1(VALU_DEP_3)
	v_cndmask_b32_e64 v81, v79, v77, s7
	v_cndmask_b32_e64 v80, v78, v80, s7
                                        ; implicit-def: $vgpr79
	s_delay_alu instid0(VALU_DEP_2) | instskip(NEXT) | instid1(VALU_DEP_2)
	v_cmp_ge_i32_e64 s8, v81, v29
	v_cmp_lt_i32_e64 s10, v80, v30
	s_or_b32 s8, s8, s9
	s_wait_alu 0xfffe
	s_and_b32 s8, s10, s8
	s_wait_alu 0xfffe
	s_xor_b32 s9, s8, -1
	s_wait_alu 0xfffe
	s_and_saveexec_b32 s10, s9
	s_wait_alu 0xfffe
	s_xor_b32 s9, exec_lo, s10
; %bb.71:                               ;   in Loop: Header=BB25_2 Depth=1
	v_lshlrev_b32_e32 v79, 2, v81
	ds_load_b32 v79, v79 offset:4
; %bb.72:                               ;   in Loop: Header=BB25_2 Depth=1
	s_wait_alu 0xfffe
	s_or_saveexec_b32 s9, s9
	v_mov_b32_e32 v82, v76
	s_wait_alu 0xfffe
	s_xor_b32 exec_lo, exec_lo, s9
	s_cbranch_execz .LBB25_74
; %bb.73:                               ;   in Loop: Header=BB25_2 Depth=1
	s_wait_dscnt 0x0
	v_lshlrev_b32_e32 v79, 2, v80
	ds_load_b32 v82, v79 offset:4
	v_mov_b32_e32 v79, v75
.LBB25_74:                              ;   in Loop: Header=BB25_2 Depth=1
	s_or_b32 exec_lo, exec_lo, s9
	v_add_nc_u32_e32 v83, 1, v81
	v_add_nc_u32_e32 v84, 1, v80
	v_cndmask_b32_e64 v75, v75, v76, s8
	v_mov_b32_e32 v76, v68
	s_wait_dscnt 0x0
	v_cmp_lt_i32_e64 s9, v82, v79
	v_cndmask_b32_e64 v83, v83, v81, s8
	v_cndmask_b32_e64 v81, v81, v80, s8
	;; [unrolled: 1-line block ×4, first 2 shown]
	s_wait_loadcnt 0x0
	v_cmp_ge_i32_e64 s10, v83, v29
	s_barrier_signal -1
	v_cmp_lt_i32_e64 s11, v80, v30
	s_barrier_wait -1
	global_inv scope:SCOPE_SE
	s_or_b32 s9, s10, s9
	ds_store_2addr_b32 v1, v70, v71 offset1:1
	ds_store_b32 v1, v72 offset:8
	s_wait_alu 0xfffe
	s_and_b32 s9, s11, s9
	v_lshlrev_b32_e32 v70, 2, v77
	s_wait_alu 0xfffe
	v_cndmask_b32_e64 v78, v79, v82, s9
	v_cndmask_b32_e64 v79, v83, v80, s9
	v_lshlrev_b32_e32 v71, 2, v81
	s_wait_loadcnt_dscnt 0x0
	s_barrier_signal -1
	s_barrier_wait -1
	v_lshlrev_b32_e32 v72, 2, v79
	global_inv scope:SCOPE_SE
	ds_load_b32 v70, v70
	ds_load_b32 v71, v71
	;; [unrolled: 1-line block ×3, first 2 shown]
	v_cndmask_b32_e64 v73, v73, v74, s7
	s_wait_loadcnt_dscnt 0x0
	s_barrier_signal -1
	s_barrier_wait -1
	global_inv scope:SCOPE_SE
	ds_store_2addr_b32 v1, v73, v75 offset1:1
	ds_store_b32 v1, v78 offset:8
	s_wait_loadcnt_dscnt 0x0
	s_barrier_signal -1
	s_barrier_wait -1
	global_inv scope:SCOPE_SE
	s_and_saveexec_b32 s8, s6
	s_cbranch_execz .LBB25_78
; %bb.75:                               ;   in Loop: Header=BB25_2 Depth=1
	v_dual_mov_b32 v76, v68 :: v_dual_mov_b32 v73, v61
	s_mov_b32 s9, 0
.LBB25_76:                              ;   Parent Loop BB25_2 Depth=1
                                        ; =>  This Inner Loop Header: Depth=2
	s_delay_alu instid0(VALU_DEP_1) | instskip(NEXT) | instid1(VALU_DEP_1)
	v_sub_nc_u32_e32 v74, v73, v76
	v_lshrrev_b32_e32 v74, 1, v74
	s_delay_alu instid0(VALU_DEP_1) | instskip(NEXT) | instid1(VALU_DEP_1)
	v_add_nc_u32_e32 v74, v74, v76
	v_not_b32_e32 v75, v74
	v_lshl_add_u32 v77, v74, 2, v34
	v_add_nc_u32_e32 v78, 1, v74
	s_delay_alu instid0(VALU_DEP_3)
	v_lshl_add_u32 v75, v75, 2, v41
	ds_load_b32 v77, v77
	ds_load_b32 v75, v75 offset:768
	s_wait_dscnt 0x0
	v_cmp_lt_i32_e64 s7, v75, v77
	s_wait_alu 0xf1ff
	s_delay_alu instid0(VALU_DEP_1) | instskip(SKIP_1) | instid1(VALU_DEP_1)
	v_cndmask_b32_e64 v73, v73, v74, s7
	v_cndmask_b32_e64 v76, v78, v76, s7
	v_cmp_ge_i32_e64 s7, v76, v73
	s_wait_alu 0xfffe
	s_or_b32 s9, s7, s9
	s_wait_alu 0xfffe
	s_and_not1_b32 exec_lo, exec_lo, s9
	s_cbranch_execnz .LBB25_76
; %bb.77:                               ;   in Loop: Header=BB25_2 Depth=1
	s_or_b32 exec_lo, exec_lo, s9
.LBB25_78:                              ;   in Loop: Header=BB25_2 Depth=1
	s_wait_alu 0xfffe
	s_or_b32 exec_lo, exec_lo, s8
	v_sub_nc_u32_e32 v73, v69, v76
	v_lshl_add_u32 v77, v76, 2, v34
	v_sub_nc_u32_e32 v78, v54, v76
	s_delay_alu instid0(VALU_DEP_3) | instskip(SKIP_1) | instid1(VALU_DEP_3)
	v_lshlrev_b32_e32 v79, 2, v73
	v_add_nc_u32_e32 v73, v76, v13
	v_cmp_gt_i32_e64 s9, v33, v78
                                        ; implicit-def: $vgpr76
	ds_load_b32 v74, v77
	ds_load_b32 v75, v79 offset:768
	v_cmp_le_i32_e64 s7, v32, v73
	s_wait_dscnt 0x0
	v_cmp_lt_i32_e64 s8, v75, v74
	s_or_b32 s7, s7, s8
	s_wait_alu 0xfffe
	s_and_b32 s7, s9, s7
	s_wait_alu 0xfffe
	s_xor_b32 s8, s7, -1
	s_wait_alu 0xfffe
	s_and_saveexec_b32 s9, s8
	s_wait_alu 0xfffe
	s_xor_b32 s8, exec_lo, s9
; %bb.79:                               ;   in Loop: Header=BB25_2 Depth=1
	ds_load_b32 v76, v77 offset:4
                                        ; implicit-def: $vgpr79
; %bb.80:                               ;   in Loop: Header=BB25_2 Depth=1
	s_wait_alu 0xfffe
	s_or_saveexec_b32 s8, s8
	v_mov_b32_e32 v77, v75
	s_wait_alu 0xfffe
	s_xor_b32 exec_lo, exec_lo, s8
	s_cbranch_execz .LBB25_82
; %bb.81:                               ;   in Loop: Header=BB25_2 Depth=1
	ds_load_b32 v77, v79 offset:772
	s_wait_dscnt 0x1
	v_mov_b32_e32 v76, v74
.LBB25_82:                              ;   in Loop: Header=BB25_2 Depth=1
	s_or_b32 exec_lo, exec_lo, s8
	v_add_nc_u32_e32 v79, 1, v73
	v_add_nc_u32_e32 v80, 1, v78
	s_wait_dscnt 0x0
	v_cmp_lt_i32_e64 s9, v77, v76
	s_delay_alu instid0(VALU_DEP_3) | instskip(NEXT) | instid1(VALU_DEP_3)
	v_cndmask_b32_e64 v81, v79, v73, s7
	v_cndmask_b32_e64 v80, v78, v80, s7
                                        ; implicit-def: $vgpr79
	s_delay_alu instid0(VALU_DEP_2) | instskip(NEXT) | instid1(VALU_DEP_2)
	v_cmp_ge_i32_e64 s8, v81, v32
	v_cmp_lt_i32_e64 s10, v80, v33
	s_or_b32 s8, s8, s9
	s_wait_alu 0xfffe
	s_and_b32 s8, s10, s8
	s_wait_alu 0xfffe
	s_xor_b32 s9, s8, -1
	s_wait_alu 0xfffe
	s_and_saveexec_b32 s10, s9
	s_wait_alu 0xfffe
	s_xor_b32 s9, exec_lo, s10
; %bb.83:                               ;   in Loop: Header=BB25_2 Depth=1
	v_lshlrev_b32_e32 v79, 2, v81
	ds_load_b32 v79, v79 offset:4
; %bb.84:                               ;   in Loop: Header=BB25_2 Depth=1
	s_wait_alu 0xfffe
	s_or_saveexec_b32 s9, s9
	v_mov_b32_e32 v82, v77
	s_wait_alu 0xfffe
	s_xor_b32 exec_lo, exec_lo, s9
	s_cbranch_execz .LBB25_86
; %bb.85:                               ;   in Loop: Header=BB25_2 Depth=1
	s_wait_dscnt 0x0
	v_lshlrev_b32_e32 v79, 2, v80
	ds_load_b32 v82, v79 offset:4
	v_mov_b32_e32 v79, v76
.LBB25_86:                              ;   in Loop: Header=BB25_2 Depth=1
	s_or_b32 exec_lo, exec_lo, s9
	v_add_nc_u32_e32 v83, 1, v81
	v_add_nc_u32_e32 v84, 1, v80
	s_wait_dscnt 0x0
	v_cmp_lt_i32_e64 s9, v82, v79
	v_cndmask_b32_e64 v73, v73, v78, s7
	s_wait_loadcnt 0x0
	v_cndmask_b32_e64 v83, v83, v81, s8
	v_cndmask_b32_e64 v81, v81, v80, s8
	;; [unrolled: 1-line block ×3, first 2 shown]
	s_barrier_signal -1
	s_barrier_wait -1
	v_cmp_ge_i32_e64 s10, v83, v32
	global_inv scope:SCOPE_SE
	v_cmp_lt_i32_e64 s11, v80, v33
	ds_store_2addr_b32 v1, v70, v71 offset1:1
	ds_store_b32 v1, v72 offset:8
	v_lshlrev_b32_e32 v70, 2, v73
	s_or_b32 s9, s10, s9
	v_lshlrev_b32_e32 v72, 2, v81
	s_wait_alu 0xfffe
	s_and_b32 s9, s11, s9
	s_wait_loadcnt_dscnt 0x0
	s_wait_alu 0xfffe
	v_cndmask_b32_e64 v78, v79, v82, s9
	v_cndmask_b32_e64 v79, v83, v80, s9
	s_barrier_signal -1
	s_barrier_wait -1
	global_inv scope:SCOPE_SE
	v_cndmask_b32_e64 v74, v74, v75, s7
	v_lshlrev_b32_e32 v73, 2, v79
	ds_load_b32 v71, v70
	ds_load_b32 v72, v72
	;; [unrolled: 1-line block ×3, first 2 shown]
	v_cndmask_b32_e64 v70, v76, v77, s8
	s_wait_loadcnt_dscnt 0x0
	s_barrier_signal -1
	s_barrier_wait -1
	global_inv scope:SCOPE_SE
	ds_store_2addr_b32 v1, v74, v70 offset1:1
	ds_store_b32 v1, v78 offset:8
	v_mov_b32_e32 v70, v4
	s_wait_loadcnt_dscnt 0x0
	s_barrier_signal -1
	s_barrier_wait -1
	global_inv scope:SCOPE_SE
	s_and_saveexec_b32 s8, vcc_lo
	s_cbranch_execz .LBB25_90
; %bb.87:                               ;   in Loop: Header=BB25_2 Depth=1
	v_mov_b32_e32 v70, v4
	v_mov_b32_e32 v74, v5
	s_mov_b32 s9, 0
.LBB25_88:                              ;   Parent Loop BB25_2 Depth=1
                                        ; =>  This Inner Loop Header: Depth=2
	s_delay_alu instid0(VALU_DEP_1) | instskip(NEXT) | instid1(VALU_DEP_1)
	v_sub_nc_u32_e32 v75, v74, v70
	v_lshrrev_b32_e32 v75, 1, v75
	s_delay_alu instid0(VALU_DEP_1) | instskip(NEXT) | instid1(VALU_DEP_1)
	v_add_nc_u32_e32 v75, v75, v70
	v_not_b32_e32 v76, v75
	v_lshlrev_b32_e32 v77, 2, v75
	v_add_nc_u32_e32 v78, 1, v75
	s_delay_alu instid0(VALU_DEP_3)
	v_lshl_add_u32 v76, v76, 2, v6
	ds_load_b32 v77, v77
	ds_load_b32 v76, v76 offset:1536
	s_wait_dscnt 0x0
	v_cmp_lt_i32_e64 s7, v76, v77
	s_wait_alu 0xf1ff
	s_delay_alu instid0(VALU_DEP_1) | instskip(SKIP_1) | instid1(VALU_DEP_1)
	v_cndmask_b32_e64 v74, v74, v75, s7
	v_cndmask_b32_e64 v70, v78, v70, s7
	v_cmp_ge_i32_e64 s7, v70, v74
	s_wait_alu 0xfffe
	s_or_b32 s9, s7, s9
	s_wait_alu 0xfffe
	s_and_not1_b32 exec_lo, exec_lo, s9
	s_cbranch_execnz .LBB25_88
; %bb.89:                               ;   in Loop: Header=BB25_2 Depth=1
	s_or_b32 exec_lo, exec_lo, s9
.LBB25_90:                              ;   in Loop: Header=BB25_2 Depth=1
	s_wait_alu 0xfffe
	s_or_b32 exec_lo, exec_lo, s8
	v_sub_nc_u32_e32 v74, v2, v70
	v_lshlrev_b32_e32 v79, 2, v70
	v_cmp_le_i32_e64 s7, 0x180, v70
                                        ; implicit-def: $vgpr78
	s_delay_alu instid0(VALU_DEP_3)
	v_lshlrev_b32_e32 v75, 2, v74
	v_sub_nc_u32_e32 v74, v3, v70
	ds_load_b32 v76, v79
	ds_load_b32 v77, v75 offset:1536
	v_cmp_gt_i32_e64 s9, 0x300, v74
	s_wait_dscnt 0x0
	v_cmp_lt_i32_e64 s8, v77, v76
	s_or_b32 s7, s7, s8
	s_wait_alu 0xfffe
	s_and_b32 s7, s9, s7
	s_wait_alu 0xfffe
	s_xor_b32 s8, s7, -1
	s_wait_alu 0xfffe
	s_and_saveexec_b32 s9, s8
	s_wait_alu 0xfffe
	s_xor_b32 s8, exec_lo, s9
; %bb.91:                               ;   in Loop: Header=BB25_2 Depth=1
	ds_load_b32 v78, v79 offset:4
                                        ; implicit-def: $vgpr75
; %bb.92:                               ;   in Loop: Header=BB25_2 Depth=1
	s_wait_alu 0xfffe
	s_or_saveexec_b32 s8, s8
	v_mov_b32_e32 v79, v77
	s_wait_alu 0xfffe
	s_xor_b32 exec_lo, exec_lo, s8
	s_cbranch_execz .LBB25_94
; %bb.93:                               ;   in Loop: Header=BB25_2 Depth=1
	ds_load_b32 v79, v75 offset:1540
	s_wait_dscnt 0x1
	v_mov_b32_e32 v78, v76
.LBB25_94:                              ;   in Loop: Header=BB25_2 Depth=1
	s_or_b32 exec_lo, exec_lo, s8
	v_add_nc_u32_e32 v75, 1, v70
	v_add_nc_u32_e32 v80, 1, v74
	s_wait_dscnt 0x0
	v_cmp_lt_i32_e64 s9, v79, v78
                                        ; implicit-def: $vgpr81
	s_delay_alu instid0(VALU_DEP_3) | instskip(NEXT) | instid1(VALU_DEP_3)
	v_cndmask_b32_e64 v83, v75, v70, s7
	v_cndmask_b32_e64 v75, v74, v80, s7
                                        ; implicit-def: $vgpr80
	s_delay_alu instid0(VALU_DEP_2) | instskip(NEXT) | instid1(VALU_DEP_2)
	v_cmp_le_i32_e64 s8, 0x180, v83
	v_cmp_gt_i32_e64 s10, 0x300, v75
	s_or_b32 s8, s8, s9
	s_wait_alu 0xfffe
	s_and_b32 s8, s10, s8
	s_wait_alu 0xfffe
	s_xor_b32 s9, s8, -1
	s_wait_alu 0xfffe
	s_and_saveexec_b32 s10, s9
	s_wait_alu 0xfffe
	s_xor_b32 s9, exec_lo, s10
; %bb.95:                               ;   in Loop: Header=BB25_2 Depth=1
	v_lshlrev_b32_e32 v80, 2, v83
	ds_load_b32 v81, v80 offset:4
	v_add_nc_u32_e32 v80, 1, v83
; %bb.96:                               ;   in Loop: Header=BB25_2 Depth=1
	s_wait_alu 0xfffe
	s_or_saveexec_b32 s9, s9
	v_mov_b32_e32 v82, v83
	v_mov_b32_e32 v84, v79
	s_wait_alu 0xfffe
	s_xor_b32 exec_lo, exec_lo, s9
	s_cbranch_execz .LBB25_1
; %bb.97:                               ;   in Loop: Header=BB25_2 Depth=1
	s_wait_dscnt 0x0
	v_dual_mov_b32 v82, v75 :: v_dual_add_nc_u32 v81, 1, v75
	s_delay_alu instid0(VALU_DEP_1)
	v_dual_mov_b32 v75, v81 :: v_dual_lshlrev_b32 v80, 2, v75
	v_mov_b32_e32 v81, v78
	ds_load_b32 v84, v80 offset:4
	v_mov_b32_e32 v80, v83
	s_branch .LBB25_1
.LBB25_98:
	s_wait_dscnt 0x2
	v_add_nc_u32_e32 v1, v72, v75
	v_lshlrev_b32_e32 v0, 2, v0
	s_wait_dscnt 0x1
	v_add_nc_u32_e32 v2, v71, v74
	s_wait_dscnt 0x0
	v_add_nc_u32_e32 v3, v70, v73
	s_add_nc_u64 s[0:1], s[14:15], s[16:17]
	s_clause 0x2
	global_store_b32 v0, v1, s[0:1]
	global_store_b32 v0, v2, s[0:1] offset:1024
	global_store_b32 v0, v3, s[0:1] offset:2048
	s_endpgm
	.section	.rodata,"a",@progbits
	.p2align	6, 0x0
	.amdhsa_kernel _Z17sort_pairs_kernelIiLj256ELj3EN10test_utils4lessELj10EEvPKT_PS2_T2_
		.amdhsa_group_segment_fixed_size 3076
		.amdhsa_private_segment_fixed_size 0
		.amdhsa_kernarg_size 20
		.amdhsa_user_sgpr_count 2
		.amdhsa_user_sgpr_dispatch_ptr 0
		.amdhsa_user_sgpr_queue_ptr 0
		.amdhsa_user_sgpr_kernarg_segment_ptr 1
		.amdhsa_user_sgpr_dispatch_id 0
		.amdhsa_user_sgpr_private_segment_size 0
		.amdhsa_wavefront_size32 1
		.amdhsa_uses_dynamic_stack 0
		.amdhsa_enable_private_segment 0
		.amdhsa_system_sgpr_workgroup_id_x 1
		.amdhsa_system_sgpr_workgroup_id_y 0
		.amdhsa_system_sgpr_workgroup_id_z 0
		.amdhsa_system_sgpr_workgroup_info 0
		.amdhsa_system_vgpr_workitem_id 0
		.amdhsa_next_free_vgpr 88
		.amdhsa_next_free_sgpr 20
		.amdhsa_reserve_vcc 1
		.amdhsa_float_round_mode_32 0
		.amdhsa_float_round_mode_16_64 0
		.amdhsa_float_denorm_mode_32 3
		.amdhsa_float_denorm_mode_16_64 3
		.amdhsa_fp16_overflow 0
		.amdhsa_workgroup_processor_mode 1
		.amdhsa_memory_ordered 1
		.amdhsa_forward_progress 1
		.amdhsa_inst_pref_size 58
		.amdhsa_round_robin_scheduling 0
		.amdhsa_exception_fp_ieee_invalid_op 0
		.amdhsa_exception_fp_denorm_src 0
		.amdhsa_exception_fp_ieee_div_zero 0
		.amdhsa_exception_fp_ieee_overflow 0
		.amdhsa_exception_fp_ieee_underflow 0
		.amdhsa_exception_fp_ieee_inexact 0
		.amdhsa_exception_int_div_zero 0
	.end_amdhsa_kernel
	.section	.text._Z17sort_pairs_kernelIiLj256ELj3EN10test_utils4lessELj10EEvPKT_PS2_T2_,"axG",@progbits,_Z17sort_pairs_kernelIiLj256ELj3EN10test_utils4lessELj10EEvPKT_PS2_T2_,comdat
.Lfunc_end25:
	.size	_Z17sort_pairs_kernelIiLj256ELj3EN10test_utils4lessELj10EEvPKT_PS2_T2_, .Lfunc_end25-_Z17sort_pairs_kernelIiLj256ELj3EN10test_utils4lessELj10EEvPKT_PS2_T2_
                                        ; -- End function
	.set _Z17sort_pairs_kernelIiLj256ELj3EN10test_utils4lessELj10EEvPKT_PS2_T2_.num_vgpr, 88
	.set _Z17sort_pairs_kernelIiLj256ELj3EN10test_utils4lessELj10EEvPKT_PS2_T2_.num_agpr, 0
	.set _Z17sort_pairs_kernelIiLj256ELj3EN10test_utils4lessELj10EEvPKT_PS2_T2_.numbered_sgpr, 20
	.set _Z17sort_pairs_kernelIiLj256ELj3EN10test_utils4lessELj10EEvPKT_PS2_T2_.num_named_barrier, 0
	.set _Z17sort_pairs_kernelIiLj256ELj3EN10test_utils4lessELj10EEvPKT_PS2_T2_.private_seg_size, 0
	.set _Z17sort_pairs_kernelIiLj256ELj3EN10test_utils4lessELj10EEvPKT_PS2_T2_.uses_vcc, 1
	.set _Z17sort_pairs_kernelIiLj256ELj3EN10test_utils4lessELj10EEvPKT_PS2_T2_.uses_flat_scratch, 0
	.set _Z17sort_pairs_kernelIiLj256ELj3EN10test_utils4lessELj10EEvPKT_PS2_T2_.has_dyn_sized_stack, 0
	.set _Z17sort_pairs_kernelIiLj256ELj3EN10test_utils4lessELj10EEvPKT_PS2_T2_.has_recursion, 0
	.set _Z17sort_pairs_kernelIiLj256ELj3EN10test_utils4lessELj10EEvPKT_PS2_T2_.has_indirect_call, 0
	.section	.AMDGPU.csdata,"",@progbits
; Kernel info:
; codeLenInByte = 7384
; TotalNumSgprs: 22
; NumVgprs: 88
; ScratchSize: 0
; MemoryBound: 0
; FloatMode: 240
; IeeeMode: 1
; LDSByteSize: 3076 bytes/workgroup (compile time only)
; SGPRBlocks: 0
; VGPRBlocks: 10
; NumSGPRsForWavesPerEU: 22
; NumVGPRsForWavesPerEU: 88
; Occupancy: 16
; WaveLimiterHint : 1
; COMPUTE_PGM_RSRC2:SCRATCH_EN: 0
; COMPUTE_PGM_RSRC2:USER_SGPR: 2
; COMPUTE_PGM_RSRC2:TRAP_HANDLER: 0
; COMPUTE_PGM_RSRC2:TGID_X_EN: 1
; COMPUTE_PGM_RSRC2:TGID_Y_EN: 0
; COMPUTE_PGM_RSRC2:TGID_Z_EN: 0
; COMPUTE_PGM_RSRC2:TIDIG_COMP_CNT: 0
	.section	.text._Z16sort_keys_kernelIiLj256ELj4EN10test_utils4lessELj10EEvPKT_PS2_T2_,"axG",@progbits,_Z16sort_keys_kernelIiLj256ELj4EN10test_utils4lessELj10EEvPKT_PS2_T2_,comdat
	.protected	_Z16sort_keys_kernelIiLj256ELj4EN10test_utils4lessELj10EEvPKT_PS2_T2_ ; -- Begin function _Z16sort_keys_kernelIiLj256ELj4EN10test_utils4lessELj10EEvPKT_PS2_T2_
	.globl	_Z16sort_keys_kernelIiLj256ELj4EN10test_utils4lessELj10EEvPKT_PS2_T2_
	.p2align	8
	.type	_Z16sort_keys_kernelIiLj256ELj4EN10test_utils4lessELj10EEvPKT_PS2_T2_,@function
_Z16sort_keys_kernelIiLj256ELj4EN10test_utils4lessELj10EEvPKT_PS2_T2_: ; @_Z16sort_keys_kernelIiLj256ELj4EN10test_utils4lessELj10EEvPKT_PS2_T2_
; %bb.0:
	v_lshlrev_b32_e32 v53, 2, v0
	s_load_b128 s[12:15], s[0:1], 0x0
	s_lshl_b32 s16, ttmp9, 10
	s_mov_b32 s17, 0
	v_lshlrev_b32_e32 v5, 4, v0
	v_and_b32_e32 v1, 0x3f8, v53
	v_and_b32_e32 v52, 4, v53
	s_lshl_b64 s[18:19], s[16:17], 2
	s_delay_alu instid0(VALU_DEP_2) | instskip(SKIP_1) | instid1(VALU_DEP_3)
	v_or_b32_e32 v2, 4, v1
	v_add_nc_u32_e32 v3, 8, v1
	v_lshlrev_b32_e32 v55, 2, v52
	s_delay_alu instid0(VALU_DEP_3) | instskip(NEXT) | instid1(VALU_DEP_3)
	v_sub_nc_u32_e32 v10, v2, v1
	v_sub_nc_u32_e32 v8, v3, v2
	v_add_nc_u32_e32 v12, v2, v52
	s_delay_alu instid0(VALU_DEP_2) | instskip(SKIP_3) | instid1(VALU_DEP_2)
	v_sub_nc_u32_e32 v9, v52, v8
	v_cmp_ge_i32_e32 vcc_lo, v52, v8
	s_wait_kmcnt 0x0
	s_add_nc_u64 s[0:1], s[12:13], s[18:19]
	v_cndmask_b32_e32 v8, 0, v9, vcc_lo
	s_clause 0x3
	global_load_b32 v62, v53, s[0:1]
	global_load_b32 v63, v53, s[0:1] offset:1024
	global_load_b32 v64, v53, s[0:1] offset:2048
	;; [unrolled: 1-line block ×3, first 2 shown]
	v_and_b32_e32 v25, 0x380, v53
	v_and_b32_e32 v58, 0x7c, v53
	;; [unrolled: 1-line block ×5, first 2 shown]
	v_or_b32_e32 v27, 64, v25
	v_add_nc_u32_e32 v28, 0x80, v25
	v_and_b32_e32 v32, 0x300, v53
	v_or_b32_e32 v6, 8, v4
	v_add_nc_u32_e32 v7, 16, v4
	v_or_b32_e32 v13, 16, v11
	v_sub_nc_u32_e32 v36, v28, v27
	v_add_nc_u32_e32 v14, 32, v11
	v_or_b32_e32 v20, 32, v18
	v_add_nc_u32_e32 v21, 64, v18
	v_or_b32_e32 v34, 0x80, v32
	v_sub_nc_u32_e32 v37, v58, v36
	v_cmp_ge_i32_e64 s3, v58, v36
	v_add_nc_u32_e32 v35, 0x100, v32
	v_and_b32_e32 v54, 12, v53
	v_sub_nc_u32_e32 v15, v7, v6
	v_and_b32_e32 v56, 28, v53
	v_cndmask_b32_e64 v36, 0, v37, s3
	v_and_b32_e32 v37, 0x200, v53
	v_sub_nc_u32_e32 v22, v14, v13
	v_and_b32_e32 v57, 60, v53
	v_sub_nc_u32_e32 v29, v21, v20
	v_and_b32_e32 v59, 0xfc, v53
	v_or_b32_e32 v40, 0x100, v37
	v_add_nc_u32_e32 v41, 0x200, v37
	v_sub_nc_u32_e32 v42, v35, v34
	v_and_b32_e32 v60, 0x1fc, v53
	v_sub_nc_u32_e32 v16, v54, v15
	v_sub_nc_u32_e32 v17, v6, v4
	;; [unrolled: 1-line block ×3, first 2 shown]
	v_cmp_ge_i32_e64 s0, v54, v15
	v_sub_nc_u32_e32 v23, v56, v22
	v_sub_nc_u32_e32 v24, v13, v11
	v_cmp_ge_i32_e64 s1, v56, v22
	v_sub_nc_u32_e32 v30, v57, v29
	v_sub_nc_u32_e32 v31, v20, v18
	;; [unrolled: 3-line block ×3, first 2 shown]
	v_sub_nc_u32_e32 v44, v34, v32
	v_cmp_ge_i32_e64 s4, v59, v42
	v_sub_nc_u32_e32 v47, v60, v46
	v_sub_nc_u32_e32 v48, v40, v37
	v_cmp_ge_i32_e64 s5, v60, v46
	v_min_i32_e32 v9, v52, v10
	v_cndmask_b32_e64 v15, 0, v16, s0
	v_min_i32_e32 v16, v54, v17
	v_cndmask_b32_e64 v22, 0, v23, s1
	v_min_i32_e32 v23, v56, v24
	v_add_nc_u32_e32 v26, v13, v56
	s_wait_alu 0xf1ff
	v_cndmask_b32_e64 v29, 0, v30, s2
	v_min_i32_e32 v30, v57, v31
	v_add_nc_u32_e32 v33, v20, v57
	v_min_i32_e32 v38, v58, v38
	v_cndmask_b32_e64 v42, 0, v43, s4
	v_min_i32_e32 v43, v59, v44
	v_add_nc_u32_e32 v44, v27, v58
	v_cndmask_b32_e64 v46, 0, v47, s5
	v_min_i32_e32 v47, v60, v48
	v_add_nc_u32_e32 v48, v34, v59
	v_subrev_nc_u32_e64 v50, 0x200, v53 clamp
	v_min_i32_e32 v51, 0x200, v53
	v_lshlrev_b32_e32 v61, 2, v54
	v_add_nc_u32_e32 v52, v40, v60
	v_lshlrev_b32_e32 v56, 2, v56
	v_lshlrev_b32_e32 v57, 2, v57
	;; [unrolled: 1-line block ×7, first 2 shown]
	v_cmp_lt_i32_e64 s0, v15, v16
	v_add_nc_u32_e32 v19, v6, v54
	v_lshlrev_b32_e32 v24, 2, v11
	v_cmp_lt_i32_e64 s1, v22, v23
	v_lshlrev_b32_e32 v31, 2, v18
	v_cmp_lt_i32_e64 s2, v29, v30
	;; [unrolled: 2-line block ×5, first 2 shown]
	v_cmp_lt_i32_e64 s6, v50, v51
	v_add_nc_u32_e32 v53, 0x200, v53
	v_lshl_add_u32 v54, v2, 2, v55
	v_lshl_add_u32 v55, v6, 2, v61
	;; [unrolled: 1-line block ×7, first 2 shown]
	v_add_nc_u32_e32 v61, 0x800, v5
	v_cmp_lt_i32_e32 vcc_lo, v8, v9
	s_branch .LBB26_2
.LBB26_1:                               ;   in Loop: Header=BB26_2 Depth=1
	s_or_b32 exec_lo, exec_lo, s10
	v_cmp_le_i32_e64 s10, 0x200, v71
	s_wait_dscnt 0x0
	v_cmp_lt_i32_e64 s11, v72, v69
	v_cmp_gt_i32_e64 s12, 0x400, v68
	v_cndmask_b32_e64 v62, v62, v63, s7
	v_cndmask_b32_e64 v63, v64, v65, s8
	;; [unrolled: 1-line block ×3, first 2 shown]
	s_or_b32 s7, s10, s11
	s_add_co_i32 s17, s17, 1
	s_wait_alu 0xfffe
	s_and_b32 s7, s12, s7
	s_cmp_eq_u32 s17, 10
	s_wait_alu 0xfffe
	v_cndmask_b32_e64 v65, v69, v72, s7
	s_cbranch_scc1 .LBB26_130
.LBB26_2:                               ; =>This Loop Header: Depth=1
                                        ;     Child Loop BB26_4 Depth 2
                                        ;     Child Loop BB26_20 Depth 2
	;; [unrolled: 1-line block ×8, first 2 shown]
	s_wait_loadcnt 0x0
	s_delay_alu instid0(VALU_DEP_1)
	v_cmp_lt_i32_e64 s7, v65, v64
	v_cmp_lt_i32_e64 s8, v63, v62
	v_max_i32_e32 v67, v63, v62
	v_min_i32_e32 v69, v65, v64
	s_wait_alu 0xf1ff
	v_cndmask_b32_e64 v68, v65, v64, s7
	v_cndmask_b32_e64 v66, v62, v63, s8
	;; [unrolled: 1-line block ×4, first 2 shown]
	v_min_i32_e32 v62, v63, v62
	v_max_i32_e32 v63, v65, v64
	v_cmp_lt_i32_e64 s7, v69, v67
	v_min_i32_e32 v65, v69, v67
	s_barrier_signal -1
	v_cmp_lt_i32_e64 s8, v69, v62
	v_cmp_gt_i32_e64 s9, v67, v63
	s_wait_alu 0xf1ff
	v_cndmask_b32_e64 v64, v70, v67, s7
	v_max_i32_e32 v70, v69, v67
	v_cndmask_b32_e64 v67, v71, v69, s7
	v_cndmask_b32_e64 v66, v66, v65, s8
	;; [unrolled: 1-line block ×3, first 2 shown]
	s_barrier_wait -1
	v_cndmask_b32_e64 v69, v70, v63, s9
	v_cndmask_b32_e64 v62, v67, v62, s8
	;; [unrolled: 1-line block ×3, first 2 shown]
	v_mov_b32_e32 v64, v8
	v_cndmask_b32_e64 v68, v68, v70, s9
	v_cmp_lt_i32_e64 s7, v69, v65
	global_inv scope:SCOPE_SE
	s_wait_alu 0xf1ff
	v_cndmask_b32_e64 v62, v62, v69, s7
	v_cndmask_b32_e64 v63, v63, v65, s7
	ds_store_2addr_b32 v5, v66, v62 offset1:1
	ds_store_2addr_b32 v5, v63, v68 offset0:2 offset1:3
	s_wait_loadcnt_dscnt 0x0
	s_barrier_signal -1
	s_barrier_wait -1
	global_inv scope:SCOPE_SE
	s_and_saveexec_b32 s8, vcc_lo
	s_cbranch_execz .LBB26_6
; %bb.3:                                ;   in Loop: Header=BB26_2 Depth=1
	v_mov_b32_e32 v64, v8
	v_mov_b32_e32 v62, v9
	s_mov_b32 s9, 0
.LBB26_4:                               ;   Parent Loop BB26_2 Depth=1
                                        ; =>  This Inner Loop Header: Depth=2
	s_delay_alu instid0(VALU_DEP_1) | instskip(NEXT) | instid1(VALU_DEP_1)
	v_sub_nc_u32_e32 v63, v62, v64
	v_lshrrev_b32_e32 v63, 1, v63
	s_delay_alu instid0(VALU_DEP_1) | instskip(NEXT) | instid1(VALU_DEP_1)
	v_add_nc_u32_e32 v63, v63, v64
	v_not_b32_e32 v65, v63
	v_lshl_add_u32 v66, v63, 2, v10
	v_add_nc_u32_e32 v67, 1, v63
	s_delay_alu instid0(VALU_DEP_3)
	v_lshl_add_u32 v65, v65, 2, v54
	ds_load_b32 v66, v66
	ds_load_b32 v65, v65
	s_wait_dscnt 0x0
	v_cmp_lt_i32_e64 s7, v65, v66
	s_wait_alu 0xf1ff
	s_delay_alu instid0(VALU_DEP_1) | instskip(SKIP_1) | instid1(VALU_DEP_1)
	v_cndmask_b32_e64 v62, v62, v63, s7
	v_cndmask_b32_e64 v64, v67, v64, s7
	v_cmp_ge_i32_e64 s7, v64, v62
	s_wait_alu 0xfffe
	s_or_b32 s9, s7, s9
	s_wait_alu 0xfffe
	s_and_not1_b32 exec_lo, exec_lo, s9
	s_cbranch_execnz .LBB26_4
; %bb.5:                                ;   in Loop: Header=BB26_2 Depth=1
	s_or_b32 exec_lo, exec_lo, s9
.LBB26_6:                               ;   in Loop: Header=BB26_2 Depth=1
	s_wait_alu 0xfffe
	s_or_b32 exec_lo, exec_lo, s8
	v_sub_nc_u32_e32 v66, v12, v64
	v_lshl_add_u32 v65, v64, 2, v10
	v_add_nc_u32_e32 v67, v64, v1
                                        ; implicit-def: $vgpr64
	s_delay_alu instid0(VALU_DEP_3) | instskip(SKIP_1) | instid1(VALU_DEP_3)
	v_lshlrev_b32_e32 v68, 2, v66
	v_cmp_gt_i32_e64 s9, v3, v66
	v_cmp_le_i32_e64 s7, v2, v67
	ds_load_b32 v62, v65
	ds_load_b32 v63, v68
	s_wait_dscnt 0x0
	v_cmp_lt_i32_e64 s8, v63, v62
	s_or_b32 s7, s7, s8
	s_wait_alu 0xfffe
	s_and_b32 s7, s9, s7
	s_wait_alu 0xfffe
	s_xor_b32 s8, s7, -1
	s_wait_alu 0xfffe
	s_and_saveexec_b32 s9, s8
	s_wait_alu 0xfffe
	s_xor_b32 s8, exec_lo, s9
; %bb.7:                                ;   in Loop: Header=BB26_2 Depth=1
	ds_load_b32 v64, v65 offset:4
                                        ; implicit-def: $vgpr68
; %bb.8:                                ;   in Loop: Header=BB26_2 Depth=1
	s_wait_alu 0xfffe
	s_or_saveexec_b32 s8, s8
	v_mov_b32_e32 v65, v63
	s_wait_alu 0xfffe
	s_xor_b32 exec_lo, exec_lo, s8
	s_cbranch_execz .LBB26_10
; %bb.9:                                ;   in Loop: Header=BB26_2 Depth=1
	ds_load_b32 v65, v68 offset:4
	s_wait_dscnt 0x1
	v_mov_b32_e32 v64, v62
.LBB26_10:                              ;   in Loop: Header=BB26_2 Depth=1
	s_or_b32 exec_lo, exec_lo, s8
	v_add_nc_u32_e32 v68, 1, v67
	v_add_nc_u32_e32 v70, 1, v66
	s_wait_dscnt 0x0
	v_cmp_lt_i32_e64 s9, v65, v64
	s_delay_alu instid0(VALU_DEP_3) | instskip(NEXT) | instid1(VALU_DEP_3)
	v_cndmask_b32_e64 v69, v68, v67, s7
	v_cndmask_b32_e64 v68, v66, v70, s7
                                        ; implicit-def: $vgpr66
	s_delay_alu instid0(VALU_DEP_2) | instskip(NEXT) | instid1(VALU_DEP_2)
	v_cmp_ge_i32_e64 s8, v69, v2
	v_cmp_lt_i32_e64 s10, v68, v3
	s_or_b32 s8, s8, s9
	s_wait_alu 0xfffe
	s_and_b32 s8, s10, s8
	s_wait_alu 0xfffe
	s_xor_b32 s9, s8, -1
	s_wait_alu 0xfffe
	s_and_saveexec_b32 s10, s9
	s_delay_alu instid0(SALU_CYCLE_1)
	s_xor_b32 s9, exec_lo, s10
; %bb.11:                               ;   in Loop: Header=BB26_2 Depth=1
	v_lshlrev_b32_e32 v66, 2, v69
	ds_load_b32 v66, v66 offset:4
; %bb.12:                               ;   in Loop: Header=BB26_2 Depth=1
	s_wait_alu 0xfffe
	s_or_saveexec_b32 s9, s9
	v_mov_b32_e32 v67, v65
	s_wait_alu 0xfffe
	s_xor_b32 exec_lo, exec_lo, s9
	s_cbranch_execz .LBB26_14
; %bb.13:                               ;   in Loop: Header=BB26_2 Depth=1
	s_wait_dscnt 0x0
	v_lshlrev_b32_e32 v66, 2, v68
	ds_load_b32 v67, v66 offset:4
	v_mov_b32_e32 v66, v64
.LBB26_14:                              ;   in Loop: Header=BB26_2 Depth=1
	s_or_b32 exec_lo, exec_lo, s9
	v_add_nc_u32_e32 v70, 1, v69
	v_add_nc_u32_e32 v71, 1, v68
	s_wait_dscnt 0x0
	v_cmp_lt_i32_e64 s10, v67, v66
	s_delay_alu instid0(VALU_DEP_3) | instskip(NEXT) | instid1(VALU_DEP_3)
	v_cndmask_b32_e64 v70, v70, v69, s8
	v_cndmask_b32_e64 v69, v68, v71, s8
                                        ; implicit-def: $vgpr68
	s_delay_alu instid0(VALU_DEP_2) | instskip(NEXT) | instid1(VALU_DEP_2)
	v_cmp_ge_i32_e64 s9, v70, v2
	v_cmp_lt_i32_e64 s11, v69, v3
	s_or_b32 s9, s9, s10
	s_wait_alu 0xfffe
	s_and_b32 s9, s11, s9
	s_wait_alu 0xfffe
	s_xor_b32 s10, s9, -1
	s_delay_alu instid0(SALU_CYCLE_1) | instskip(NEXT) | instid1(SALU_CYCLE_1)
	s_and_saveexec_b32 s11, s10
	s_xor_b32 s10, exec_lo, s11
; %bb.15:                               ;   in Loop: Header=BB26_2 Depth=1
	v_lshlrev_b32_e32 v68, 2, v70
	ds_load_b32 v68, v68 offset:4
; %bb.16:                               ;   in Loop: Header=BB26_2 Depth=1
	s_or_saveexec_b32 s10, s10
	v_mov_b32_e32 v71, v67
	s_xor_b32 exec_lo, exec_lo, s10
	s_cbranch_execz .LBB26_18
; %bb.17:                               ;   in Loop: Header=BB26_2 Depth=1
	s_wait_dscnt 0x0
	v_lshlrev_b32_e32 v68, 2, v69
	ds_load_b32 v71, v68 offset:4
	v_mov_b32_e32 v68, v66
.LBB26_18:                              ;   in Loop: Header=BB26_2 Depth=1
	s_or_b32 exec_lo, exec_lo, s10
	v_add_nc_u32_e32 v72, 1, v70
	v_add_nc_u32_e32 v73, 1, v69
	v_cndmask_b32_e64 v65, v64, v65, s8
	v_mov_b32_e32 v64, v15
	v_cndmask_b32_e64 v66, v66, v67, s9
	v_cndmask_b32_e64 v70, v72, v70, s9
	;; [unrolled: 1-line block ×3, first 2 shown]
	s_wait_dscnt 0x0
	v_cmp_lt_i32_e64 s9, v71, v68
	v_cndmask_b32_e64 v62, v62, v63, s7
	s_wait_loadcnt 0x0
	v_cmp_ge_i32_e64 s10, v70, v2
	v_cmp_lt_i32_e64 s8, v69, v3
	s_barrier_signal -1
	s_barrier_wait -1
	global_inv scope:SCOPE_SE
	s_or_b32 s7, s10, s9
	s_wait_alu 0xfffe
	s_and_b32 s7, s8, s7
	s_wait_alu 0xfffe
	v_cndmask_b32_e64 v63, v68, v71, s7
	ds_store_2addr_b32 v5, v62, v65 offset1:1
	ds_store_2addr_b32 v5, v66, v63 offset0:2 offset1:3
	s_wait_loadcnt_dscnt 0x0
	s_barrier_signal -1
	s_barrier_wait -1
	global_inv scope:SCOPE_SE
	s_and_saveexec_b32 s8, s0
	s_cbranch_execz .LBB26_22
; %bb.19:                               ;   in Loop: Header=BB26_2 Depth=1
	v_mov_b32_e32 v64, v15
	v_mov_b32_e32 v62, v16
	s_mov_b32 s9, 0
.LBB26_20:                              ;   Parent Loop BB26_2 Depth=1
                                        ; =>  This Inner Loop Header: Depth=2
	s_delay_alu instid0(VALU_DEP_1) | instskip(NEXT) | instid1(VALU_DEP_1)
	v_sub_nc_u32_e32 v63, v62, v64
	v_lshrrev_b32_e32 v63, 1, v63
	s_delay_alu instid0(VALU_DEP_1) | instskip(NEXT) | instid1(VALU_DEP_1)
	v_add_nc_u32_e32 v63, v63, v64
	v_not_b32_e32 v65, v63
	v_lshl_add_u32 v66, v63, 2, v17
	v_add_nc_u32_e32 v67, 1, v63
	s_delay_alu instid0(VALU_DEP_3)
	v_lshl_add_u32 v65, v65, 2, v55
	ds_load_b32 v66, v66
	ds_load_b32 v65, v65
	s_wait_dscnt 0x0
	v_cmp_lt_i32_e64 s7, v65, v66
	s_wait_alu 0xf1ff
	s_delay_alu instid0(VALU_DEP_1) | instskip(SKIP_1) | instid1(VALU_DEP_1)
	v_cndmask_b32_e64 v62, v62, v63, s7
	v_cndmask_b32_e64 v64, v67, v64, s7
	v_cmp_ge_i32_e64 s7, v64, v62
	s_wait_alu 0xfffe
	s_or_b32 s9, s7, s9
	s_wait_alu 0xfffe
	s_and_not1_b32 exec_lo, exec_lo, s9
	s_cbranch_execnz .LBB26_20
; %bb.21:                               ;   in Loop: Header=BB26_2 Depth=1
	s_or_b32 exec_lo, exec_lo, s9
.LBB26_22:                              ;   in Loop: Header=BB26_2 Depth=1
	s_wait_alu 0xfffe
	s_or_b32 exec_lo, exec_lo, s8
	v_sub_nc_u32_e32 v66, v19, v64
	v_lshl_add_u32 v65, v64, 2, v17
	v_add_nc_u32_e32 v67, v64, v4
                                        ; implicit-def: $vgpr64
	s_delay_alu instid0(VALU_DEP_3) | instskip(SKIP_1) | instid1(VALU_DEP_3)
	v_lshlrev_b32_e32 v68, 2, v66
	v_cmp_gt_i32_e64 s9, v7, v66
	v_cmp_le_i32_e64 s7, v6, v67
	ds_load_b32 v62, v65
	ds_load_b32 v63, v68
	s_wait_dscnt 0x0
	v_cmp_lt_i32_e64 s8, v63, v62
	s_or_b32 s7, s7, s8
	s_wait_alu 0xfffe
	s_and_b32 s7, s9, s7
	s_wait_alu 0xfffe
	s_xor_b32 s8, s7, -1
	s_wait_alu 0xfffe
	s_and_saveexec_b32 s9, s8
	s_wait_alu 0xfffe
	s_xor_b32 s8, exec_lo, s9
; %bb.23:                               ;   in Loop: Header=BB26_2 Depth=1
	ds_load_b32 v64, v65 offset:4
                                        ; implicit-def: $vgpr68
; %bb.24:                               ;   in Loop: Header=BB26_2 Depth=1
	s_wait_alu 0xfffe
	s_or_saveexec_b32 s8, s8
	v_mov_b32_e32 v65, v63
	s_wait_alu 0xfffe
	s_xor_b32 exec_lo, exec_lo, s8
	s_cbranch_execz .LBB26_26
; %bb.25:                               ;   in Loop: Header=BB26_2 Depth=1
	ds_load_b32 v65, v68 offset:4
	s_wait_dscnt 0x1
	v_mov_b32_e32 v64, v62
.LBB26_26:                              ;   in Loop: Header=BB26_2 Depth=1
	s_or_b32 exec_lo, exec_lo, s8
	v_add_nc_u32_e32 v68, 1, v67
	v_add_nc_u32_e32 v70, 1, v66
	s_wait_dscnt 0x0
	v_cmp_lt_i32_e64 s9, v65, v64
	s_delay_alu instid0(VALU_DEP_3) | instskip(NEXT) | instid1(VALU_DEP_3)
	v_cndmask_b32_e64 v69, v68, v67, s7
	v_cndmask_b32_e64 v68, v66, v70, s7
                                        ; implicit-def: $vgpr66
	s_delay_alu instid0(VALU_DEP_2) | instskip(NEXT) | instid1(VALU_DEP_2)
	v_cmp_ge_i32_e64 s8, v69, v6
	v_cmp_lt_i32_e64 s10, v68, v7
	s_or_b32 s8, s8, s9
	s_wait_alu 0xfffe
	s_and_b32 s8, s10, s8
	s_wait_alu 0xfffe
	s_xor_b32 s9, s8, -1
	s_wait_alu 0xfffe
	s_and_saveexec_b32 s10, s9
	s_delay_alu instid0(SALU_CYCLE_1)
	s_xor_b32 s9, exec_lo, s10
; %bb.27:                               ;   in Loop: Header=BB26_2 Depth=1
	v_lshlrev_b32_e32 v66, 2, v69
	ds_load_b32 v66, v66 offset:4
; %bb.28:                               ;   in Loop: Header=BB26_2 Depth=1
	s_wait_alu 0xfffe
	s_or_saveexec_b32 s9, s9
	v_mov_b32_e32 v67, v65
	s_wait_alu 0xfffe
	s_xor_b32 exec_lo, exec_lo, s9
	s_cbranch_execz .LBB26_30
; %bb.29:                               ;   in Loop: Header=BB26_2 Depth=1
	s_wait_dscnt 0x0
	v_lshlrev_b32_e32 v66, 2, v68
	ds_load_b32 v67, v66 offset:4
	v_mov_b32_e32 v66, v64
.LBB26_30:                              ;   in Loop: Header=BB26_2 Depth=1
	s_or_b32 exec_lo, exec_lo, s9
	v_add_nc_u32_e32 v70, 1, v69
	v_add_nc_u32_e32 v71, 1, v68
	s_wait_dscnt 0x0
	v_cmp_lt_i32_e64 s10, v67, v66
	s_delay_alu instid0(VALU_DEP_3) | instskip(NEXT) | instid1(VALU_DEP_3)
	v_cndmask_b32_e64 v70, v70, v69, s8
	v_cndmask_b32_e64 v69, v68, v71, s8
                                        ; implicit-def: $vgpr68
	s_delay_alu instid0(VALU_DEP_2) | instskip(NEXT) | instid1(VALU_DEP_2)
	v_cmp_ge_i32_e64 s9, v70, v6
	v_cmp_lt_i32_e64 s11, v69, v7
	s_or_b32 s9, s9, s10
	s_wait_alu 0xfffe
	s_and_b32 s9, s11, s9
	s_wait_alu 0xfffe
	s_xor_b32 s10, s9, -1
	s_delay_alu instid0(SALU_CYCLE_1) | instskip(NEXT) | instid1(SALU_CYCLE_1)
	s_and_saveexec_b32 s11, s10
	s_xor_b32 s10, exec_lo, s11
; %bb.31:                               ;   in Loop: Header=BB26_2 Depth=1
	v_lshlrev_b32_e32 v68, 2, v70
	ds_load_b32 v68, v68 offset:4
; %bb.32:                               ;   in Loop: Header=BB26_2 Depth=1
	s_or_saveexec_b32 s10, s10
	v_mov_b32_e32 v71, v67
	s_xor_b32 exec_lo, exec_lo, s10
	s_cbranch_execz .LBB26_34
; %bb.33:                               ;   in Loop: Header=BB26_2 Depth=1
	s_wait_dscnt 0x0
	v_lshlrev_b32_e32 v68, 2, v69
	ds_load_b32 v71, v68 offset:4
	v_mov_b32_e32 v68, v66
.LBB26_34:                              ;   in Loop: Header=BB26_2 Depth=1
	s_or_b32 exec_lo, exec_lo, s10
	v_add_nc_u32_e32 v72, 1, v70
	v_add_nc_u32_e32 v73, 1, v69
	v_cndmask_b32_e64 v65, v64, v65, s8
	v_mov_b32_e32 v64, v22
	v_cndmask_b32_e64 v66, v66, v67, s9
	v_cndmask_b32_e64 v70, v72, v70, s9
	v_cndmask_b32_e64 v69, v69, v73, s9
	s_wait_dscnt 0x0
	v_cmp_lt_i32_e64 s9, v71, v68
	v_cndmask_b32_e64 v62, v62, v63, s7
	s_wait_loadcnt 0x0
	v_cmp_ge_i32_e64 s10, v70, v6
	v_cmp_lt_i32_e64 s8, v69, v7
	s_barrier_signal -1
	s_barrier_wait -1
	global_inv scope:SCOPE_SE
	s_or_b32 s7, s10, s9
	s_wait_alu 0xfffe
	s_and_b32 s7, s8, s7
	s_wait_alu 0xfffe
	v_cndmask_b32_e64 v63, v68, v71, s7
	ds_store_2addr_b32 v5, v62, v65 offset1:1
	ds_store_2addr_b32 v5, v66, v63 offset0:2 offset1:3
	s_wait_loadcnt_dscnt 0x0
	s_barrier_signal -1
	s_barrier_wait -1
	global_inv scope:SCOPE_SE
	s_and_saveexec_b32 s8, s1
	s_cbranch_execz .LBB26_38
; %bb.35:                               ;   in Loop: Header=BB26_2 Depth=1
	v_mov_b32_e32 v64, v22
	v_mov_b32_e32 v62, v23
	s_mov_b32 s9, 0
.LBB26_36:                              ;   Parent Loop BB26_2 Depth=1
                                        ; =>  This Inner Loop Header: Depth=2
	s_delay_alu instid0(VALU_DEP_1) | instskip(NEXT) | instid1(VALU_DEP_1)
	v_sub_nc_u32_e32 v63, v62, v64
	v_lshrrev_b32_e32 v63, 1, v63
	s_delay_alu instid0(VALU_DEP_1) | instskip(NEXT) | instid1(VALU_DEP_1)
	v_add_nc_u32_e32 v63, v63, v64
	v_not_b32_e32 v65, v63
	v_lshl_add_u32 v66, v63, 2, v24
	v_add_nc_u32_e32 v67, 1, v63
	s_delay_alu instid0(VALU_DEP_3)
	v_lshl_add_u32 v65, v65, 2, v56
	ds_load_b32 v66, v66
	ds_load_b32 v65, v65
	s_wait_dscnt 0x0
	v_cmp_lt_i32_e64 s7, v65, v66
	s_wait_alu 0xf1ff
	s_delay_alu instid0(VALU_DEP_1) | instskip(SKIP_1) | instid1(VALU_DEP_1)
	v_cndmask_b32_e64 v62, v62, v63, s7
	v_cndmask_b32_e64 v64, v67, v64, s7
	v_cmp_ge_i32_e64 s7, v64, v62
	s_wait_alu 0xfffe
	s_or_b32 s9, s7, s9
	s_wait_alu 0xfffe
	s_and_not1_b32 exec_lo, exec_lo, s9
	s_cbranch_execnz .LBB26_36
; %bb.37:                               ;   in Loop: Header=BB26_2 Depth=1
	s_or_b32 exec_lo, exec_lo, s9
.LBB26_38:                              ;   in Loop: Header=BB26_2 Depth=1
	s_wait_alu 0xfffe
	s_or_b32 exec_lo, exec_lo, s8
	v_sub_nc_u32_e32 v66, v26, v64
	v_lshl_add_u32 v65, v64, 2, v24
	v_add_nc_u32_e32 v67, v64, v11
                                        ; implicit-def: $vgpr64
	s_delay_alu instid0(VALU_DEP_3) | instskip(SKIP_1) | instid1(VALU_DEP_3)
	v_lshlrev_b32_e32 v68, 2, v66
	v_cmp_gt_i32_e64 s9, v14, v66
	v_cmp_le_i32_e64 s7, v13, v67
	ds_load_b32 v62, v65
	ds_load_b32 v63, v68
	s_wait_dscnt 0x0
	v_cmp_lt_i32_e64 s8, v63, v62
	s_or_b32 s7, s7, s8
	s_wait_alu 0xfffe
	s_and_b32 s7, s9, s7
	s_wait_alu 0xfffe
	s_xor_b32 s8, s7, -1
	s_wait_alu 0xfffe
	s_and_saveexec_b32 s9, s8
	s_wait_alu 0xfffe
	s_xor_b32 s8, exec_lo, s9
; %bb.39:                               ;   in Loop: Header=BB26_2 Depth=1
	ds_load_b32 v64, v65 offset:4
                                        ; implicit-def: $vgpr68
; %bb.40:                               ;   in Loop: Header=BB26_2 Depth=1
	s_wait_alu 0xfffe
	s_or_saveexec_b32 s8, s8
	v_mov_b32_e32 v65, v63
	s_wait_alu 0xfffe
	s_xor_b32 exec_lo, exec_lo, s8
	s_cbranch_execz .LBB26_42
; %bb.41:                               ;   in Loop: Header=BB26_2 Depth=1
	ds_load_b32 v65, v68 offset:4
	s_wait_dscnt 0x1
	v_mov_b32_e32 v64, v62
.LBB26_42:                              ;   in Loop: Header=BB26_2 Depth=1
	s_or_b32 exec_lo, exec_lo, s8
	v_add_nc_u32_e32 v68, 1, v67
	v_add_nc_u32_e32 v70, 1, v66
	s_wait_dscnt 0x0
	v_cmp_lt_i32_e64 s9, v65, v64
	s_delay_alu instid0(VALU_DEP_3) | instskip(NEXT) | instid1(VALU_DEP_3)
	v_cndmask_b32_e64 v69, v68, v67, s7
	v_cndmask_b32_e64 v68, v66, v70, s7
                                        ; implicit-def: $vgpr66
	s_delay_alu instid0(VALU_DEP_2) | instskip(NEXT) | instid1(VALU_DEP_2)
	v_cmp_ge_i32_e64 s8, v69, v13
	v_cmp_lt_i32_e64 s10, v68, v14
	s_or_b32 s8, s8, s9
	s_wait_alu 0xfffe
	s_and_b32 s8, s10, s8
	s_wait_alu 0xfffe
	s_xor_b32 s9, s8, -1
	s_wait_alu 0xfffe
	s_and_saveexec_b32 s10, s9
	s_delay_alu instid0(SALU_CYCLE_1)
	s_xor_b32 s9, exec_lo, s10
; %bb.43:                               ;   in Loop: Header=BB26_2 Depth=1
	v_lshlrev_b32_e32 v66, 2, v69
	ds_load_b32 v66, v66 offset:4
; %bb.44:                               ;   in Loop: Header=BB26_2 Depth=1
	s_wait_alu 0xfffe
	s_or_saveexec_b32 s9, s9
	v_mov_b32_e32 v67, v65
	s_wait_alu 0xfffe
	s_xor_b32 exec_lo, exec_lo, s9
	s_cbranch_execz .LBB26_46
; %bb.45:                               ;   in Loop: Header=BB26_2 Depth=1
	s_wait_dscnt 0x0
	v_lshlrev_b32_e32 v66, 2, v68
	ds_load_b32 v67, v66 offset:4
	v_mov_b32_e32 v66, v64
.LBB26_46:                              ;   in Loop: Header=BB26_2 Depth=1
	s_or_b32 exec_lo, exec_lo, s9
	v_add_nc_u32_e32 v70, 1, v69
	v_add_nc_u32_e32 v71, 1, v68
	s_wait_dscnt 0x0
	v_cmp_lt_i32_e64 s10, v67, v66
	s_delay_alu instid0(VALU_DEP_3) | instskip(NEXT) | instid1(VALU_DEP_3)
	v_cndmask_b32_e64 v70, v70, v69, s8
	v_cndmask_b32_e64 v69, v68, v71, s8
                                        ; implicit-def: $vgpr68
	s_delay_alu instid0(VALU_DEP_2) | instskip(NEXT) | instid1(VALU_DEP_2)
	v_cmp_ge_i32_e64 s9, v70, v13
	v_cmp_lt_i32_e64 s11, v69, v14
	s_or_b32 s9, s9, s10
	s_wait_alu 0xfffe
	s_and_b32 s9, s11, s9
	s_wait_alu 0xfffe
	s_xor_b32 s10, s9, -1
	s_delay_alu instid0(SALU_CYCLE_1) | instskip(NEXT) | instid1(SALU_CYCLE_1)
	s_and_saveexec_b32 s11, s10
	s_xor_b32 s10, exec_lo, s11
; %bb.47:                               ;   in Loop: Header=BB26_2 Depth=1
	v_lshlrev_b32_e32 v68, 2, v70
	ds_load_b32 v68, v68 offset:4
; %bb.48:                               ;   in Loop: Header=BB26_2 Depth=1
	s_or_saveexec_b32 s10, s10
	v_mov_b32_e32 v71, v67
	s_xor_b32 exec_lo, exec_lo, s10
	s_cbranch_execz .LBB26_50
; %bb.49:                               ;   in Loop: Header=BB26_2 Depth=1
	s_wait_dscnt 0x0
	v_lshlrev_b32_e32 v68, 2, v69
	ds_load_b32 v71, v68 offset:4
	v_mov_b32_e32 v68, v66
.LBB26_50:                              ;   in Loop: Header=BB26_2 Depth=1
	s_or_b32 exec_lo, exec_lo, s10
	v_add_nc_u32_e32 v72, 1, v70
	v_add_nc_u32_e32 v73, 1, v69
	v_cndmask_b32_e64 v65, v64, v65, s8
	v_mov_b32_e32 v64, v29
	v_cndmask_b32_e64 v66, v66, v67, s9
	v_cndmask_b32_e64 v70, v72, v70, s9
	;; [unrolled: 1-line block ×3, first 2 shown]
	s_wait_dscnt 0x0
	v_cmp_lt_i32_e64 s9, v71, v68
	v_cndmask_b32_e64 v62, v62, v63, s7
	s_wait_loadcnt 0x0
	v_cmp_ge_i32_e64 s10, v70, v13
	v_cmp_lt_i32_e64 s8, v69, v14
	s_barrier_signal -1
	s_barrier_wait -1
	global_inv scope:SCOPE_SE
	s_or_b32 s7, s10, s9
	s_wait_alu 0xfffe
	s_and_b32 s7, s8, s7
	s_wait_alu 0xfffe
	v_cndmask_b32_e64 v63, v68, v71, s7
	ds_store_2addr_b32 v5, v62, v65 offset1:1
	ds_store_2addr_b32 v5, v66, v63 offset0:2 offset1:3
	s_wait_loadcnt_dscnt 0x0
	s_barrier_signal -1
	s_barrier_wait -1
	global_inv scope:SCOPE_SE
	s_and_saveexec_b32 s8, s2
	s_cbranch_execz .LBB26_54
; %bb.51:                               ;   in Loop: Header=BB26_2 Depth=1
	v_mov_b32_e32 v64, v29
	v_mov_b32_e32 v62, v30
	s_mov_b32 s9, 0
.LBB26_52:                              ;   Parent Loop BB26_2 Depth=1
                                        ; =>  This Inner Loop Header: Depth=2
	s_delay_alu instid0(VALU_DEP_1) | instskip(NEXT) | instid1(VALU_DEP_1)
	v_sub_nc_u32_e32 v63, v62, v64
	v_lshrrev_b32_e32 v63, 1, v63
	s_delay_alu instid0(VALU_DEP_1) | instskip(NEXT) | instid1(VALU_DEP_1)
	v_add_nc_u32_e32 v63, v63, v64
	v_not_b32_e32 v65, v63
	v_lshl_add_u32 v66, v63, 2, v31
	v_add_nc_u32_e32 v67, 1, v63
	s_delay_alu instid0(VALU_DEP_3)
	v_lshl_add_u32 v65, v65, 2, v57
	ds_load_b32 v66, v66
	ds_load_b32 v65, v65
	s_wait_dscnt 0x0
	v_cmp_lt_i32_e64 s7, v65, v66
	s_wait_alu 0xf1ff
	s_delay_alu instid0(VALU_DEP_1) | instskip(SKIP_1) | instid1(VALU_DEP_1)
	v_cndmask_b32_e64 v62, v62, v63, s7
	v_cndmask_b32_e64 v64, v67, v64, s7
	v_cmp_ge_i32_e64 s7, v64, v62
	s_wait_alu 0xfffe
	s_or_b32 s9, s7, s9
	s_wait_alu 0xfffe
	s_and_not1_b32 exec_lo, exec_lo, s9
	s_cbranch_execnz .LBB26_52
; %bb.53:                               ;   in Loop: Header=BB26_2 Depth=1
	s_or_b32 exec_lo, exec_lo, s9
.LBB26_54:                              ;   in Loop: Header=BB26_2 Depth=1
	s_wait_alu 0xfffe
	s_or_b32 exec_lo, exec_lo, s8
	v_sub_nc_u32_e32 v66, v33, v64
	v_lshl_add_u32 v65, v64, 2, v31
	v_add_nc_u32_e32 v67, v64, v18
                                        ; implicit-def: $vgpr64
	s_delay_alu instid0(VALU_DEP_3) | instskip(SKIP_1) | instid1(VALU_DEP_3)
	v_lshlrev_b32_e32 v68, 2, v66
	v_cmp_gt_i32_e64 s9, v21, v66
	v_cmp_le_i32_e64 s7, v20, v67
	ds_load_b32 v62, v65
	ds_load_b32 v63, v68
	s_wait_dscnt 0x0
	v_cmp_lt_i32_e64 s8, v63, v62
	s_or_b32 s7, s7, s8
	s_wait_alu 0xfffe
	s_and_b32 s7, s9, s7
	s_wait_alu 0xfffe
	s_xor_b32 s8, s7, -1
	s_wait_alu 0xfffe
	s_and_saveexec_b32 s9, s8
	s_wait_alu 0xfffe
	s_xor_b32 s8, exec_lo, s9
; %bb.55:                               ;   in Loop: Header=BB26_2 Depth=1
	ds_load_b32 v64, v65 offset:4
                                        ; implicit-def: $vgpr68
; %bb.56:                               ;   in Loop: Header=BB26_2 Depth=1
	s_wait_alu 0xfffe
	s_or_saveexec_b32 s8, s8
	v_mov_b32_e32 v65, v63
	s_wait_alu 0xfffe
	s_xor_b32 exec_lo, exec_lo, s8
	s_cbranch_execz .LBB26_58
; %bb.57:                               ;   in Loop: Header=BB26_2 Depth=1
	ds_load_b32 v65, v68 offset:4
	s_wait_dscnt 0x1
	v_mov_b32_e32 v64, v62
.LBB26_58:                              ;   in Loop: Header=BB26_2 Depth=1
	s_or_b32 exec_lo, exec_lo, s8
	v_add_nc_u32_e32 v68, 1, v67
	v_add_nc_u32_e32 v70, 1, v66
	s_wait_dscnt 0x0
	v_cmp_lt_i32_e64 s9, v65, v64
	s_delay_alu instid0(VALU_DEP_3) | instskip(NEXT) | instid1(VALU_DEP_3)
	v_cndmask_b32_e64 v69, v68, v67, s7
	v_cndmask_b32_e64 v68, v66, v70, s7
                                        ; implicit-def: $vgpr66
	s_delay_alu instid0(VALU_DEP_2) | instskip(NEXT) | instid1(VALU_DEP_2)
	v_cmp_ge_i32_e64 s8, v69, v20
	v_cmp_lt_i32_e64 s10, v68, v21
	s_or_b32 s8, s8, s9
	s_wait_alu 0xfffe
	s_and_b32 s8, s10, s8
	s_wait_alu 0xfffe
	s_xor_b32 s9, s8, -1
	s_wait_alu 0xfffe
	s_and_saveexec_b32 s10, s9
	s_delay_alu instid0(SALU_CYCLE_1)
	s_xor_b32 s9, exec_lo, s10
; %bb.59:                               ;   in Loop: Header=BB26_2 Depth=1
	v_lshlrev_b32_e32 v66, 2, v69
	ds_load_b32 v66, v66 offset:4
; %bb.60:                               ;   in Loop: Header=BB26_2 Depth=1
	s_wait_alu 0xfffe
	s_or_saveexec_b32 s9, s9
	v_mov_b32_e32 v67, v65
	s_wait_alu 0xfffe
	s_xor_b32 exec_lo, exec_lo, s9
	s_cbranch_execz .LBB26_62
; %bb.61:                               ;   in Loop: Header=BB26_2 Depth=1
	s_wait_dscnt 0x0
	v_lshlrev_b32_e32 v66, 2, v68
	ds_load_b32 v67, v66 offset:4
	v_mov_b32_e32 v66, v64
.LBB26_62:                              ;   in Loop: Header=BB26_2 Depth=1
	s_or_b32 exec_lo, exec_lo, s9
	v_add_nc_u32_e32 v70, 1, v69
	v_add_nc_u32_e32 v71, 1, v68
	s_wait_dscnt 0x0
	v_cmp_lt_i32_e64 s10, v67, v66
	s_delay_alu instid0(VALU_DEP_3) | instskip(NEXT) | instid1(VALU_DEP_3)
	v_cndmask_b32_e64 v70, v70, v69, s8
	v_cndmask_b32_e64 v69, v68, v71, s8
                                        ; implicit-def: $vgpr68
	s_delay_alu instid0(VALU_DEP_2) | instskip(NEXT) | instid1(VALU_DEP_2)
	v_cmp_ge_i32_e64 s9, v70, v20
	v_cmp_lt_i32_e64 s11, v69, v21
	s_or_b32 s9, s9, s10
	s_wait_alu 0xfffe
	s_and_b32 s9, s11, s9
	s_wait_alu 0xfffe
	s_xor_b32 s10, s9, -1
	s_delay_alu instid0(SALU_CYCLE_1) | instskip(NEXT) | instid1(SALU_CYCLE_1)
	s_and_saveexec_b32 s11, s10
	s_xor_b32 s10, exec_lo, s11
; %bb.63:                               ;   in Loop: Header=BB26_2 Depth=1
	v_lshlrev_b32_e32 v68, 2, v70
	ds_load_b32 v68, v68 offset:4
; %bb.64:                               ;   in Loop: Header=BB26_2 Depth=1
	s_or_saveexec_b32 s10, s10
	v_mov_b32_e32 v71, v67
	s_xor_b32 exec_lo, exec_lo, s10
	s_cbranch_execz .LBB26_66
; %bb.65:                               ;   in Loop: Header=BB26_2 Depth=1
	s_wait_dscnt 0x0
	v_lshlrev_b32_e32 v68, 2, v69
	ds_load_b32 v71, v68 offset:4
	v_mov_b32_e32 v68, v66
.LBB26_66:                              ;   in Loop: Header=BB26_2 Depth=1
	s_or_b32 exec_lo, exec_lo, s10
	v_add_nc_u32_e32 v72, 1, v70
	v_add_nc_u32_e32 v73, 1, v69
	v_cndmask_b32_e64 v65, v64, v65, s8
	v_mov_b32_e32 v64, v36
	v_cndmask_b32_e64 v66, v66, v67, s9
	v_cndmask_b32_e64 v70, v72, v70, s9
	;; [unrolled: 1-line block ×3, first 2 shown]
	s_wait_dscnt 0x0
	v_cmp_lt_i32_e64 s9, v71, v68
	v_cndmask_b32_e64 v62, v62, v63, s7
	s_wait_loadcnt 0x0
	v_cmp_ge_i32_e64 s10, v70, v20
	v_cmp_lt_i32_e64 s8, v69, v21
	s_barrier_signal -1
	s_barrier_wait -1
	global_inv scope:SCOPE_SE
	s_or_b32 s7, s10, s9
	s_wait_alu 0xfffe
	s_and_b32 s7, s8, s7
	s_wait_alu 0xfffe
	v_cndmask_b32_e64 v63, v68, v71, s7
	ds_store_2addr_b32 v5, v62, v65 offset1:1
	ds_store_2addr_b32 v5, v66, v63 offset0:2 offset1:3
	s_wait_loadcnt_dscnt 0x0
	s_barrier_signal -1
	s_barrier_wait -1
	global_inv scope:SCOPE_SE
	s_and_saveexec_b32 s8, s3
	s_cbranch_execz .LBB26_70
; %bb.67:                               ;   in Loop: Header=BB26_2 Depth=1
	v_mov_b32_e32 v64, v36
	v_mov_b32_e32 v62, v38
	s_mov_b32 s9, 0
.LBB26_68:                              ;   Parent Loop BB26_2 Depth=1
                                        ; =>  This Inner Loop Header: Depth=2
	s_delay_alu instid0(VALU_DEP_1) | instskip(NEXT) | instid1(VALU_DEP_1)
	v_sub_nc_u32_e32 v63, v62, v64
	v_lshrrev_b32_e32 v63, 1, v63
	s_delay_alu instid0(VALU_DEP_1) | instskip(NEXT) | instid1(VALU_DEP_1)
	v_add_nc_u32_e32 v63, v63, v64
	v_not_b32_e32 v65, v63
	v_lshl_add_u32 v66, v63, 2, v39
	v_add_nc_u32_e32 v67, 1, v63
	s_delay_alu instid0(VALU_DEP_3)
	v_lshl_add_u32 v65, v65, 2, v58
	ds_load_b32 v66, v66
	ds_load_b32 v65, v65
	s_wait_dscnt 0x0
	v_cmp_lt_i32_e64 s7, v65, v66
	s_wait_alu 0xf1ff
	s_delay_alu instid0(VALU_DEP_1) | instskip(SKIP_1) | instid1(VALU_DEP_1)
	v_cndmask_b32_e64 v62, v62, v63, s7
	v_cndmask_b32_e64 v64, v67, v64, s7
	v_cmp_ge_i32_e64 s7, v64, v62
	s_wait_alu 0xfffe
	s_or_b32 s9, s7, s9
	s_wait_alu 0xfffe
	s_and_not1_b32 exec_lo, exec_lo, s9
	s_cbranch_execnz .LBB26_68
; %bb.69:                               ;   in Loop: Header=BB26_2 Depth=1
	s_or_b32 exec_lo, exec_lo, s9
.LBB26_70:                              ;   in Loop: Header=BB26_2 Depth=1
	s_wait_alu 0xfffe
	s_or_b32 exec_lo, exec_lo, s8
	v_sub_nc_u32_e32 v66, v44, v64
	v_lshl_add_u32 v65, v64, 2, v39
	v_add_nc_u32_e32 v67, v64, v25
                                        ; implicit-def: $vgpr64
	s_delay_alu instid0(VALU_DEP_3) | instskip(SKIP_1) | instid1(VALU_DEP_3)
	v_lshlrev_b32_e32 v68, 2, v66
	v_cmp_gt_i32_e64 s9, v28, v66
	v_cmp_le_i32_e64 s7, v27, v67
	ds_load_b32 v62, v65
	ds_load_b32 v63, v68
	s_wait_dscnt 0x0
	v_cmp_lt_i32_e64 s8, v63, v62
	s_or_b32 s7, s7, s8
	s_wait_alu 0xfffe
	s_and_b32 s7, s9, s7
	s_wait_alu 0xfffe
	s_xor_b32 s8, s7, -1
	s_wait_alu 0xfffe
	s_and_saveexec_b32 s9, s8
	s_wait_alu 0xfffe
	s_xor_b32 s8, exec_lo, s9
; %bb.71:                               ;   in Loop: Header=BB26_2 Depth=1
	ds_load_b32 v64, v65 offset:4
                                        ; implicit-def: $vgpr68
; %bb.72:                               ;   in Loop: Header=BB26_2 Depth=1
	s_wait_alu 0xfffe
	s_or_saveexec_b32 s8, s8
	v_mov_b32_e32 v65, v63
	s_wait_alu 0xfffe
	s_xor_b32 exec_lo, exec_lo, s8
	s_cbranch_execz .LBB26_74
; %bb.73:                               ;   in Loop: Header=BB26_2 Depth=1
	ds_load_b32 v65, v68 offset:4
	s_wait_dscnt 0x1
	v_mov_b32_e32 v64, v62
.LBB26_74:                              ;   in Loop: Header=BB26_2 Depth=1
	s_or_b32 exec_lo, exec_lo, s8
	v_add_nc_u32_e32 v68, 1, v67
	v_add_nc_u32_e32 v70, 1, v66
	s_wait_dscnt 0x0
	v_cmp_lt_i32_e64 s9, v65, v64
	s_delay_alu instid0(VALU_DEP_3) | instskip(NEXT) | instid1(VALU_DEP_3)
	v_cndmask_b32_e64 v69, v68, v67, s7
	v_cndmask_b32_e64 v68, v66, v70, s7
                                        ; implicit-def: $vgpr66
	s_delay_alu instid0(VALU_DEP_2) | instskip(NEXT) | instid1(VALU_DEP_2)
	v_cmp_ge_i32_e64 s8, v69, v27
	v_cmp_lt_i32_e64 s10, v68, v28
	s_or_b32 s8, s8, s9
	s_wait_alu 0xfffe
	s_and_b32 s8, s10, s8
	s_wait_alu 0xfffe
	s_xor_b32 s9, s8, -1
	s_wait_alu 0xfffe
	s_and_saveexec_b32 s10, s9
	s_delay_alu instid0(SALU_CYCLE_1)
	s_xor_b32 s9, exec_lo, s10
; %bb.75:                               ;   in Loop: Header=BB26_2 Depth=1
	v_lshlrev_b32_e32 v66, 2, v69
	ds_load_b32 v66, v66 offset:4
; %bb.76:                               ;   in Loop: Header=BB26_2 Depth=1
	s_wait_alu 0xfffe
	s_or_saveexec_b32 s9, s9
	v_mov_b32_e32 v67, v65
	s_wait_alu 0xfffe
	s_xor_b32 exec_lo, exec_lo, s9
	s_cbranch_execz .LBB26_78
; %bb.77:                               ;   in Loop: Header=BB26_2 Depth=1
	s_wait_dscnt 0x0
	v_lshlrev_b32_e32 v66, 2, v68
	ds_load_b32 v67, v66 offset:4
	v_mov_b32_e32 v66, v64
.LBB26_78:                              ;   in Loop: Header=BB26_2 Depth=1
	s_or_b32 exec_lo, exec_lo, s9
	v_add_nc_u32_e32 v70, 1, v69
	v_add_nc_u32_e32 v71, 1, v68
	s_wait_dscnt 0x0
	v_cmp_lt_i32_e64 s10, v67, v66
	s_delay_alu instid0(VALU_DEP_3) | instskip(NEXT) | instid1(VALU_DEP_3)
	v_cndmask_b32_e64 v70, v70, v69, s8
	v_cndmask_b32_e64 v69, v68, v71, s8
                                        ; implicit-def: $vgpr68
	s_delay_alu instid0(VALU_DEP_2) | instskip(NEXT) | instid1(VALU_DEP_2)
	v_cmp_ge_i32_e64 s9, v70, v27
	v_cmp_lt_i32_e64 s11, v69, v28
	s_or_b32 s9, s9, s10
	s_wait_alu 0xfffe
	s_and_b32 s9, s11, s9
	s_wait_alu 0xfffe
	s_xor_b32 s10, s9, -1
	s_delay_alu instid0(SALU_CYCLE_1) | instskip(NEXT) | instid1(SALU_CYCLE_1)
	s_and_saveexec_b32 s11, s10
	s_xor_b32 s10, exec_lo, s11
; %bb.79:                               ;   in Loop: Header=BB26_2 Depth=1
	v_lshlrev_b32_e32 v68, 2, v70
	ds_load_b32 v68, v68 offset:4
; %bb.80:                               ;   in Loop: Header=BB26_2 Depth=1
	s_or_saveexec_b32 s10, s10
	v_mov_b32_e32 v71, v67
	s_xor_b32 exec_lo, exec_lo, s10
	s_cbranch_execz .LBB26_82
; %bb.81:                               ;   in Loop: Header=BB26_2 Depth=1
	s_wait_dscnt 0x0
	v_lshlrev_b32_e32 v68, 2, v69
	ds_load_b32 v71, v68 offset:4
	v_mov_b32_e32 v68, v66
.LBB26_82:                              ;   in Loop: Header=BB26_2 Depth=1
	s_or_b32 exec_lo, exec_lo, s10
	v_add_nc_u32_e32 v72, 1, v70
	v_add_nc_u32_e32 v73, 1, v69
	v_cndmask_b32_e64 v65, v64, v65, s8
	v_mov_b32_e32 v64, v42
	v_cndmask_b32_e64 v66, v66, v67, s9
	v_cndmask_b32_e64 v70, v72, v70, s9
	;; [unrolled: 1-line block ×3, first 2 shown]
	s_wait_dscnt 0x0
	v_cmp_lt_i32_e64 s9, v71, v68
	v_cndmask_b32_e64 v62, v62, v63, s7
	s_wait_loadcnt 0x0
	v_cmp_ge_i32_e64 s10, v70, v27
	v_cmp_lt_i32_e64 s8, v69, v28
	s_barrier_signal -1
	s_barrier_wait -1
	global_inv scope:SCOPE_SE
	s_or_b32 s7, s10, s9
	s_wait_alu 0xfffe
	s_and_b32 s7, s8, s7
	s_wait_alu 0xfffe
	v_cndmask_b32_e64 v63, v68, v71, s7
	ds_store_2addr_b32 v5, v62, v65 offset1:1
	ds_store_2addr_b32 v5, v66, v63 offset0:2 offset1:3
	s_wait_loadcnt_dscnt 0x0
	s_barrier_signal -1
	s_barrier_wait -1
	global_inv scope:SCOPE_SE
	s_and_saveexec_b32 s8, s4
	s_cbranch_execz .LBB26_86
; %bb.83:                               ;   in Loop: Header=BB26_2 Depth=1
	v_mov_b32_e32 v64, v42
	v_mov_b32_e32 v62, v43
	s_mov_b32 s9, 0
.LBB26_84:                              ;   Parent Loop BB26_2 Depth=1
                                        ; =>  This Inner Loop Header: Depth=2
	s_delay_alu instid0(VALU_DEP_1) | instskip(NEXT) | instid1(VALU_DEP_1)
	v_sub_nc_u32_e32 v63, v62, v64
	v_lshrrev_b32_e32 v63, 1, v63
	s_delay_alu instid0(VALU_DEP_1) | instskip(NEXT) | instid1(VALU_DEP_1)
	v_add_nc_u32_e32 v63, v63, v64
	v_not_b32_e32 v65, v63
	v_lshl_add_u32 v66, v63, 2, v45
	v_add_nc_u32_e32 v67, 1, v63
	s_delay_alu instid0(VALU_DEP_3)
	v_lshl_add_u32 v65, v65, 2, v59
	ds_load_b32 v66, v66
	ds_load_b32 v65, v65
	s_wait_dscnt 0x0
	v_cmp_lt_i32_e64 s7, v65, v66
	s_wait_alu 0xf1ff
	s_delay_alu instid0(VALU_DEP_1) | instskip(SKIP_1) | instid1(VALU_DEP_1)
	v_cndmask_b32_e64 v62, v62, v63, s7
	v_cndmask_b32_e64 v64, v67, v64, s7
	v_cmp_ge_i32_e64 s7, v64, v62
	s_wait_alu 0xfffe
	s_or_b32 s9, s7, s9
	s_wait_alu 0xfffe
	s_and_not1_b32 exec_lo, exec_lo, s9
	s_cbranch_execnz .LBB26_84
; %bb.85:                               ;   in Loop: Header=BB26_2 Depth=1
	s_or_b32 exec_lo, exec_lo, s9
.LBB26_86:                              ;   in Loop: Header=BB26_2 Depth=1
	s_wait_alu 0xfffe
	s_or_b32 exec_lo, exec_lo, s8
	v_sub_nc_u32_e32 v66, v48, v64
	v_lshl_add_u32 v65, v64, 2, v45
	v_add_nc_u32_e32 v67, v64, v32
                                        ; implicit-def: $vgpr64
	s_delay_alu instid0(VALU_DEP_3) | instskip(SKIP_1) | instid1(VALU_DEP_3)
	v_lshlrev_b32_e32 v68, 2, v66
	v_cmp_gt_i32_e64 s9, v35, v66
	v_cmp_le_i32_e64 s7, v34, v67
	ds_load_b32 v62, v65
	ds_load_b32 v63, v68
	s_wait_dscnt 0x0
	v_cmp_lt_i32_e64 s8, v63, v62
	s_or_b32 s7, s7, s8
	s_wait_alu 0xfffe
	s_and_b32 s7, s9, s7
	s_wait_alu 0xfffe
	s_xor_b32 s8, s7, -1
	s_wait_alu 0xfffe
	s_and_saveexec_b32 s9, s8
	s_wait_alu 0xfffe
	s_xor_b32 s8, exec_lo, s9
; %bb.87:                               ;   in Loop: Header=BB26_2 Depth=1
	ds_load_b32 v64, v65 offset:4
                                        ; implicit-def: $vgpr68
; %bb.88:                               ;   in Loop: Header=BB26_2 Depth=1
	s_wait_alu 0xfffe
	s_or_saveexec_b32 s8, s8
	v_mov_b32_e32 v65, v63
	s_wait_alu 0xfffe
	s_xor_b32 exec_lo, exec_lo, s8
	s_cbranch_execz .LBB26_90
; %bb.89:                               ;   in Loop: Header=BB26_2 Depth=1
	ds_load_b32 v65, v68 offset:4
	s_wait_dscnt 0x1
	v_mov_b32_e32 v64, v62
.LBB26_90:                              ;   in Loop: Header=BB26_2 Depth=1
	s_or_b32 exec_lo, exec_lo, s8
	v_add_nc_u32_e32 v68, 1, v67
	v_add_nc_u32_e32 v70, 1, v66
	s_wait_dscnt 0x0
	v_cmp_lt_i32_e64 s9, v65, v64
	s_delay_alu instid0(VALU_DEP_3) | instskip(NEXT) | instid1(VALU_DEP_3)
	v_cndmask_b32_e64 v69, v68, v67, s7
	v_cndmask_b32_e64 v68, v66, v70, s7
                                        ; implicit-def: $vgpr66
	s_delay_alu instid0(VALU_DEP_2) | instskip(NEXT) | instid1(VALU_DEP_2)
	v_cmp_ge_i32_e64 s8, v69, v34
	v_cmp_lt_i32_e64 s10, v68, v35
	s_or_b32 s8, s8, s9
	s_wait_alu 0xfffe
	s_and_b32 s8, s10, s8
	s_wait_alu 0xfffe
	s_xor_b32 s9, s8, -1
	s_wait_alu 0xfffe
	s_and_saveexec_b32 s10, s9
	s_delay_alu instid0(SALU_CYCLE_1)
	s_xor_b32 s9, exec_lo, s10
; %bb.91:                               ;   in Loop: Header=BB26_2 Depth=1
	v_lshlrev_b32_e32 v66, 2, v69
	ds_load_b32 v66, v66 offset:4
; %bb.92:                               ;   in Loop: Header=BB26_2 Depth=1
	s_wait_alu 0xfffe
	s_or_saveexec_b32 s9, s9
	v_mov_b32_e32 v67, v65
	s_wait_alu 0xfffe
	s_xor_b32 exec_lo, exec_lo, s9
	s_cbranch_execz .LBB26_94
; %bb.93:                               ;   in Loop: Header=BB26_2 Depth=1
	s_wait_dscnt 0x0
	v_lshlrev_b32_e32 v66, 2, v68
	ds_load_b32 v67, v66 offset:4
	v_mov_b32_e32 v66, v64
.LBB26_94:                              ;   in Loop: Header=BB26_2 Depth=1
	s_or_b32 exec_lo, exec_lo, s9
	v_add_nc_u32_e32 v70, 1, v69
	v_add_nc_u32_e32 v71, 1, v68
	s_wait_dscnt 0x0
	v_cmp_lt_i32_e64 s10, v67, v66
	s_delay_alu instid0(VALU_DEP_3) | instskip(NEXT) | instid1(VALU_DEP_3)
	v_cndmask_b32_e64 v70, v70, v69, s8
	v_cndmask_b32_e64 v69, v68, v71, s8
                                        ; implicit-def: $vgpr68
	s_delay_alu instid0(VALU_DEP_2) | instskip(NEXT) | instid1(VALU_DEP_2)
	v_cmp_ge_i32_e64 s9, v70, v34
	v_cmp_lt_i32_e64 s11, v69, v35
	s_or_b32 s9, s9, s10
	s_wait_alu 0xfffe
	s_and_b32 s9, s11, s9
	s_wait_alu 0xfffe
	s_xor_b32 s10, s9, -1
	s_delay_alu instid0(SALU_CYCLE_1) | instskip(NEXT) | instid1(SALU_CYCLE_1)
	s_and_saveexec_b32 s11, s10
	s_xor_b32 s10, exec_lo, s11
; %bb.95:                               ;   in Loop: Header=BB26_2 Depth=1
	v_lshlrev_b32_e32 v68, 2, v70
	ds_load_b32 v68, v68 offset:4
; %bb.96:                               ;   in Loop: Header=BB26_2 Depth=1
	s_or_saveexec_b32 s10, s10
	v_mov_b32_e32 v71, v67
	s_xor_b32 exec_lo, exec_lo, s10
	s_cbranch_execz .LBB26_98
; %bb.97:                               ;   in Loop: Header=BB26_2 Depth=1
	s_wait_dscnt 0x0
	v_lshlrev_b32_e32 v68, 2, v69
	ds_load_b32 v71, v68 offset:4
	v_mov_b32_e32 v68, v66
.LBB26_98:                              ;   in Loop: Header=BB26_2 Depth=1
	s_or_b32 exec_lo, exec_lo, s10
	v_add_nc_u32_e32 v72, 1, v70
	v_add_nc_u32_e32 v73, 1, v69
	v_cndmask_b32_e64 v65, v64, v65, s8
	v_mov_b32_e32 v64, v46
	v_cndmask_b32_e64 v66, v66, v67, s9
	v_cndmask_b32_e64 v70, v72, v70, s9
	;; [unrolled: 1-line block ×3, first 2 shown]
	s_wait_dscnt 0x0
	v_cmp_lt_i32_e64 s9, v71, v68
	v_cndmask_b32_e64 v62, v62, v63, s7
	s_wait_loadcnt 0x0
	v_cmp_ge_i32_e64 s10, v70, v34
	v_cmp_lt_i32_e64 s8, v69, v35
	s_barrier_signal -1
	s_barrier_wait -1
	global_inv scope:SCOPE_SE
	s_or_b32 s7, s10, s9
	s_wait_alu 0xfffe
	s_and_b32 s7, s8, s7
	s_wait_alu 0xfffe
	v_cndmask_b32_e64 v63, v68, v71, s7
	ds_store_2addr_b32 v5, v62, v65 offset1:1
	ds_store_2addr_b32 v5, v66, v63 offset0:2 offset1:3
	s_wait_loadcnt_dscnt 0x0
	s_barrier_signal -1
	s_barrier_wait -1
	global_inv scope:SCOPE_SE
	s_and_saveexec_b32 s8, s5
	s_cbranch_execz .LBB26_102
; %bb.99:                               ;   in Loop: Header=BB26_2 Depth=1
	v_mov_b32_e32 v64, v46
	v_mov_b32_e32 v62, v47
	s_mov_b32 s9, 0
.LBB26_100:                             ;   Parent Loop BB26_2 Depth=1
                                        ; =>  This Inner Loop Header: Depth=2
	s_delay_alu instid0(VALU_DEP_1) | instskip(NEXT) | instid1(VALU_DEP_1)
	v_sub_nc_u32_e32 v63, v62, v64
	v_lshrrev_b32_e32 v63, 1, v63
	s_delay_alu instid0(VALU_DEP_1) | instskip(NEXT) | instid1(VALU_DEP_1)
	v_add_nc_u32_e32 v63, v63, v64
	v_not_b32_e32 v65, v63
	v_lshl_add_u32 v66, v63, 2, v49
	v_add_nc_u32_e32 v67, 1, v63
	s_delay_alu instid0(VALU_DEP_3)
	v_lshl_add_u32 v65, v65, 2, v60
	ds_load_b32 v66, v66
	ds_load_b32 v65, v65
	s_wait_dscnt 0x0
	v_cmp_lt_i32_e64 s7, v65, v66
	s_wait_alu 0xf1ff
	s_delay_alu instid0(VALU_DEP_1) | instskip(SKIP_1) | instid1(VALU_DEP_1)
	v_cndmask_b32_e64 v62, v62, v63, s7
	v_cndmask_b32_e64 v64, v67, v64, s7
	v_cmp_ge_i32_e64 s7, v64, v62
	s_wait_alu 0xfffe
	s_or_b32 s9, s7, s9
	s_wait_alu 0xfffe
	s_and_not1_b32 exec_lo, exec_lo, s9
	s_cbranch_execnz .LBB26_100
; %bb.101:                              ;   in Loop: Header=BB26_2 Depth=1
	s_or_b32 exec_lo, exec_lo, s9
.LBB26_102:                             ;   in Loop: Header=BB26_2 Depth=1
	s_wait_alu 0xfffe
	s_or_b32 exec_lo, exec_lo, s8
	v_sub_nc_u32_e32 v66, v52, v64
	v_lshl_add_u32 v65, v64, 2, v49
	v_add_nc_u32_e32 v67, v64, v37
                                        ; implicit-def: $vgpr64
	s_delay_alu instid0(VALU_DEP_3) | instskip(SKIP_1) | instid1(VALU_DEP_3)
	v_lshlrev_b32_e32 v68, 2, v66
	v_cmp_gt_i32_e64 s9, v41, v66
	v_cmp_le_i32_e64 s7, v40, v67
	ds_load_b32 v62, v65
	ds_load_b32 v63, v68
	s_wait_dscnt 0x0
	v_cmp_lt_i32_e64 s8, v63, v62
	s_or_b32 s7, s7, s8
	s_wait_alu 0xfffe
	s_and_b32 s7, s9, s7
	s_wait_alu 0xfffe
	s_xor_b32 s8, s7, -1
	s_wait_alu 0xfffe
	s_and_saveexec_b32 s9, s8
	s_wait_alu 0xfffe
	s_xor_b32 s8, exec_lo, s9
; %bb.103:                              ;   in Loop: Header=BB26_2 Depth=1
	ds_load_b32 v64, v65 offset:4
                                        ; implicit-def: $vgpr68
; %bb.104:                              ;   in Loop: Header=BB26_2 Depth=1
	s_wait_alu 0xfffe
	s_or_saveexec_b32 s8, s8
	v_mov_b32_e32 v65, v63
	s_wait_alu 0xfffe
	s_xor_b32 exec_lo, exec_lo, s8
	s_cbranch_execz .LBB26_106
; %bb.105:                              ;   in Loop: Header=BB26_2 Depth=1
	ds_load_b32 v65, v68 offset:4
	s_wait_dscnt 0x1
	v_mov_b32_e32 v64, v62
.LBB26_106:                             ;   in Loop: Header=BB26_2 Depth=1
	s_or_b32 exec_lo, exec_lo, s8
	v_add_nc_u32_e32 v68, 1, v67
	v_add_nc_u32_e32 v70, 1, v66
	s_wait_dscnt 0x0
	v_cmp_lt_i32_e64 s9, v65, v64
	s_delay_alu instid0(VALU_DEP_3) | instskip(NEXT) | instid1(VALU_DEP_3)
	v_cndmask_b32_e64 v69, v68, v67, s7
	v_cndmask_b32_e64 v68, v66, v70, s7
                                        ; implicit-def: $vgpr66
	s_delay_alu instid0(VALU_DEP_2) | instskip(NEXT) | instid1(VALU_DEP_2)
	v_cmp_ge_i32_e64 s8, v69, v40
	v_cmp_lt_i32_e64 s10, v68, v41
	s_or_b32 s8, s8, s9
	s_wait_alu 0xfffe
	s_and_b32 s8, s10, s8
	s_wait_alu 0xfffe
	s_xor_b32 s9, s8, -1
	s_wait_alu 0xfffe
	s_and_saveexec_b32 s10, s9
	s_delay_alu instid0(SALU_CYCLE_1)
	s_xor_b32 s9, exec_lo, s10
; %bb.107:                              ;   in Loop: Header=BB26_2 Depth=1
	v_lshlrev_b32_e32 v66, 2, v69
	ds_load_b32 v66, v66 offset:4
; %bb.108:                              ;   in Loop: Header=BB26_2 Depth=1
	s_wait_alu 0xfffe
	s_or_saveexec_b32 s9, s9
	v_mov_b32_e32 v67, v65
	s_wait_alu 0xfffe
	s_xor_b32 exec_lo, exec_lo, s9
	s_cbranch_execz .LBB26_110
; %bb.109:                              ;   in Loop: Header=BB26_2 Depth=1
	s_wait_dscnt 0x0
	v_lshlrev_b32_e32 v66, 2, v68
	ds_load_b32 v67, v66 offset:4
	v_mov_b32_e32 v66, v64
.LBB26_110:                             ;   in Loop: Header=BB26_2 Depth=1
	s_or_b32 exec_lo, exec_lo, s9
	v_add_nc_u32_e32 v70, 1, v69
	v_add_nc_u32_e32 v71, 1, v68
	s_wait_dscnt 0x0
	v_cmp_lt_i32_e64 s10, v67, v66
	s_delay_alu instid0(VALU_DEP_3) | instskip(NEXT) | instid1(VALU_DEP_3)
	v_cndmask_b32_e64 v70, v70, v69, s8
	v_cndmask_b32_e64 v69, v68, v71, s8
                                        ; implicit-def: $vgpr68
	s_delay_alu instid0(VALU_DEP_2) | instskip(NEXT) | instid1(VALU_DEP_2)
	v_cmp_ge_i32_e64 s9, v70, v40
	v_cmp_lt_i32_e64 s11, v69, v41
	s_or_b32 s9, s9, s10
	s_wait_alu 0xfffe
	s_and_b32 s9, s11, s9
	s_wait_alu 0xfffe
	s_xor_b32 s10, s9, -1
	s_delay_alu instid0(SALU_CYCLE_1) | instskip(NEXT) | instid1(SALU_CYCLE_1)
	s_and_saveexec_b32 s11, s10
	s_xor_b32 s10, exec_lo, s11
; %bb.111:                              ;   in Loop: Header=BB26_2 Depth=1
	v_lshlrev_b32_e32 v68, 2, v70
	ds_load_b32 v68, v68 offset:4
; %bb.112:                              ;   in Loop: Header=BB26_2 Depth=1
	s_or_saveexec_b32 s10, s10
	v_mov_b32_e32 v71, v67
	s_xor_b32 exec_lo, exec_lo, s10
	s_cbranch_execz .LBB26_114
; %bb.113:                              ;   in Loop: Header=BB26_2 Depth=1
	s_wait_dscnt 0x0
	v_lshlrev_b32_e32 v68, 2, v69
	ds_load_b32 v71, v68 offset:4
	v_mov_b32_e32 v68, v66
.LBB26_114:                             ;   in Loop: Header=BB26_2 Depth=1
	s_or_b32 exec_lo, exec_lo, s10
	v_add_nc_u32_e32 v72, 1, v70
	v_add_nc_u32_e32 v73, 1, v69
	v_cndmask_b32_e64 v67, v66, v67, s9
	v_mov_b32_e32 v66, v50
	v_cndmask_b32_e64 v64, v64, v65, s8
	v_cndmask_b32_e64 v70, v72, v70, s9
	;; [unrolled: 1-line block ×3, first 2 shown]
	s_wait_dscnt 0x0
	v_cmp_lt_i32_e64 s9, v71, v68
	v_cndmask_b32_e64 v62, v62, v63, s7
	s_wait_loadcnt 0x0
	v_cmp_ge_i32_e64 s10, v70, v40
	v_cmp_lt_i32_e64 s8, v69, v41
	s_barrier_signal -1
	s_barrier_wait -1
	global_inv scope:SCOPE_SE
	s_or_b32 s7, s10, s9
	s_wait_alu 0xfffe
	s_and_b32 s7, s8, s7
	s_wait_alu 0xfffe
	v_cndmask_b32_e64 v63, v68, v71, s7
	ds_store_2addr_b32 v5, v62, v64 offset1:1
	ds_store_2addr_b32 v5, v67, v63 offset0:2 offset1:3
	s_wait_loadcnt_dscnt 0x0
	s_barrier_signal -1
	s_barrier_wait -1
	global_inv scope:SCOPE_SE
	s_and_saveexec_b32 s8, s6
	s_cbranch_execz .LBB26_118
; %bb.115:                              ;   in Loop: Header=BB26_2 Depth=1
	v_mov_b32_e32 v66, v50
	v_mov_b32_e32 v62, v51
	s_mov_b32 s9, 0
.LBB26_116:                             ;   Parent Loop BB26_2 Depth=1
                                        ; =>  This Inner Loop Header: Depth=2
	s_delay_alu instid0(VALU_DEP_1) | instskip(NEXT) | instid1(VALU_DEP_1)
	v_sub_nc_u32_e32 v63, v62, v66
	v_lshrrev_b32_e32 v63, 1, v63
	s_delay_alu instid0(VALU_DEP_1) | instskip(NEXT) | instid1(VALU_DEP_1)
	v_add_nc_u32_e32 v63, v63, v66
	v_not_b32_e32 v64, v63
	v_lshlrev_b32_e32 v65, 2, v63
	v_add_nc_u32_e32 v67, 1, v63
	s_delay_alu instid0(VALU_DEP_3)
	v_lshl_add_u32 v64, v64, 2, v61
	ds_load_b32 v65, v65
	ds_load_b32 v64, v64
	s_wait_dscnt 0x0
	v_cmp_lt_i32_e64 s7, v64, v65
	s_wait_alu 0xf1ff
	s_delay_alu instid0(VALU_DEP_1) | instskip(SKIP_1) | instid1(VALU_DEP_1)
	v_cndmask_b32_e64 v62, v62, v63, s7
	v_cndmask_b32_e64 v66, v67, v66, s7
	v_cmp_ge_i32_e64 s7, v66, v62
	s_wait_alu 0xfffe
	s_or_b32 s9, s7, s9
	s_wait_alu 0xfffe
	s_and_not1_b32 exec_lo, exec_lo, s9
	s_cbranch_execnz .LBB26_116
; %bb.117:                              ;   in Loop: Header=BB26_2 Depth=1
	s_or_b32 exec_lo, exec_lo, s9
.LBB26_118:                             ;   in Loop: Header=BB26_2 Depth=1
	s_wait_alu 0xfffe
	s_or_b32 exec_lo, exec_lo, s8
	v_sub_nc_u32_e32 v67, v53, v66
	v_lshlrev_b32_e32 v65, 2, v66
	v_cmp_le_i32_e64 s7, 0x200, v66
                                        ; implicit-def: $vgpr64
	s_delay_alu instid0(VALU_DEP_3)
	v_lshlrev_b32_e32 v68, 2, v67
	v_cmp_gt_i32_e64 s9, 0x400, v67
	ds_load_b32 v62, v65
	ds_load_b32 v63, v68
	s_wait_dscnt 0x0
	v_cmp_lt_i32_e64 s8, v63, v62
	s_or_b32 s7, s7, s8
	s_wait_alu 0xfffe
	s_and_b32 s7, s9, s7
	s_wait_alu 0xfffe
	s_xor_b32 s8, s7, -1
	s_wait_alu 0xfffe
	s_and_saveexec_b32 s9, s8
	s_wait_alu 0xfffe
	s_xor_b32 s8, exec_lo, s9
; %bb.119:                              ;   in Loop: Header=BB26_2 Depth=1
	ds_load_b32 v64, v65 offset:4
                                        ; implicit-def: $vgpr68
; %bb.120:                              ;   in Loop: Header=BB26_2 Depth=1
	s_wait_alu 0xfffe
	s_or_saveexec_b32 s8, s8
	v_mov_b32_e32 v65, v63
	s_wait_alu 0xfffe
	s_xor_b32 exec_lo, exec_lo, s8
	s_cbranch_execz .LBB26_122
; %bb.121:                              ;   in Loop: Header=BB26_2 Depth=1
	ds_load_b32 v65, v68 offset:4
	s_wait_dscnt 0x1
	v_mov_b32_e32 v64, v62
.LBB26_122:                             ;   in Loop: Header=BB26_2 Depth=1
	s_or_b32 exec_lo, exec_lo, s8
	v_add_nc_u32_e32 v68, 1, v66
	v_add_nc_u32_e32 v70, 1, v67
	s_wait_dscnt 0x0
	v_cmp_lt_i32_e64 s9, v65, v64
	s_delay_alu instid0(VALU_DEP_3) | instskip(NEXT) | instid1(VALU_DEP_3)
	v_cndmask_b32_e64 v69, v68, v66, s7
	v_cndmask_b32_e64 v68, v67, v70, s7
                                        ; implicit-def: $vgpr66
	s_delay_alu instid0(VALU_DEP_2) | instskip(NEXT) | instid1(VALU_DEP_2)
	v_cmp_le_i32_e64 s8, 0x200, v69
	v_cmp_gt_i32_e64 s10, 0x400, v68
	s_or_b32 s8, s8, s9
	s_wait_alu 0xfffe
	s_and_b32 s8, s10, s8
	s_wait_alu 0xfffe
	s_xor_b32 s9, s8, -1
	s_wait_alu 0xfffe
	s_and_saveexec_b32 s10, s9
	s_delay_alu instid0(SALU_CYCLE_1)
	s_xor_b32 s9, exec_lo, s10
; %bb.123:                              ;   in Loop: Header=BB26_2 Depth=1
	v_lshlrev_b32_e32 v66, 2, v69
	ds_load_b32 v66, v66 offset:4
; %bb.124:                              ;   in Loop: Header=BB26_2 Depth=1
	s_wait_alu 0xfffe
	s_or_saveexec_b32 s9, s9
	v_mov_b32_e32 v67, v65
	s_wait_alu 0xfffe
	s_xor_b32 exec_lo, exec_lo, s9
	s_cbranch_execz .LBB26_126
; %bb.125:                              ;   in Loop: Header=BB26_2 Depth=1
	s_wait_dscnt 0x0
	v_lshlrev_b32_e32 v66, 2, v68
	ds_load_b32 v67, v66 offset:4
	v_mov_b32_e32 v66, v64
.LBB26_126:                             ;   in Loop: Header=BB26_2 Depth=1
	s_or_b32 exec_lo, exec_lo, s9
	v_add_nc_u32_e32 v70, 1, v69
	v_add_nc_u32_e32 v71, 1, v68
	s_wait_dscnt 0x0
	v_cmp_lt_i32_e64 s10, v67, v66
	s_delay_alu instid0(VALU_DEP_3) | instskip(NEXT) | instid1(VALU_DEP_3)
	v_cndmask_b32_e64 v70, v70, v69, s8
	v_cndmask_b32_e64 v68, v68, v71, s8
                                        ; implicit-def: $vgpr69
                                        ; implicit-def: $vgpr71
	s_delay_alu instid0(VALU_DEP_2) | instskip(NEXT) | instid1(VALU_DEP_2)
	v_cmp_le_i32_e64 s9, 0x200, v70
	v_cmp_gt_i32_e64 s11, 0x400, v68
	s_or_b32 s9, s9, s10
	s_wait_alu 0xfffe
	s_and_b32 s9, s11, s9
	s_wait_alu 0xfffe
	s_xor_b32 s10, s9, -1
	s_delay_alu instid0(SALU_CYCLE_1) | instskip(NEXT) | instid1(SALU_CYCLE_1)
	s_and_saveexec_b32 s11, s10
	s_xor_b32 s10, exec_lo, s11
; %bb.127:                              ;   in Loop: Header=BB26_2 Depth=1
	v_lshlrev_b32_e32 v69, 2, v70
	v_add_nc_u32_e32 v71, 1, v70
                                        ; implicit-def: $vgpr70
	ds_load_b32 v69, v69 offset:4
; %bb.128:                              ;   in Loop: Header=BB26_2 Depth=1
	s_or_saveexec_b32 s10, s10
	v_mov_b32_e32 v72, v67
	s_xor_b32 exec_lo, exec_lo, s10
	s_cbranch_execz .LBB26_1
; %bb.129:                              ;   in Loop: Header=BB26_2 Depth=1
	s_wait_dscnt 0x0
	v_lshlrev_b32_e32 v69, 2, v68
	v_dual_mov_b32 v71, v70 :: v_dual_add_nc_u32 v68, 1, v68
	ds_load_b32 v72, v69 offset:4
	v_mov_b32_e32 v69, v66
	s_branch .LBB26_1
.LBB26_130:
	v_lshlrev_b32_e32 v0, 2, v0
	s_add_nc_u64 s[0:1], s[14:15], s[18:19]
	s_clause 0x3
	global_store_b32 v0, v62, s[0:1]
	global_store_b32 v0, v63, s[0:1] offset:1024
	global_store_b32 v0, v64, s[0:1] offset:2048
	;; [unrolled: 1-line block ×3, first 2 shown]
	s_endpgm
	.section	.rodata,"a",@progbits
	.p2align	6, 0x0
	.amdhsa_kernel _Z16sort_keys_kernelIiLj256ELj4EN10test_utils4lessELj10EEvPKT_PS2_T2_
		.amdhsa_group_segment_fixed_size 4100
		.amdhsa_private_segment_fixed_size 0
		.amdhsa_kernarg_size 20
		.amdhsa_user_sgpr_count 2
		.amdhsa_user_sgpr_dispatch_ptr 0
		.amdhsa_user_sgpr_queue_ptr 0
		.amdhsa_user_sgpr_kernarg_segment_ptr 1
		.amdhsa_user_sgpr_dispatch_id 0
		.amdhsa_user_sgpr_private_segment_size 0
		.amdhsa_wavefront_size32 1
		.amdhsa_uses_dynamic_stack 0
		.amdhsa_enable_private_segment 0
		.amdhsa_system_sgpr_workgroup_id_x 1
		.amdhsa_system_sgpr_workgroup_id_y 0
		.amdhsa_system_sgpr_workgroup_id_z 0
		.amdhsa_system_sgpr_workgroup_info 0
		.amdhsa_system_vgpr_workitem_id 0
		.amdhsa_next_free_vgpr 74
		.amdhsa_next_free_sgpr 20
		.amdhsa_reserve_vcc 1
		.amdhsa_float_round_mode_32 0
		.amdhsa_float_round_mode_16_64 0
		.amdhsa_float_denorm_mode_32 3
		.amdhsa_float_denorm_mode_16_64 3
		.amdhsa_fp16_overflow 0
		.amdhsa_workgroup_processor_mode 1
		.amdhsa_memory_ordered 1
		.amdhsa_forward_progress 1
		.amdhsa_inst_pref_size 57
		.amdhsa_round_robin_scheduling 0
		.amdhsa_exception_fp_ieee_invalid_op 0
		.amdhsa_exception_fp_denorm_src 0
		.amdhsa_exception_fp_ieee_div_zero 0
		.amdhsa_exception_fp_ieee_overflow 0
		.amdhsa_exception_fp_ieee_underflow 0
		.amdhsa_exception_fp_ieee_inexact 0
		.amdhsa_exception_int_div_zero 0
	.end_amdhsa_kernel
	.section	.text._Z16sort_keys_kernelIiLj256ELj4EN10test_utils4lessELj10EEvPKT_PS2_T2_,"axG",@progbits,_Z16sort_keys_kernelIiLj256ELj4EN10test_utils4lessELj10EEvPKT_PS2_T2_,comdat
.Lfunc_end26:
	.size	_Z16sort_keys_kernelIiLj256ELj4EN10test_utils4lessELj10EEvPKT_PS2_T2_, .Lfunc_end26-_Z16sort_keys_kernelIiLj256ELj4EN10test_utils4lessELj10EEvPKT_PS2_T2_
                                        ; -- End function
	.set _Z16sort_keys_kernelIiLj256ELj4EN10test_utils4lessELj10EEvPKT_PS2_T2_.num_vgpr, 74
	.set _Z16sort_keys_kernelIiLj256ELj4EN10test_utils4lessELj10EEvPKT_PS2_T2_.num_agpr, 0
	.set _Z16sort_keys_kernelIiLj256ELj4EN10test_utils4lessELj10EEvPKT_PS2_T2_.numbered_sgpr, 20
	.set _Z16sort_keys_kernelIiLj256ELj4EN10test_utils4lessELj10EEvPKT_PS2_T2_.num_named_barrier, 0
	.set _Z16sort_keys_kernelIiLj256ELj4EN10test_utils4lessELj10EEvPKT_PS2_T2_.private_seg_size, 0
	.set _Z16sort_keys_kernelIiLj256ELj4EN10test_utils4lessELj10EEvPKT_PS2_T2_.uses_vcc, 1
	.set _Z16sort_keys_kernelIiLj256ELj4EN10test_utils4lessELj10EEvPKT_PS2_T2_.uses_flat_scratch, 0
	.set _Z16sort_keys_kernelIiLj256ELj4EN10test_utils4lessELj10EEvPKT_PS2_T2_.has_dyn_sized_stack, 0
	.set _Z16sort_keys_kernelIiLj256ELj4EN10test_utils4lessELj10EEvPKT_PS2_T2_.has_recursion, 0
	.set _Z16sort_keys_kernelIiLj256ELj4EN10test_utils4lessELj10EEvPKT_PS2_T2_.has_indirect_call, 0
	.section	.AMDGPU.csdata,"",@progbits
; Kernel info:
; codeLenInByte = 7292
; TotalNumSgprs: 22
; NumVgprs: 74
; ScratchSize: 0
; MemoryBound: 0
; FloatMode: 240
; IeeeMode: 1
; LDSByteSize: 4100 bytes/workgroup (compile time only)
; SGPRBlocks: 0
; VGPRBlocks: 9
; NumSGPRsForWavesPerEU: 22
; NumVGPRsForWavesPerEU: 74
; Occupancy: 16
; WaveLimiterHint : 1
; COMPUTE_PGM_RSRC2:SCRATCH_EN: 0
; COMPUTE_PGM_RSRC2:USER_SGPR: 2
; COMPUTE_PGM_RSRC2:TRAP_HANDLER: 0
; COMPUTE_PGM_RSRC2:TGID_X_EN: 1
; COMPUTE_PGM_RSRC2:TGID_Y_EN: 0
; COMPUTE_PGM_RSRC2:TGID_Z_EN: 0
; COMPUTE_PGM_RSRC2:TIDIG_COMP_CNT: 0
	.section	.text._Z17sort_pairs_kernelIiLj256ELj4EN10test_utils4lessELj10EEvPKT_PS2_T2_,"axG",@progbits,_Z17sort_pairs_kernelIiLj256ELj4EN10test_utils4lessELj10EEvPKT_PS2_T2_,comdat
	.protected	_Z17sort_pairs_kernelIiLj256ELj4EN10test_utils4lessELj10EEvPKT_PS2_T2_ ; -- Begin function _Z17sort_pairs_kernelIiLj256ELj4EN10test_utils4lessELj10EEvPKT_PS2_T2_
	.globl	_Z17sort_pairs_kernelIiLj256ELj4EN10test_utils4lessELj10EEvPKT_PS2_T2_
	.p2align	8
	.type	_Z17sort_pairs_kernelIiLj256ELj4EN10test_utils4lessELj10EEvPKT_PS2_T2_,@function
_Z17sort_pairs_kernelIiLj256ELj4EN10test_utils4lessELj10EEvPKT_PS2_T2_: ; @_Z17sort_pairs_kernelIiLj256ELj4EN10test_utils4lessELj10EEvPKT_PS2_T2_
; %bb.0:
	s_load_b128 s[16:19], s[0:1], 0x0
	s_lshl_b32 s22, ttmp9, 10
	s_mov_b32 s23, 0
	v_lshlrev_b32_e32 v11, 2, v0
	s_lshl_b64 s[20:21], s[22:23], 2
	v_lshlrev_b32_e32 v1, 4, v0
	s_delay_alu instid0(VALU_DEP_2)
	v_and_b32_e32 v2, 0x3f8, v11
	v_and_b32_e32 v3, 0x3f0, v11
	;; [unrolled: 1-line block ×5, first 2 shown]
	v_or_b32_e32 v12, 4, v2
	v_add_nc_u32_e32 v13, 8, v2
	v_or_b32_e32 v15, 8, v3
	v_add_nc_u32_e32 v16, 16, v3
	v_and_b32_e32 v5, 0x3c0, v11
	v_or_b32_e32 v18, 16, v4
	v_sub_nc_u32_e32 v61, v13, v12
	s_wait_kmcnt 0x0
	s_add_nc_u64 s[0:1], s[16:17], s[20:21]
	v_add_nc_u32_e32 v19, 32, v4
	s_clause 0x3
	global_load_b32 v68, v11, s[0:1]
	global_load_b32 v69, v11, s[0:1] offset:1024
	global_load_b32 v67, v11, s[0:1] offset:2048
	;; [unrolled: 1-line block ×3, first 2 shown]
	v_sub_nc_u32_e32 v47, v12, v2
	v_sub_nc_u32_e32 v62, v16, v15
	;; [unrolled: 1-line block ×3, first 2 shown]
	v_cmp_ge_i32_e64 s0, v54, v61
	v_and_b32_e32 v56, 28, v11
	v_and_b32_e32 v6, 0x380, v11
	v_or_b32_e32 v21, 32, v5
	v_add_nc_u32_e32 v22, 64, v5
	v_lshlrev_b32_e32 v40, 2, v54
	v_add_nc_u32_e32 v33, v12, v54
	v_sub_nc_u32_e32 v48, v15, v3
	v_sub_nc_u32_e32 v63, v19, v18
	v_min_i32_e32 v47, v54, v47
	v_sub_nc_u32_e32 v73, v55, v62
	v_cndmask_b32_e64 v54, 0, v72, s0
	v_cmp_ge_i32_e64 s0, v55, v62
	v_and_b32_e32 v57, 60, v11
	v_and_b32_e32 v7, 0x300, v11
	v_or_b32_e32 v24, 64, v6
	v_add_nc_u32_e32 v25, 0x80, v6
	v_lshlrev_b32_e32 v41, 2, v55
	v_add_nc_u32_e32 v34, v15, v55
	v_sub_nc_u32_e32 v49, v18, v4
	v_sub_nc_u32_e32 v64, v22, v21
	v_min_i32_e32 v48, v55, v48
	v_sub_nc_u32_e32 v74, v56, v63
	s_wait_alu 0xf1ff
	v_cndmask_b32_e64 v55, 0, v73, s0
	v_cmp_ge_i32_e64 s0, v56, v63
	v_and_b32_e32 v58, 0x7c, v11
	v_and_b32_e32 v8, 0x200, v11
	v_or_b32_e32 v27, 0x80, v7
	v_add_nc_u32_e32 v28, 0x100, v7
	v_lshlrev_b32_e32 v42, 2, v56
	v_add_nc_u32_e32 v35, v18, v56
	v_sub_nc_u32_e32 v50, v21, v5
	v_sub_nc_u32_e32 v65, v25, v24
	v_min_i32_e32 v49, v56, v49
	v_sub_nc_u32_e32 v75, v57, v64
	s_wait_alu 0xf1ff
	v_cndmask_b32_e64 v56, 0, v74, s0
	v_cmp_ge_i32_e64 s0, v57, v64
	v_and_b32_e32 v59, 0xfc, v11
	v_or_b32_e32 v30, 0x100, v8
	v_add_nc_u32_e32 v31, 0x200, v8
	v_lshlrev_b32_e32 v43, 2, v57
	v_add_nc_u32_e32 v36, v21, v57
	v_sub_nc_u32_e32 v51, v24, v6
	v_sub_nc_u32_e32 v70, v28, v27
	v_min_i32_e32 v50, v57, v50
	v_sub_nc_u32_e32 v76, v58, v65
	s_wait_alu 0xf1ff
	v_cndmask_b32_e64 v57, 0, v75, s0
	v_cmp_ge_i32_e64 s0, v58, v65
	v_and_b32_e32 v60, 0x1fc, v11
	v_lshlrev_b32_e32 v44, 2, v58
	v_add_nc_u32_e32 v37, v24, v58
	v_sub_nc_u32_e32 v52, v27, v7
	v_sub_nc_u32_e32 v71, v31, v30
	v_min_i32_e32 v51, v58, v51
	v_sub_nc_u32_e32 v77, v59, v70
	s_wait_alu 0xf1ff
	v_cndmask_b32_e64 v58, 0, v76, s0
	v_cmp_ge_i32_e64 s0, v59, v70
	v_lshlrev_b32_e32 v45, 2, v59
	v_add_nc_u32_e32 v38, v27, v59
	v_sub_nc_u32_e32 v53, v30, v8
	v_min_i32_e32 v52, v59, v52
	v_sub_nc_u32_e32 v78, v60, v71
	s_wait_alu 0xf1ff
	v_cndmask_b32_e64 v59, 0, v77, s0
	v_cmp_ge_i32_e64 s0, v60, v71
	v_lshlrev_b32_e32 v46, 2, v60
	v_add_nc_u32_e32 v39, v30, v60
	v_min_i32_e32 v53, v60, v53
	v_subrev_nc_u32_e64 v9, 0x200, v11 clamp
	s_wait_alu 0xf1ff
	v_cndmask_b32_e64 v60, 0, v78, s0
	v_min_i32_e32 v10, 0x200, v11
	v_add_nc_u32_e32 v11, 0x200, v11
	v_lshlrev_b32_e32 v14, 2, v2
	v_lshlrev_b32_e32 v17, 2, v3
	v_lshlrev_b32_e32 v20, 2, v4
	v_lshlrev_b32_e32 v23, 2, v5
	v_lshlrev_b32_e32 v26, 2, v6
	v_lshlrev_b32_e32 v29, 2, v7
	v_lshlrev_b32_e32 v32, 2, v8
	v_lshl_add_u32 v40, v12, 2, v40
	v_lshl_add_u32 v41, v15, 2, v41
	;; [unrolled: 1-line block ×7, first 2 shown]
	v_cmp_lt_i32_e64 s0, v54, v47
	v_cmp_lt_i32_e64 s1, v55, v48
	;; [unrolled: 1-line block ×7, first 2 shown]
	v_add_nc_u32_e32 v61, 0x800, v1
	v_cmp_lt_i32_e32 vcc_lo, v9, v10
	s_wait_loadcnt 0x3
	v_add_nc_u32_e32 v64, 1, v68
	s_wait_loadcnt 0x2
	v_add_nc_u32_e32 v65, 1, v69
	;; [unrolled: 2-line block ×4, first 2 shown]
	s_branch .LBB27_2
.LBB27_1:                               ;   in Loop: Header=BB27_2 Depth=1
	s_or_b32 exec_lo, exec_lo, s10
	v_cmp_le_i32_e64 s10, 0x200, v78
	s_wait_dscnt 0x0
	v_cmp_lt_i32_e64 s11, v81, v79
	v_cmp_gt_i32_e64 s12, 0x400, v76
	v_cndmask_b32_e64 v70, v66, v70, s7
	v_cndmask_b32_e64 v74, v74, v75, s8
	s_wait_loadcnt 0x0
	s_or_b32 s10, s10, s11
	s_barrier_signal -1
	s_wait_alu 0xfffe
	s_and_b32 s10, s12, s10
	s_barrier_wait -1
	s_wait_alu 0xfffe
	v_cndmask_b32_e64 v75, v78, v76, s10
	global_inv scope:SCOPE_SE
	ds_store_2addr_b32 v1, v62, v63 offset1:1
	ds_store_2addr_b32 v1, v64, v65 offset0:2 offset1:3
	v_lshlrev_b32_e32 v62, 2, v70
	v_lshlrev_b32_e32 v63, 2, v74
	v_lshlrev_b32_e32 v70, 2, v77
	v_lshlrev_b32_e32 v74, 2, v75
	s_wait_loadcnt_dscnt 0x0
	s_barrier_signal -1
	s_barrier_wait -1
	global_inv scope:SCOPE_SE
	ds_load_b32 v64, v62
	ds_load_b32 v65, v63
	;; [unrolled: 1-line block ×4, first 2 shown]
	v_cndmask_b32_e64 v66, v79, v81, s10
	v_cndmask_b32_e64 v68, v67, v68, s7
	;; [unrolled: 1-line block ×4, first 2 shown]
	s_add_co_i32 s23, s23, 1
	s_delay_alu instid0(SALU_CYCLE_1)
	s_cmp_eq_u32 s23, 10
	s_cbranch_scc1 .LBB27_130
.LBB27_2:                               ; =>This Loop Header: Depth=1
                                        ;     Child Loop BB27_4 Depth 2
                                        ;     Child Loop BB27_20 Depth 2
	;; [unrolled: 1-line block ×8, first 2 shown]
	v_cmp_lt_i32_e64 s8, v69, v68
	v_cmp_lt_i32_e64 s10, v66, v67
	v_min_i32_e32 v71, v66, v67
	s_barrier_signal -1
	s_wait_alu 0xf1ff
	v_cndmask_b32_e64 v70, v68, v69, s8
	v_cndmask_b32_e64 v68, v69, v68, s8
	;; [unrolled: 1-line block ×4, first 2 shown]
	s_barrier_wait -1
	global_inv scope:SCOPE_SE
	v_cmp_lt_i32_e64 s12, v71, v68
	v_min_i32_e32 v67, v71, v68
	s_wait_alu 0xf1ff
	s_delay_alu instid0(VALU_DEP_2) | instskip(SKIP_1) | instid1(VALU_DEP_3)
	v_cndmask_b32_e64 v66, v66, v68, s12
	v_cndmask_b32_e64 v68, v68, v71, s12
	v_cmp_lt_i32_e64 s7, v67, v70
	s_delay_alu instid0(VALU_DEP_3) | instskip(SKIP_2) | instid1(VALU_DEP_3)
	v_cmp_lt_i32_e64 s9, v69, v66
	v_min_i32_e32 v71, v69, v66
	s_wait_alu 0xf1ff
	v_cndmask_b32_e64 v68, v68, v70, s7
	v_cndmask_b32_e64 v67, v70, v67, s7
	;; [unrolled: 1-line block ×4, first 2 shown]
	s_delay_alu instid0(VALU_DEP_4) | instskip(SKIP_1) | instid1(VALU_DEP_1)
	v_cmp_lt_i32_e64 s11, v71, v68
	s_wait_alu 0xf1ff
	v_cndmask_b32_e64 v66, v66, v68, s11
	v_cndmask_b32_e64 v69, v68, v71, s11
	v_mov_b32_e32 v68, v54
	ds_store_2addr_b32 v1, v67, v69 offset1:1
	ds_store_2addr_b32 v1, v66, v70 offset0:2 offset1:3
	s_wait_loadcnt_dscnt 0x0
	s_barrier_signal -1
	s_barrier_wait -1
	global_inv scope:SCOPE_SE
	s_and_saveexec_b32 s14, s0
	s_cbranch_execz .LBB27_6
; %bb.3:                                ;   in Loop: Header=BB27_2 Depth=1
	v_mov_b32_e32 v68, v54
	v_mov_b32_e32 v66, v47
	s_mov_b32 s15, 0
.LBB27_4:                               ;   Parent Loop BB27_2 Depth=1
                                        ; =>  This Inner Loop Header: Depth=2
	s_delay_alu instid0(VALU_DEP_1) | instskip(NEXT) | instid1(VALU_DEP_1)
	v_sub_nc_u32_e32 v67, v66, v68
	v_lshrrev_b32_e32 v67, 1, v67
	s_delay_alu instid0(VALU_DEP_1) | instskip(NEXT) | instid1(VALU_DEP_1)
	v_add_nc_u32_e32 v67, v67, v68
	v_not_b32_e32 v69, v67
	v_lshl_add_u32 v70, v67, 2, v14
	v_add_nc_u32_e32 v71, 1, v67
	s_delay_alu instid0(VALU_DEP_3)
	v_lshl_add_u32 v69, v69, 2, v40
	ds_load_b32 v70, v70
	ds_load_b32 v69, v69
	s_wait_dscnt 0x0
	v_cmp_lt_i32_e64 s13, v69, v70
	s_wait_alu 0xf1ff
	s_delay_alu instid0(VALU_DEP_1) | instskip(SKIP_1) | instid1(VALU_DEP_1)
	v_cndmask_b32_e64 v66, v66, v67, s13
	v_cndmask_b32_e64 v68, v71, v68, s13
	v_cmp_ge_i32_e64 s13, v68, v66
	s_wait_alu 0xfffe
	s_or_b32 s15, s13, s15
	s_wait_alu 0xfffe
	s_and_not1_b32 exec_lo, exec_lo, s15
	s_cbranch_execnz .LBB27_4
; %bb.5:                                ;   in Loop: Header=BB27_2 Depth=1
	s_or_b32 exec_lo, exec_lo, s15
.LBB27_6:                               ;   in Loop: Header=BB27_2 Depth=1
	s_wait_alu 0xfffe
	s_or_b32 exec_lo, exec_lo, s14
	v_sub_nc_u32_e32 v70, v33, v68
	v_lshl_add_u32 v69, v68, 2, v14
	v_add_nc_u32_e32 v71, v68, v2
                                        ; implicit-def: $vgpr68
	s_delay_alu instid0(VALU_DEP_3) | instskip(SKIP_1) | instid1(VALU_DEP_3)
	v_lshlrev_b32_e32 v72, 2, v70
	v_cmp_gt_i32_e64 s15, v13, v70
	v_cmp_le_i32_e64 s13, v12, v71
	ds_load_b32 v66, v69
	ds_load_b32 v67, v72
	s_wait_dscnt 0x0
	v_cmp_lt_i32_e64 s14, v67, v66
	s_or_b32 s13, s13, s14
	s_wait_alu 0xfffe
	s_and_b32 s13, s15, s13
	s_wait_alu 0xfffe
	s_xor_b32 s14, s13, -1
	s_wait_alu 0xfffe
	s_and_saveexec_b32 s15, s14
	s_wait_alu 0xfffe
	s_xor_b32 s14, exec_lo, s15
; %bb.7:                                ;   in Loop: Header=BB27_2 Depth=1
	ds_load_b32 v68, v69 offset:4
                                        ; implicit-def: $vgpr72
; %bb.8:                                ;   in Loop: Header=BB27_2 Depth=1
	s_wait_alu 0xfffe
	s_or_saveexec_b32 s14, s14
	v_mov_b32_e32 v69, v67
	s_wait_alu 0xfffe
	s_xor_b32 exec_lo, exec_lo, s14
	s_cbranch_execz .LBB27_10
; %bb.9:                                ;   in Loop: Header=BB27_2 Depth=1
	ds_load_b32 v69, v72 offset:4
	s_wait_dscnt 0x1
	v_mov_b32_e32 v68, v66
.LBB27_10:                              ;   in Loop: Header=BB27_2 Depth=1
	s_or_b32 exec_lo, exec_lo, s14
	v_add_nc_u32_e32 v72, 1, v71
	v_add_nc_u32_e32 v73, 1, v70
	s_wait_dscnt 0x0
	v_cmp_lt_i32_e64 s15, v69, v68
	s_delay_alu instid0(VALU_DEP_3) | instskip(NEXT) | instid1(VALU_DEP_3)
	v_cndmask_b32_e64 v74, v72, v71, s13
	v_cndmask_b32_e64 v75, v70, v73, s13
                                        ; implicit-def: $vgpr72
	s_delay_alu instid0(VALU_DEP_2) | instskip(NEXT) | instid1(VALU_DEP_2)
	v_cmp_ge_i32_e64 s14, v74, v12
	v_cmp_lt_i32_e64 s16, v75, v13
	s_or_b32 s14, s14, s15
	s_wait_alu 0xfffe
	s_and_b32 s14, s16, s14
	s_wait_alu 0xfffe
	s_xor_b32 s15, s14, -1
	s_wait_alu 0xfffe
	s_and_saveexec_b32 s16, s15
	s_delay_alu instid0(SALU_CYCLE_1)
	s_xor_b32 s15, exec_lo, s16
; %bb.11:                               ;   in Loop: Header=BB27_2 Depth=1
	v_lshlrev_b32_e32 v72, 2, v74
	ds_load_b32 v72, v72 offset:4
; %bb.12:                               ;   in Loop: Header=BB27_2 Depth=1
	s_wait_alu 0xfffe
	s_or_saveexec_b32 s15, s15
	v_mov_b32_e32 v73, v69
	s_wait_alu 0xfffe
	s_xor_b32 exec_lo, exec_lo, s15
	s_cbranch_execz .LBB27_14
; %bb.13:                               ;   in Loop: Header=BB27_2 Depth=1
	s_wait_dscnt 0x0
	v_lshlrev_b32_e32 v72, 2, v75
	ds_load_b32 v73, v72 offset:4
	v_mov_b32_e32 v72, v68
.LBB27_14:                              ;   in Loop: Header=BB27_2 Depth=1
	s_or_b32 exec_lo, exec_lo, s15
	v_add_nc_u32_e32 v76, 1, v74
	v_add_nc_u32_e32 v78, 1, v75
	s_wait_dscnt 0x0
	v_cmp_lt_i32_e64 s16, v73, v72
	s_delay_alu instid0(VALU_DEP_3) | instskip(NEXT) | instid1(VALU_DEP_3)
	v_cndmask_b32_e64 v77, v76, v74, s14
	v_cndmask_b32_e64 v78, v75, v78, s14
                                        ; implicit-def: $vgpr76
	s_delay_alu instid0(VALU_DEP_2) | instskip(NEXT) | instid1(VALU_DEP_2)
	v_cmp_ge_i32_e64 s15, v77, v12
	v_cmp_lt_i32_e64 s17, v78, v13
	s_or_b32 s15, s15, s16
	s_wait_alu 0xfffe
	s_and_b32 s15, s17, s15
	s_wait_alu 0xfffe
	s_xor_b32 s16, s15, -1
	s_delay_alu instid0(SALU_CYCLE_1) | instskip(NEXT) | instid1(SALU_CYCLE_1)
	s_and_saveexec_b32 s17, s16
	s_xor_b32 s16, exec_lo, s17
; %bb.15:                               ;   in Loop: Header=BB27_2 Depth=1
	v_lshlrev_b32_e32 v76, 2, v77
	ds_load_b32 v76, v76 offset:4
; %bb.16:                               ;   in Loop: Header=BB27_2 Depth=1
	s_or_saveexec_b32 s16, s16
	v_mov_b32_e32 v79, v73
	s_xor_b32 exec_lo, exec_lo, s16
	s_cbranch_execz .LBB27_18
; %bb.17:                               ;   in Loop: Header=BB27_2 Depth=1
	s_wait_dscnt 0x0
	v_lshlrev_b32_e32 v76, 2, v78
	ds_load_b32 v79, v76 offset:4
	v_mov_b32_e32 v76, v72
.LBB27_18:                              ;   in Loop: Header=BB27_2 Depth=1
	s_or_b32 exec_lo, exec_lo, s16
	v_add_nc_u32_e32 v81, 1, v77
	v_cndmask_b32_e64 v82, v65, v64, s8
	v_cndmask_b32_e64 v83, v62, v63, s10
	v_add_nc_u32_e32 v80, 1, v78
	v_cndmask_b32_e64 v64, v64, v65, s8
	v_cndmask_b32_e64 v81, v81, v77, s15
	;; [unrolled: 1-line block ×6, first 2 shown]
	v_cmp_ge_i32_e64 s8, v81, v12
	s_wait_dscnt 0x0
	v_cmp_lt_i32_e64 s10, v79, v76
	v_cndmask_b32_e64 v74, v74, v75, s14
	v_cndmask_b32_e64 v70, v71, v70, s13
	v_cndmask_b32_e64 v71, v63, v64, s7
	v_cndmask_b32_e64 v75, v65, v62, s9
	v_cndmask_b32_e64 v63, v64, v63, s7
	v_cmp_lt_i32_e64 s7, v80, v13
	s_or_b32 s8, s8, s10
	v_cndmask_b32_e64 v62, v62, v65, s9
	v_cndmask_b32_e64 v65, v71, v75, s11
	;; [unrolled: 1-line block ×3, first 2 shown]
	s_wait_alu 0xfffe
	s_and_b32 s7, s7, s8
	v_cndmask_b32_e64 v77, v77, v78, s15
	s_wait_alu 0xfffe
	v_cndmask_b32_e64 v75, v81, v80, s7
	s_wait_loadcnt 0x0
	s_barrier_signal -1
	s_barrier_wait -1
	global_inv scope:SCOPE_SE
	ds_store_2addr_b32 v1, v63, v65 offset1:1
	ds_store_2addr_b32 v1, v64, v62 offset0:2 offset1:3
	v_lshlrev_b32_e32 v62, 2, v70
	v_lshlrev_b32_e32 v63, 2, v74
	;; [unrolled: 1-line block ×4, first 2 shown]
	s_wait_loadcnt_dscnt 0x0
	s_barrier_signal -1
	s_barrier_wait -1
	global_inv scope:SCOPE_SE
	ds_load_b32 v62, v62
	ds_load_b32 v63, v63
	;; [unrolled: 1-line block ×4, first 2 shown]
	v_cndmask_b32_e64 v68, v68, v69, s14
	v_cndmask_b32_e64 v66, v66, v67, s13
	;; [unrolled: 1-line block ×4, first 2 shown]
	s_wait_loadcnt_dscnt 0x0
	s_barrier_signal -1
	s_barrier_wait -1
	global_inv scope:SCOPE_SE
	ds_store_2addr_b32 v1, v66, v68 offset1:1
	ds_store_2addr_b32 v1, v70, v71 offset0:2 offset1:3
	v_mov_b32_e32 v68, v55
	s_wait_loadcnt_dscnt 0x0
	s_barrier_signal -1
	s_barrier_wait -1
	global_inv scope:SCOPE_SE
	s_and_saveexec_b32 s8, s1
	s_cbranch_execz .LBB27_22
; %bb.19:                               ;   in Loop: Header=BB27_2 Depth=1
	v_mov_b32_e32 v68, v55
	v_mov_b32_e32 v66, v48
	s_mov_b32 s9, 0
.LBB27_20:                              ;   Parent Loop BB27_2 Depth=1
                                        ; =>  This Inner Loop Header: Depth=2
	s_delay_alu instid0(VALU_DEP_1) | instskip(NEXT) | instid1(VALU_DEP_1)
	v_sub_nc_u32_e32 v67, v66, v68
	v_lshrrev_b32_e32 v67, 1, v67
	s_delay_alu instid0(VALU_DEP_1) | instskip(NEXT) | instid1(VALU_DEP_1)
	v_add_nc_u32_e32 v67, v67, v68
	v_not_b32_e32 v69, v67
	v_lshl_add_u32 v70, v67, 2, v17
	v_add_nc_u32_e32 v71, 1, v67
	s_delay_alu instid0(VALU_DEP_3)
	v_lshl_add_u32 v69, v69, 2, v41
	ds_load_b32 v70, v70
	ds_load_b32 v69, v69
	s_wait_dscnt 0x0
	v_cmp_lt_i32_e64 s7, v69, v70
	s_wait_alu 0xf1ff
	s_delay_alu instid0(VALU_DEP_1) | instskip(SKIP_1) | instid1(VALU_DEP_1)
	v_cndmask_b32_e64 v66, v66, v67, s7
	v_cndmask_b32_e64 v68, v71, v68, s7
	v_cmp_ge_i32_e64 s7, v68, v66
	s_wait_alu 0xfffe
	s_or_b32 s9, s7, s9
	s_wait_alu 0xfffe
	s_and_not1_b32 exec_lo, exec_lo, s9
	s_cbranch_execnz .LBB27_20
; %bb.21:                               ;   in Loop: Header=BB27_2 Depth=1
	s_or_b32 exec_lo, exec_lo, s9
.LBB27_22:                              ;   in Loop: Header=BB27_2 Depth=1
	s_wait_alu 0xfffe
	s_or_b32 exec_lo, exec_lo, s8
	v_sub_nc_u32_e32 v70, v34, v68
	v_lshl_add_u32 v69, v68, 2, v17
	v_add_nc_u32_e32 v71, v68, v3
                                        ; implicit-def: $vgpr68
	s_delay_alu instid0(VALU_DEP_3) | instskip(SKIP_1) | instid1(VALU_DEP_3)
	v_lshlrev_b32_e32 v72, 2, v70
	v_cmp_gt_i32_e64 s9, v16, v70
	v_cmp_le_i32_e64 s7, v15, v71
	ds_load_b32 v66, v69
	ds_load_b32 v67, v72
	s_wait_dscnt 0x0
	v_cmp_lt_i32_e64 s8, v67, v66
	s_or_b32 s7, s7, s8
	s_wait_alu 0xfffe
	s_and_b32 s7, s9, s7
	s_wait_alu 0xfffe
	s_xor_b32 s8, s7, -1
	s_wait_alu 0xfffe
	s_and_saveexec_b32 s9, s8
	s_wait_alu 0xfffe
	s_xor_b32 s8, exec_lo, s9
; %bb.23:                               ;   in Loop: Header=BB27_2 Depth=1
	ds_load_b32 v68, v69 offset:4
                                        ; implicit-def: $vgpr72
; %bb.24:                               ;   in Loop: Header=BB27_2 Depth=1
	s_wait_alu 0xfffe
	s_or_saveexec_b32 s8, s8
	v_mov_b32_e32 v69, v67
	s_wait_alu 0xfffe
	s_xor_b32 exec_lo, exec_lo, s8
	s_cbranch_execz .LBB27_26
; %bb.25:                               ;   in Loop: Header=BB27_2 Depth=1
	ds_load_b32 v69, v72 offset:4
	s_wait_dscnt 0x1
	v_mov_b32_e32 v68, v66
.LBB27_26:                              ;   in Loop: Header=BB27_2 Depth=1
	s_or_b32 exec_lo, exec_lo, s8
	v_add_nc_u32_e32 v72, 1, v71
	v_add_nc_u32_e32 v73, 1, v70
	s_wait_dscnt 0x0
	v_cmp_lt_i32_e64 s9, v69, v68
	s_delay_alu instid0(VALU_DEP_3) | instskip(NEXT) | instid1(VALU_DEP_3)
	v_cndmask_b32_e64 v74, v72, v71, s7
	v_cndmask_b32_e64 v75, v70, v73, s7
                                        ; implicit-def: $vgpr72
	s_delay_alu instid0(VALU_DEP_2) | instskip(NEXT) | instid1(VALU_DEP_2)
	v_cmp_ge_i32_e64 s8, v74, v15
	v_cmp_lt_i32_e64 s10, v75, v16
	s_or_b32 s8, s8, s9
	s_wait_alu 0xfffe
	s_and_b32 s8, s10, s8
	s_wait_alu 0xfffe
	s_xor_b32 s9, s8, -1
	s_wait_alu 0xfffe
	s_and_saveexec_b32 s10, s9
	s_wait_alu 0xfffe
	s_xor_b32 s9, exec_lo, s10
; %bb.27:                               ;   in Loop: Header=BB27_2 Depth=1
	v_lshlrev_b32_e32 v72, 2, v74
	ds_load_b32 v72, v72 offset:4
; %bb.28:                               ;   in Loop: Header=BB27_2 Depth=1
	s_wait_alu 0xfffe
	s_or_saveexec_b32 s9, s9
	v_mov_b32_e32 v73, v69
	s_wait_alu 0xfffe
	s_xor_b32 exec_lo, exec_lo, s9
	s_cbranch_execz .LBB27_30
; %bb.29:                               ;   in Loop: Header=BB27_2 Depth=1
	s_wait_dscnt 0x0
	v_lshlrev_b32_e32 v72, 2, v75
	ds_load_b32 v73, v72 offset:4
	v_mov_b32_e32 v72, v68
.LBB27_30:                              ;   in Loop: Header=BB27_2 Depth=1
	s_or_b32 exec_lo, exec_lo, s9
	v_add_nc_u32_e32 v76, 1, v74
	v_add_nc_u32_e32 v77, 1, v75
	s_wait_dscnt 0x0
	v_cmp_lt_i32_e64 s10, v73, v72
	s_delay_alu instid0(VALU_DEP_3) | instskip(NEXT) | instid1(VALU_DEP_3)
	v_cndmask_b32_e64 v78, v76, v74, s8
	v_cndmask_b32_e64 v77, v75, v77, s8
                                        ; implicit-def: $vgpr76
	s_delay_alu instid0(VALU_DEP_2) | instskip(NEXT) | instid1(VALU_DEP_2)
	v_cmp_ge_i32_e64 s9, v78, v15
	v_cmp_lt_i32_e64 s11, v77, v16
	s_or_b32 s9, s9, s10
	s_wait_alu 0xfffe
	s_and_b32 s9, s11, s9
	s_wait_alu 0xfffe
	s_xor_b32 s10, s9, -1
	s_wait_alu 0xfffe
	s_and_saveexec_b32 s11, s10
	s_wait_alu 0xfffe
	s_xor_b32 s10, exec_lo, s11
; %bb.31:                               ;   in Loop: Header=BB27_2 Depth=1
	v_lshlrev_b32_e32 v76, 2, v78
	ds_load_b32 v76, v76 offset:4
; %bb.32:                               ;   in Loop: Header=BB27_2 Depth=1
	s_wait_alu 0xfffe
	s_or_saveexec_b32 s10, s10
	v_mov_b32_e32 v79, v73
	s_wait_alu 0xfffe
	s_xor_b32 exec_lo, exec_lo, s10
	s_cbranch_execz .LBB27_34
; %bb.33:                               ;   in Loop: Header=BB27_2 Depth=1
	s_wait_dscnt 0x0
	v_lshlrev_b32_e32 v76, 2, v77
	ds_load_b32 v79, v76 offset:4
	v_mov_b32_e32 v76, v72
.LBB27_34:                              ;   in Loop: Header=BB27_2 Depth=1
	s_or_b32 exec_lo, exec_lo, s10
	v_add_nc_u32_e32 v80, 1, v78
	v_add_nc_u32_e32 v81, 1, v77
	v_cndmask_b32_e64 v74, v74, v75, s8
	v_cndmask_b32_e64 v70, v71, v70, s7
	s_wait_dscnt 0x0
	v_cmp_lt_i32_e64 s10, v79, v76
	v_cndmask_b32_e64 v75, v80, v78, s9
	v_cndmask_b32_e64 v71, v77, v81, s9
	;; [unrolled: 1-line block ×3, first 2 shown]
	s_wait_loadcnt 0x0
	s_barrier_signal -1
	v_cmp_ge_i32_e64 s11, v75, v15
	v_cmp_lt_i32_e64 s12, v71, v16
	s_barrier_wait -1
	global_inv scope:SCOPE_SE
	ds_store_2addr_b32 v1, v62, v63 offset1:1
	ds_store_2addr_b32 v1, v64, v65 offset0:2 offset1:3
	s_or_b32 s10, s11, s10
	v_lshlrev_b32_e32 v63, 2, v70
	s_wait_alu 0xfffe
	s_and_b32 s10, s12, s10
	v_lshlrev_b32_e32 v64, 2, v74
	s_wait_alu 0xfffe
	v_cndmask_b32_e64 v62, v75, v71, s10
	v_lshlrev_b32_e32 v65, 2, v82
	s_wait_loadcnt_dscnt 0x0
	s_barrier_signal -1
	s_barrier_wait -1
	v_lshlrev_b32_e32 v70, 2, v62
	global_inv scope:SCOPE_SE
	ds_load_b32 v62, v63
	ds_load_b32 v63, v64
	;; [unrolled: 1-line block ×4, first 2 shown]
	v_cndmask_b32_e64 v68, v68, v69, s8
	v_cndmask_b32_e64 v66, v66, v67, s7
	;; [unrolled: 1-line block ×4, first 2 shown]
	s_wait_loadcnt_dscnt 0x0
	s_barrier_signal -1
	s_barrier_wait -1
	global_inv scope:SCOPE_SE
	ds_store_2addr_b32 v1, v66, v68 offset1:1
	ds_store_2addr_b32 v1, v70, v76 offset0:2 offset1:3
	v_mov_b32_e32 v68, v56
	s_wait_loadcnt_dscnt 0x0
	s_barrier_signal -1
	s_barrier_wait -1
	global_inv scope:SCOPE_SE
	s_and_saveexec_b32 s8, s2
	s_cbranch_execz .LBB27_38
; %bb.35:                               ;   in Loop: Header=BB27_2 Depth=1
	v_mov_b32_e32 v68, v56
	v_mov_b32_e32 v66, v49
	s_mov_b32 s9, 0
.LBB27_36:                              ;   Parent Loop BB27_2 Depth=1
                                        ; =>  This Inner Loop Header: Depth=2
	s_delay_alu instid0(VALU_DEP_1) | instskip(NEXT) | instid1(VALU_DEP_1)
	v_sub_nc_u32_e32 v67, v66, v68
	v_lshrrev_b32_e32 v67, 1, v67
	s_delay_alu instid0(VALU_DEP_1) | instskip(NEXT) | instid1(VALU_DEP_1)
	v_add_nc_u32_e32 v67, v67, v68
	v_not_b32_e32 v69, v67
	v_lshl_add_u32 v70, v67, 2, v20
	v_add_nc_u32_e32 v71, 1, v67
	s_delay_alu instid0(VALU_DEP_3)
	v_lshl_add_u32 v69, v69, 2, v42
	ds_load_b32 v70, v70
	ds_load_b32 v69, v69
	s_wait_dscnt 0x0
	v_cmp_lt_i32_e64 s7, v69, v70
	s_wait_alu 0xf1ff
	s_delay_alu instid0(VALU_DEP_1) | instskip(SKIP_1) | instid1(VALU_DEP_1)
	v_cndmask_b32_e64 v66, v66, v67, s7
	v_cndmask_b32_e64 v68, v71, v68, s7
	v_cmp_ge_i32_e64 s7, v68, v66
	s_wait_alu 0xfffe
	s_or_b32 s9, s7, s9
	s_wait_alu 0xfffe
	s_and_not1_b32 exec_lo, exec_lo, s9
	s_cbranch_execnz .LBB27_36
; %bb.37:                               ;   in Loop: Header=BB27_2 Depth=1
	s_or_b32 exec_lo, exec_lo, s9
.LBB27_38:                              ;   in Loop: Header=BB27_2 Depth=1
	s_wait_alu 0xfffe
	s_or_b32 exec_lo, exec_lo, s8
	v_sub_nc_u32_e32 v70, v35, v68
	v_lshl_add_u32 v69, v68, 2, v20
	v_add_nc_u32_e32 v71, v68, v4
                                        ; implicit-def: $vgpr68
	s_delay_alu instid0(VALU_DEP_3) | instskip(SKIP_1) | instid1(VALU_DEP_3)
	v_lshlrev_b32_e32 v72, 2, v70
	v_cmp_gt_i32_e64 s9, v19, v70
	v_cmp_le_i32_e64 s7, v18, v71
	ds_load_b32 v66, v69
	ds_load_b32 v67, v72
	s_wait_dscnt 0x0
	v_cmp_lt_i32_e64 s8, v67, v66
	s_or_b32 s7, s7, s8
	s_wait_alu 0xfffe
	s_and_b32 s7, s9, s7
	s_wait_alu 0xfffe
	s_xor_b32 s8, s7, -1
	s_wait_alu 0xfffe
	s_and_saveexec_b32 s9, s8
	s_wait_alu 0xfffe
	s_xor_b32 s8, exec_lo, s9
; %bb.39:                               ;   in Loop: Header=BB27_2 Depth=1
	ds_load_b32 v68, v69 offset:4
                                        ; implicit-def: $vgpr72
; %bb.40:                               ;   in Loop: Header=BB27_2 Depth=1
	s_wait_alu 0xfffe
	s_or_saveexec_b32 s8, s8
	v_mov_b32_e32 v69, v67
	s_wait_alu 0xfffe
	s_xor_b32 exec_lo, exec_lo, s8
	s_cbranch_execz .LBB27_42
; %bb.41:                               ;   in Loop: Header=BB27_2 Depth=1
	ds_load_b32 v69, v72 offset:4
	s_wait_dscnt 0x1
	v_mov_b32_e32 v68, v66
.LBB27_42:                              ;   in Loop: Header=BB27_2 Depth=1
	s_or_b32 exec_lo, exec_lo, s8
	v_add_nc_u32_e32 v72, 1, v71
	v_add_nc_u32_e32 v73, 1, v70
	s_wait_dscnt 0x0
	v_cmp_lt_i32_e64 s9, v69, v68
	s_delay_alu instid0(VALU_DEP_3) | instskip(NEXT) | instid1(VALU_DEP_3)
	v_cndmask_b32_e64 v74, v72, v71, s7
	v_cndmask_b32_e64 v75, v70, v73, s7
                                        ; implicit-def: $vgpr72
	s_delay_alu instid0(VALU_DEP_2) | instskip(NEXT) | instid1(VALU_DEP_2)
	v_cmp_ge_i32_e64 s8, v74, v18
	v_cmp_lt_i32_e64 s10, v75, v19
	s_or_b32 s8, s8, s9
	s_wait_alu 0xfffe
	s_and_b32 s8, s10, s8
	s_wait_alu 0xfffe
	s_xor_b32 s9, s8, -1
	s_wait_alu 0xfffe
	s_and_saveexec_b32 s10, s9
	s_wait_alu 0xfffe
	s_xor_b32 s9, exec_lo, s10
; %bb.43:                               ;   in Loop: Header=BB27_2 Depth=1
	v_lshlrev_b32_e32 v72, 2, v74
	ds_load_b32 v72, v72 offset:4
; %bb.44:                               ;   in Loop: Header=BB27_2 Depth=1
	s_wait_alu 0xfffe
	s_or_saveexec_b32 s9, s9
	v_mov_b32_e32 v73, v69
	s_wait_alu 0xfffe
	s_xor_b32 exec_lo, exec_lo, s9
	s_cbranch_execz .LBB27_46
; %bb.45:                               ;   in Loop: Header=BB27_2 Depth=1
	s_wait_dscnt 0x0
	v_lshlrev_b32_e32 v72, 2, v75
	ds_load_b32 v73, v72 offset:4
	v_mov_b32_e32 v72, v68
.LBB27_46:                              ;   in Loop: Header=BB27_2 Depth=1
	s_or_b32 exec_lo, exec_lo, s9
	v_add_nc_u32_e32 v76, 1, v74
	v_add_nc_u32_e32 v77, 1, v75
	s_wait_dscnt 0x0
	v_cmp_lt_i32_e64 s10, v73, v72
	s_delay_alu instid0(VALU_DEP_3) | instskip(NEXT) | instid1(VALU_DEP_3)
	v_cndmask_b32_e64 v78, v76, v74, s8
	v_cndmask_b32_e64 v77, v75, v77, s8
                                        ; implicit-def: $vgpr76
	s_delay_alu instid0(VALU_DEP_2) | instskip(NEXT) | instid1(VALU_DEP_2)
	v_cmp_ge_i32_e64 s9, v78, v18
	v_cmp_lt_i32_e64 s11, v77, v19
	s_or_b32 s9, s9, s10
	s_wait_alu 0xfffe
	s_and_b32 s9, s11, s9
	s_wait_alu 0xfffe
	s_xor_b32 s10, s9, -1
	s_wait_alu 0xfffe
	s_and_saveexec_b32 s11, s10
	s_wait_alu 0xfffe
	s_xor_b32 s10, exec_lo, s11
; %bb.47:                               ;   in Loop: Header=BB27_2 Depth=1
	v_lshlrev_b32_e32 v76, 2, v78
	ds_load_b32 v76, v76 offset:4
; %bb.48:                               ;   in Loop: Header=BB27_2 Depth=1
	s_wait_alu 0xfffe
	s_or_saveexec_b32 s10, s10
	v_mov_b32_e32 v79, v73
	s_wait_alu 0xfffe
	s_xor_b32 exec_lo, exec_lo, s10
	s_cbranch_execz .LBB27_50
; %bb.49:                               ;   in Loop: Header=BB27_2 Depth=1
	s_wait_dscnt 0x0
	v_lshlrev_b32_e32 v76, 2, v77
	ds_load_b32 v79, v76 offset:4
	v_mov_b32_e32 v76, v72
.LBB27_50:                              ;   in Loop: Header=BB27_2 Depth=1
	s_or_b32 exec_lo, exec_lo, s10
	v_add_nc_u32_e32 v80, 1, v78
	v_add_nc_u32_e32 v81, 1, v77
	v_cndmask_b32_e64 v74, v74, v75, s8
	v_cndmask_b32_e64 v70, v71, v70, s7
	s_wait_dscnt 0x0
	v_cmp_lt_i32_e64 s10, v79, v76
	v_cndmask_b32_e64 v75, v80, v78, s9
	v_cndmask_b32_e64 v71, v77, v81, s9
	;; [unrolled: 1-line block ×3, first 2 shown]
	s_wait_loadcnt 0x0
	s_barrier_signal -1
	v_cmp_ge_i32_e64 s11, v75, v18
	v_cmp_lt_i32_e64 s12, v71, v19
	s_barrier_wait -1
	global_inv scope:SCOPE_SE
	ds_store_2addr_b32 v1, v62, v63 offset1:1
	ds_store_2addr_b32 v1, v64, v65 offset0:2 offset1:3
	s_or_b32 s10, s11, s10
	v_lshlrev_b32_e32 v63, 2, v70
	s_wait_alu 0xfffe
	s_and_b32 s10, s12, s10
	v_lshlrev_b32_e32 v64, 2, v74
	s_wait_alu 0xfffe
	v_cndmask_b32_e64 v62, v75, v71, s10
	v_lshlrev_b32_e32 v65, 2, v82
	s_wait_loadcnt_dscnt 0x0
	s_barrier_signal -1
	s_barrier_wait -1
	v_lshlrev_b32_e32 v70, 2, v62
	global_inv scope:SCOPE_SE
	ds_load_b32 v62, v63
	ds_load_b32 v63, v64
	ds_load_b32 v64, v65
	ds_load_b32 v65, v70
	v_cndmask_b32_e64 v68, v68, v69, s8
	v_cndmask_b32_e64 v66, v66, v67, s7
	;; [unrolled: 1-line block ×4, first 2 shown]
	s_wait_loadcnt_dscnt 0x0
	s_barrier_signal -1
	s_barrier_wait -1
	global_inv scope:SCOPE_SE
	ds_store_2addr_b32 v1, v66, v68 offset1:1
	ds_store_2addr_b32 v1, v70, v76 offset0:2 offset1:3
	v_mov_b32_e32 v68, v57
	s_wait_loadcnt_dscnt 0x0
	s_barrier_signal -1
	s_barrier_wait -1
	global_inv scope:SCOPE_SE
	s_and_saveexec_b32 s8, s3
	s_cbranch_execz .LBB27_54
; %bb.51:                               ;   in Loop: Header=BB27_2 Depth=1
	v_mov_b32_e32 v68, v57
	v_mov_b32_e32 v66, v50
	s_mov_b32 s9, 0
.LBB27_52:                              ;   Parent Loop BB27_2 Depth=1
                                        ; =>  This Inner Loop Header: Depth=2
	s_delay_alu instid0(VALU_DEP_1) | instskip(NEXT) | instid1(VALU_DEP_1)
	v_sub_nc_u32_e32 v67, v66, v68
	v_lshrrev_b32_e32 v67, 1, v67
	s_delay_alu instid0(VALU_DEP_1) | instskip(NEXT) | instid1(VALU_DEP_1)
	v_add_nc_u32_e32 v67, v67, v68
	v_not_b32_e32 v69, v67
	v_lshl_add_u32 v70, v67, 2, v23
	v_add_nc_u32_e32 v71, 1, v67
	s_delay_alu instid0(VALU_DEP_3)
	v_lshl_add_u32 v69, v69, 2, v43
	ds_load_b32 v70, v70
	ds_load_b32 v69, v69
	s_wait_dscnt 0x0
	v_cmp_lt_i32_e64 s7, v69, v70
	s_wait_alu 0xf1ff
	s_delay_alu instid0(VALU_DEP_1) | instskip(SKIP_1) | instid1(VALU_DEP_1)
	v_cndmask_b32_e64 v66, v66, v67, s7
	v_cndmask_b32_e64 v68, v71, v68, s7
	v_cmp_ge_i32_e64 s7, v68, v66
	s_wait_alu 0xfffe
	s_or_b32 s9, s7, s9
	s_wait_alu 0xfffe
	s_and_not1_b32 exec_lo, exec_lo, s9
	s_cbranch_execnz .LBB27_52
; %bb.53:                               ;   in Loop: Header=BB27_2 Depth=1
	s_or_b32 exec_lo, exec_lo, s9
.LBB27_54:                              ;   in Loop: Header=BB27_2 Depth=1
	s_wait_alu 0xfffe
	s_or_b32 exec_lo, exec_lo, s8
	v_sub_nc_u32_e32 v70, v36, v68
	v_lshl_add_u32 v69, v68, 2, v23
	v_add_nc_u32_e32 v71, v68, v5
                                        ; implicit-def: $vgpr68
	s_delay_alu instid0(VALU_DEP_3) | instskip(SKIP_1) | instid1(VALU_DEP_3)
	v_lshlrev_b32_e32 v72, 2, v70
	v_cmp_gt_i32_e64 s9, v22, v70
	v_cmp_le_i32_e64 s7, v21, v71
	ds_load_b32 v66, v69
	ds_load_b32 v67, v72
	s_wait_dscnt 0x0
	v_cmp_lt_i32_e64 s8, v67, v66
	s_or_b32 s7, s7, s8
	s_wait_alu 0xfffe
	s_and_b32 s7, s9, s7
	s_wait_alu 0xfffe
	s_xor_b32 s8, s7, -1
	s_wait_alu 0xfffe
	s_and_saveexec_b32 s9, s8
	s_wait_alu 0xfffe
	s_xor_b32 s8, exec_lo, s9
; %bb.55:                               ;   in Loop: Header=BB27_2 Depth=1
	ds_load_b32 v68, v69 offset:4
                                        ; implicit-def: $vgpr72
; %bb.56:                               ;   in Loop: Header=BB27_2 Depth=1
	s_wait_alu 0xfffe
	s_or_saveexec_b32 s8, s8
	v_mov_b32_e32 v69, v67
	s_wait_alu 0xfffe
	s_xor_b32 exec_lo, exec_lo, s8
	s_cbranch_execz .LBB27_58
; %bb.57:                               ;   in Loop: Header=BB27_2 Depth=1
	ds_load_b32 v69, v72 offset:4
	s_wait_dscnt 0x1
	v_mov_b32_e32 v68, v66
.LBB27_58:                              ;   in Loop: Header=BB27_2 Depth=1
	s_or_b32 exec_lo, exec_lo, s8
	v_add_nc_u32_e32 v72, 1, v71
	v_add_nc_u32_e32 v73, 1, v70
	s_wait_dscnt 0x0
	v_cmp_lt_i32_e64 s9, v69, v68
	s_delay_alu instid0(VALU_DEP_3) | instskip(NEXT) | instid1(VALU_DEP_3)
	v_cndmask_b32_e64 v74, v72, v71, s7
	v_cndmask_b32_e64 v75, v70, v73, s7
                                        ; implicit-def: $vgpr72
	s_delay_alu instid0(VALU_DEP_2) | instskip(NEXT) | instid1(VALU_DEP_2)
	v_cmp_ge_i32_e64 s8, v74, v21
	v_cmp_lt_i32_e64 s10, v75, v22
	s_or_b32 s8, s8, s9
	s_wait_alu 0xfffe
	s_and_b32 s8, s10, s8
	s_wait_alu 0xfffe
	s_xor_b32 s9, s8, -1
	s_wait_alu 0xfffe
	s_and_saveexec_b32 s10, s9
	s_wait_alu 0xfffe
	s_xor_b32 s9, exec_lo, s10
; %bb.59:                               ;   in Loop: Header=BB27_2 Depth=1
	v_lshlrev_b32_e32 v72, 2, v74
	ds_load_b32 v72, v72 offset:4
; %bb.60:                               ;   in Loop: Header=BB27_2 Depth=1
	s_wait_alu 0xfffe
	s_or_saveexec_b32 s9, s9
	v_mov_b32_e32 v73, v69
	s_wait_alu 0xfffe
	s_xor_b32 exec_lo, exec_lo, s9
	s_cbranch_execz .LBB27_62
; %bb.61:                               ;   in Loop: Header=BB27_2 Depth=1
	s_wait_dscnt 0x0
	v_lshlrev_b32_e32 v72, 2, v75
	ds_load_b32 v73, v72 offset:4
	v_mov_b32_e32 v72, v68
.LBB27_62:                              ;   in Loop: Header=BB27_2 Depth=1
	s_or_b32 exec_lo, exec_lo, s9
	v_add_nc_u32_e32 v76, 1, v74
	v_add_nc_u32_e32 v77, 1, v75
	s_wait_dscnt 0x0
	v_cmp_lt_i32_e64 s10, v73, v72
	s_delay_alu instid0(VALU_DEP_3) | instskip(NEXT) | instid1(VALU_DEP_3)
	v_cndmask_b32_e64 v78, v76, v74, s8
	v_cndmask_b32_e64 v77, v75, v77, s8
                                        ; implicit-def: $vgpr76
	s_delay_alu instid0(VALU_DEP_2) | instskip(NEXT) | instid1(VALU_DEP_2)
	v_cmp_ge_i32_e64 s9, v78, v21
	v_cmp_lt_i32_e64 s11, v77, v22
	s_or_b32 s9, s9, s10
	s_wait_alu 0xfffe
	s_and_b32 s9, s11, s9
	s_wait_alu 0xfffe
	s_xor_b32 s10, s9, -1
	s_wait_alu 0xfffe
	s_and_saveexec_b32 s11, s10
	s_wait_alu 0xfffe
	s_xor_b32 s10, exec_lo, s11
; %bb.63:                               ;   in Loop: Header=BB27_2 Depth=1
	v_lshlrev_b32_e32 v76, 2, v78
	ds_load_b32 v76, v76 offset:4
; %bb.64:                               ;   in Loop: Header=BB27_2 Depth=1
	s_wait_alu 0xfffe
	s_or_saveexec_b32 s10, s10
	v_mov_b32_e32 v79, v73
	s_wait_alu 0xfffe
	s_xor_b32 exec_lo, exec_lo, s10
	s_cbranch_execz .LBB27_66
; %bb.65:                               ;   in Loop: Header=BB27_2 Depth=1
	s_wait_dscnt 0x0
	v_lshlrev_b32_e32 v76, 2, v77
	ds_load_b32 v79, v76 offset:4
	v_mov_b32_e32 v76, v72
.LBB27_66:                              ;   in Loop: Header=BB27_2 Depth=1
	s_or_b32 exec_lo, exec_lo, s10
	v_add_nc_u32_e32 v80, 1, v78
	v_add_nc_u32_e32 v81, 1, v77
	v_cndmask_b32_e64 v74, v74, v75, s8
	v_cndmask_b32_e64 v70, v71, v70, s7
	s_wait_dscnt 0x0
	v_cmp_lt_i32_e64 s10, v79, v76
	v_cndmask_b32_e64 v75, v80, v78, s9
	v_cndmask_b32_e64 v71, v77, v81, s9
	;; [unrolled: 1-line block ×3, first 2 shown]
	s_wait_loadcnt 0x0
	s_barrier_signal -1
	v_cmp_ge_i32_e64 s11, v75, v21
	v_cmp_lt_i32_e64 s12, v71, v22
	s_barrier_wait -1
	global_inv scope:SCOPE_SE
	ds_store_2addr_b32 v1, v62, v63 offset1:1
	ds_store_2addr_b32 v1, v64, v65 offset0:2 offset1:3
	s_or_b32 s10, s11, s10
	v_lshlrev_b32_e32 v63, 2, v70
	s_wait_alu 0xfffe
	s_and_b32 s10, s12, s10
	v_lshlrev_b32_e32 v64, 2, v74
	s_wait_alu 0xfffe
	v_cndmask_b32_e64 v62, v75, v71, s10
	v_lshlrev_b32_e32 v65, 2, v82
	s_wait_loadcnt_dscnt 0x0
	s_barrier_signal -1
	s_barrier_wait -1
	v_lshlrev_b32_e32 v70, 2, v62
	global_inv scope:SCOPE_SE
	ds_load_b32 v62, v63
	ds_load_b32 v63, v64
	;; [unrolled: 1-line block ×4, first 2 shown]
	v_cndmask_b32_e64 v68, v68, v69, s8
	v_cndmask_b32_e64 v66, v66, v67, s7
	;; [unrolled: 1-line block ×4, first 2 shown]
	s_wait_loadcnt_dscnt 0x0
	s_barrier_signal -1
	s_barrier_wait -1
	global_inv scope:SCOPE_SE
	ds_store_2addr_b32 v1, v66, v68 offset1:1
	ds_store_2addr_b32 v1, v70, v76 offset0:2 offset1:3
	v_mov_b32_e32 v68, v58
	s_wait_loadcnt_dscnt 0x0
	s_barrier_signal -1
	s_barrier_wait -1
	global_inv scope:SCOPE_SE
	s_and_saveexec_b32 s8, s4
	s_cbranch_execz .LBB27_70
; %bb.67:                               ;   in Loop: Header=BB27_2 Depth=1
	v_mov_b32_e32 v68, v58
	v_mov_b32_e32 v66, v51
	s_mov_b32 s9, 0
.LBB27_68:                              ;   Parent Loop BB27_2 Depth=1
                                        ; =>  This Inner Loop Header: Depth=2
	s_delay_alu instid0(VALU_DEP_1) | instskip(NEXT) | instid1(VALU_DEP_1)
	v_sub_nc_u32_e32 v67, v66, v68
	v_lshrrev_b32_e32 v67, 1, v67
	s_delay_alu instid0(VALU_DEP_1) | instskip(NEXT) | instid1(VALU_DEP_1)
	v_add_nc_u32_e32 v67, v67, v68
	v_not_b32_e32 v69, v67
	v_lshl_add_u32 v70, v67, 2, v26
	v_add_nc_u32_e32 v71, 1, v67
	s_delay_alu instid0(VALU_DEP_3)
	v_lshl_add_u32 v69, v69, 2, v44
	ds_load_b32 v70, v70
	ds_load_b32 v69, v69
	s_wait_dscnt 0x0
	v_cmp_lt_i32_e64 s7, v69, v70
	s_wait_alu 0xf1ff
	s_delay_alu instid0(VALU_DEP_1) | instskip(SKIP_1) | instid1(VALU_DEP_1)
	v_cndmask_b32_e64 v66, v66, v67, s7
	v_cndmask_b32_e64 v68, v71, v68, s7
	v_cmp_ge_i32_e64 s7, v68, v66
	s_wait_alu 0xfffe
	s_or_b32 s9, s7, s9
	s_wait_alu 0xfffe
	s_and_not1_b32 exec_lo, exec_lo, s9
	s_cbranch_execnz .LBB27_68
; %bb.69:                               ;   in Loop: Header=BB27_2 Depth=1
	s_or_b32 exec_lo, exec_lo, s9
.LBB27_70:                              ;   in Loop: Header=BB27_2 Depth=1
	s_wait_alu 0xfffe
	s_or_b32 exec_lo, exec_lo, s8
	v_sub_nc_u32_e32 v70, v37, v68
	v_lshl_add_u32 v69, v68, 2, v26
	v_add_nc_u32_e32 v71, v68, v6
                                        ; implicit-def: $vgpr68
	s_delay_alu instid0(VALU_DEP_3) | instskip(SKIP_1) | instid1(VALU_DEP_3)
	v_lshlrev_b32_e32 v72, 2, v70
	v_cmp_gt_i32_e64 s9, v25, v70
	v_cmp_le_i32_e64 s7, v24, v71
	ds_load_b32 v66, v69
	ds_load_b32 v67, v72
	s_wait_dscnt 0x0
	v_cmp_lt_i32_e64 s8, v67, v66
	s_or_b32 s7, s7, s8
	s_wait_alu 0xfffe
	s_and_b32 s7, s9, s7
	s_wait_alu 0xfffe
	s_xor_b32 s8, s7, -1
	s_wait_alu 0xfffe
	s_and_saveexec_b32 s9, s8
	s_wait_alu 0xfffe
	s_xor_b32 s8, exec_lo, s9
; %bb.71:                               ;   in Loop: Header=BB27_2 Depth=1
	ds_load_b32 v68, v69 offset:4
                                        ; implicit-def: $vgpr72
; %bb.72:                               ;   in Loop: Header=BB27_2 Depth=1
	s_wait_alu 0xfffe
	s_or_saveexec_b32 s8, s8
	v_mov_b32_e32 v69, v67
	s_wait_alu 0xfffe
	s_xor_b32 exec_lo, exec_lo, s8
	s_cbranch_execz .LBB27_74
; %bb.73:                               ;   in Loop: Header=BB27_2 Depth=1
	ds_load_b32 v69, v72 offset:4
	s_wait_dscnt 0x1
	v_mov_b32_e32 v68, v66
.LBB27_74:                              ;   in Loop: Header=BB27_2 Depth=1
	s_or_b32 exec_lo, exec_lo, s8
	v_add_nc_u32_e32 v72, 1, v71
	v_add_nc_u32_e32 v73, 1, v70
	s_wait_dscnt 0x0
	v_cmp_lt_i32_e64 s9, v69, v68
	s_delay_alu instid0(VALU_DEP_3) | instskip(NEXT) | instid1(VALU_DEP_3)
	v_cndmask_b32_e64 v74, v72, v71, s7
	v_cndmask_b32_e64 v75, v70, v73, s7
                                        ; implicit-def: $vgpr72
	s_delay_alu instid0(VALU_DEP_2) | instskip(NEXT) | instid1(VALU_DEP_2)
	v_cmp_ge_i32_e64 s8, v74, v24
	v_cmp_lt_i32_e64 s10, v75, v25
	s_or_b32 s8, s8, s9
	s_wait_alu 0xfffe
	s_and_b32 s8, s10, s8
	s_wait_alu 0xfffe
	s_xor_b32 s9, s8, -1
	s_wait_alu 0xfffe
	s_and_saveexec_b32 s10, s9
	s_wait_alu 0xfffe
	s_xor_b32 s9, exec_lo, s10
; %bb.75:                               ;   in Loop: Header=BB27_2 Depth=1
	v_lshlrev_b32_e32 v72, 2, v74
	ds_load_b32 v72, v72 offset:4
; %bb.76:                               ;   in Loop: Header=BB27_2 Depth=1
	s_wait_alu 0xfffe
	s_or_saveexec_b32 s9, s9
	v_mov_b32_e32 v73, v69
	s_wait_alu 0xfffe
	s_xor_b32 exec_lo, exec_lo, s9
	s_cbranch_execz .LBB27_78
; %bb.77:                               ;   in Loop: Header=BB27_2 Depth=1
	s_wait_dscnt 0x0
	v_lshlrev_b32_e32 v72, 2, v75
	ds_load_b32 v73, v72 offset:4
	v_mov_b32_e32 v72, v68
.LBB27_78:                              ;   in Loop: Header=BB27_2 Depth=1
	s_or_b32 exec_lo, exec_lo, s9
	v_add_nc_u32_e32 v76, 1, v74
	v_add_nc_u32_e32 v77, 1, v75
	s_wait_dscnt 0x0
	v_cmp_lt_i32_e64 s10, v73, v72
	s_delay_alu instid0(VALU_DEP_3) | instskip(NEXT) | instid1(VALU_DEP_3)
	v_cndmask_b32_e64 v78, v76, v74, s8
	v_cndmask_b32_e64 v77, v75, v77, s8
                                        ; implicit-def: $vgpr76
	s_delay_alu instid0(VALU_DEP_2) | instskip(NEXT) | instid1(VALU_DEP_2)
	v_cmp_ge_i32_e64 s9, v78, v24
	v_cmp_lt_i32_e64 s11, v77, v25
	s_or_b32 s9, s9, s10
	s_wait_alu 0xfffe
	s_and_b32 s9, s11, s9
	s_wait_alu 0xfffe
	s_xor_b32 s10, s9, -1
	s_wait_alu 0xfffe
	s_and_saveexec_b32 s11, s10
	s_wait_alu 0xfffe
	s_xor_b32 s10, exec_lo, s11
; %bb.79:                               ;   in Loop: Header=BB27_2 Depth=1
	v_lshlrev_b32_e32 v76, 2, v78
	ds_load_b32 v76, v76 offset:4
; %bb.80:                               ;   in Loop: Header=BB27_2 Depth=1
	s_wait_alu 0xfffe
	s_or_saveexec_b32 s10, s10
	v_mov_b32_e32 v79, v73
	s_wait_alu 0xfffe
	s_xor_b32 exec_lo, exec_lo, s10
	s_cbranch_execz .LBB27_82
; %bb.81:                               ;   in Loop: Header=BB27_2 Depth=1
	s_wait_dscnt 0x0
	v_lshlrev_b32_e32 v76, 2, v77
	ds_load_b32 v79, v76 offset:4
	v_mov_b32_e32 v76, v72
.LBB27_82:                              ;   in Loop: Header=BB27_2 Depth=1
	s_or_b32 exec_lo, exec_lo, s10
	v_add_nc_u32_e32 v80, 1, v78
	v_add_nc_u32_e32 v81, 1, v77
	v_cndmask_b32_e64 v74, v74, v75, s8
	v_cndmask_b32_e64 v70, v71, v70, s7
	s_wait_dscnt 0x0
	v_cmp_lt_i32_e64 s10, v79, v76
	v_cndmask_b32_e64 v75, v80, v78, s9
	v_cndmask_b32_e64 v71, v77, v81, s9
	;; [unrolled: 1-line block ×3, first 2 shown]
	s_wait_loadcnt 0x0
	s_barrier_signal -1
	v_cmp_ge_i32_e64 s11, v75, v24
	v_cmp_lt_i32_e64 s12, v71, v25
	s_barrier_wait -1
	global_inv scope:SCOPE_SE
	ds_store_2addr_b32 v1, v62, v63 offset1:1
	ds_store_2addr_b32 v1, v64, v65 offset0:2 offset1:3
	s_or_b32 s10, s11, s10
	v_lshlrev_b32_e32 v63, 2, v70
	s_wait_alu 0xfffe
	s_and_b32 s10, s12, s10
	v_lshlrev_b32_e32 v64, 2, v74
	s_wait_alu 0xfffe
	v_cndmask_b32_e64 v62, v75, v71, s10
	v_lshlrev_b32_e32 v65, 2, v82
	s_wait_loadcnt_dscnt 0x0
	s_barrier_signal -1
	s_barrier_wait -1
	v_lshlrev_b32_e32 v70, 2, v62
	global_inv scope:SCOPE_SE
	ds_load_b32 v62, v63
	ds_load_b32 v63, v64
	;; [unrolled: 1-line block ×4, first 2 shown]
	v_cndmask_b32_e64 v68, v68, v69, s8
	v_cndmask_b32_e64 v66, v66, v67, s7
	;; [unrolled: 1-line block ×4, first 2 shown]
	s_wait_loadcnt_dscnt 0x0
	s_barrier_signal -1
	s_barrier_wait -1
	global_inv scope:SCOPE_SE
	ds_store_2addr_b32 v1, v66, v68 offset1:1
	ds_store_2addr_b32 v1, v70, v76 offset0:2 offset1:3
	v_mov_b32_e32 v68, v59
	s_wait_loadcnt_dscnt 0x0
	s_barrier_signal -1
	s_barrier_wait -1
	global_inv scope:SCOPE_SE
	s_and_saveexec_b32 s8, s5
	s_cbranch_execz .LBB27_86
; %bb.83:                               ;   in Loop: Header=BB27_2 Depth=1
	v_mov_b32_e32 v68, v59
	v_mov_b32_e32 v66, v52
	s_mov_b32 s9, 0
.LBB27_84:                              ;   Parent Loop BB27_2 Depth=1
                                        ; =>  This Inner Loop Header: Depth=2
	s_delay_alu instid0(VALU_DEP_1) | instskip(NEXT) | instid1(VALU_DEP_1)
	v_sub_nc_u32_e32 v67, v66, v68
	v_lshrrev_b32_e32 v67, 1, v67
	s_delay_alu instid0(VALU_DEP_1) | instskip(NEXT) | instid1(VALU_DEP_1)
	v_add_nc_u32_e32 v67, v67, v68
	v_not_b32_e32 v69, v67
	v_lshl_add_u32 v70, v67, 2, v29
	v_add_nc_u32_e32 v71, 1, v67
	s_delay_alu instid0(VALU_DEP_3)
	v_lshl_add_u32 v69, v69, 2, v45
	ds_load_b32 v70, v70
	ds_load_b32 v69, v69
	s_wait_dscnt 0x0
	v_cmp_lt_i32_e64 s7, v69, v70
	s_wait_alu 0xf1ff
	s_delay_alu instid0(VALU_DEP_1) | instskip(SKIP_1) | instid1(VALU_DEP_1)
	v_cndmask_b32_e64 v66, v66, v67, s7
	v_cndmask_b32_e64 v68, v71, v68, s7
	v_cmp_ge_i32_e64 s7, v68, v66
	s_wait_alu 0xfffe
	s_or_b32 s9, s7, s9
	s_wait_alu 0xfffe
	s_and_not1_b32 exec_lo, exec_lo, s9
	s_cbranch_execnz .LBB27_84
; %bb.85:                               ;   in Loop: Header=BB27_2 Depth=1
	s_or_b32 exec_lo, exec_lo, s9
.LBB27_86:                              ;   in Loop: Header=BB27_2 Depth=1
	s_wait_alu 0xfffe
	s_or_b32 exec_lo, exec_lo, s8
	v_sub_nc_u32_e32 v70, v38, v68
	v_lshl_add_u32 v69, v68, 2, v29
	v_add_nc_u32_e32 v71, v68, v7
                                        ; implicit-def: $vgpr68
	s_delay_alu instid0(VALU_DEP_3) | instskip(SKIP_1) | instid1(VALU_DEP_3)
	v_lshlrev_b32_e32 v72, 2, v70
	v_cmp_gt_i32_e64 s9, v28, v70
	v_cmp_le_i32_e64 s7, v27, v71
	ds_load_b32 v66, v69
	ds_load_b32 v67, v72
	s_wait_dscnt 0x0
	v_cmp_lt_i32_e64 s8, v67, v66
	s_or_b32 s7, s7, s8
	s_wait_alu 0xfffe
	s_and_b32 s7, s9, s7
	s_wait_alu 0xfffe
	s_xor_b32 s8, s7, -1
	s_wait_alu 0xfffe
	s_and_saveexec_b32 s9, s8
	s_wait_alu 0xfffe
	s_xor_b32 s8, exec_lo, s9
; %bb.87:                               ;   in Loop: Header=BB27_2 Depth=1
	ds_load_b32 v68, v69 offset:4
                                        ; implicit-def: $vgpr72
; %bb.88:                               ;   in Loop: Header=BB27_2 Depth=1
	s_wait_alu 0xfffe
	s_or_saveexec_b32 s8, s8
	v_mov_b32_e32 v69, v67
	s_wait_alu 0xfffe
	s_xor_b32 exec_lo, exec_lo, s8
	s_cbranch_execz .LBB27_90
; %bb.89:                               ;   in Loop: Header=BB27_2 Depth=1
	ds_load_b32 v69, v72 offset:4
	s_wait_dscnt 0x1
	v_mov_b32_e32 v68, v66
.LBB27_90:                              ;   in Loop: Header=BB27_2 Depth=1
	s_or_b32 exec_lo, exec_lo, s8
	v_add_nc_u32_e32 v72, 1, v71
	v_add_nc_u32_e32 v73, 1, v70
	s_wait_dscnt 0x0
	v_cmp_lt_i32_e64 s9, v69, v68
	s_delay_alu instid0(VALU_DEP_3) | instskip(NEXT) | instid1(VALU_DEP_3)
	v_cndmask_b32_e64 v74, v72, v71, s7
	v_cndmask_b32_e64 v75, v70, v73, s7
                                        ; implicit-def: $vgpr72
	s_delay_alu instid0(VALU_DEP_2) | instskip(NEXT) | instid1(VALU_DEP_2)
	v_cmp_ge_i32_e64 s8, v74, v27
	v_cmp_lt_i32_e64 s10, v75, v28
	s_or_b32 s8, s8, s9
	s_wait_alu 0xfffe
	s_and_b32 s8, s10, s8
	s_wait_alu 0xfffe
	s_xor_b32 s9, s8, -1
	s_wait_alu 0xfffe
	s_and_saveexec_b32 s10, s9
	s_wait_alu 0xfffe
	s_xor_b32 s9, exec_lo, s10
; %bb.91:                               ;   in Loop: Header=BB27_2 Depth=1
	v_lshlrev_b32_e32 v72, 2, v74
	ds_load_b32 v72, v72 offset:4
; %bb.92:                               ;   in Loop: Header=BB27_2 Depth=1
	s_wait_alu 0xfffe
	s_or_saveexec_b32 s9, s9
	v_mov_b32_e32 v73, v69
	s_wait_alu 0xfffe
	s_xor_b32 exec_lo, exec_lo, s9
	s_cbranch_execz .LBB27_94
; %bb.93:                               ;   in Loop: Header=BB27_2 Depth=1
	s_wait_dscnt 0x0
	v_lshlrev_b32_e32 v72, 2, v75
	ds_load_b32 v73, v72 offset:4
	v_mov_b32_e32 v72, v68
.LBB27_94:                              ;   in Loop: Header=BB27_2 Depth=1
	s_or_b32 exec_lo, exec_lo, s9
	v_add_nc_u32_e32 v76, 1, v74
	v_add_nc_u32_e32 v77, 1, v75
	s_wait_dscnt 0x0
	v_cmp_lt_i32_e64 s10, v73, v72
	s_delay_alu instid0(VALU_DEP_3) | instskip(NEXT) | instid1(VALU_DEP_3)
	v_cndmask_b32_e64 v78, v76, v74, s8
	v_cndmask_b32_e64 v77, v75, v77, s8
                                        ; implicit-def: $vgpr76
	s_delay_alu instid0(VALU_DEP_2) | instskip(NEXT) | instid1(VALU_DEP_2)
	v_cmp_ge_i32_e64 s9, v78, v27
	v_cmp_lt_i32_e64 s11, v77, v28
	s_or_b32 s9, s9, s10
	s_wait_alu 0xfffe
	s_and_b32 s9, s11, s9
	s_wait_alu 0xfffe
	s_xor_b32 s10, s9, -1
	s_wait_alu 0xfffe
	s_and_saveexec_b32 s11, s10
	s_wait_alu 0xfffe
	s_xor_b32 s10, exec_lo, s11
; %bb.95:                               ;   in Loop: Header=BB27_2 Depth=1
	v_lshlrev_b32_e32 v76, 2, v78
	ds_load_b32 v76, v76 offset:4
; %bb.96:                               ;   in Loop: Header=BB27_2 Depth=1
	s_wait_alu 0xfffe
	s_or_saveexec_b32 s10, s10
	v_mov_b32_e32 v79, v73
	s_wait_alu 0xfffe
	s_xor_b32 exec_lo, exec_lo, s10
	s_cbranch_execz .LBB27_98
; %bb.97:                               ;   in Loop: Header=BB27_2 Depth=1
	s_wait_dscnt 0x0
	v_lshlrev_b32_e32 v76, 2, v77
	ds_load_b32 v79, v76 offset:4
	v_mov_b32_e32 v76, v72
.LBB27_98:                              ;   in Loop: Header=BB27_2 Depth=1
	s_or_b32 exec_lo, exec_lo, s10
	v_add_nc_u32_e32 v80, 1, v78
	v_add_nc_u32_e32 v81, 1, v77
	v_cndmask_b32_e64 v74, v74, v75, s8
	v_cndmask_b32_e64 v70, v71, v70, s7
	s_wait_dscnt 0x0
	v_cmp_lt_i32_e64 s10, v79, v76
	v_cndmask_b32_e64 v75, v80, v78, s9
	v_cndmask_b32_e64 v71, v77, v81, s9
	;; [unrolled: 1-line block ×3, first 2 shown]
	s_wait_loadcnt 0x0
	s_barrier_signal -1
	v_cmp_ge_i32_e64 s11, v75, v27
	v_cmp_lt_i32_e64 s12, v71, v28
	s_barrier_wait -1
	global_inv scope:SCOPE_SE
	ds_store_2addr_b32 v1, v62, v63 offset1:1
	ds_store_2addr_b32 v1, v64, v65 offset0:2 offset1:3
	s_or_b32 s10, s11, s10
	v_lshlrev_b32_e32 v63, 2, v70
	s_wait_alu 0xfffe
	s_and_b32 s10, s12, s10
	v_lshlrev_b32_e32 v64, 2, v74
	s_wait_alu 0xfffe
	v_cndmask_b32_e64 v62, v75, v71, s10
	v_lshlrev_b32_e32 v65, 2, v82
	s_wait_loadcnt_dscnt 0x0
	s_barrier_signal -1
	s_barrier_wait -1
	v_lshlrev_b32_e32 v70, 2, v62
	global_inv scope:SCOPE_SE
	ds_load_b32 v62, v63
	ds_load_b32 v63, v64
	;; [unrolled: 1-line block ×4, first 2 shown]
	v_cndmask_b32_e64 v68, v68, v69, s8
	v_cndmask_b32_e64 v66, v66, v67, s7
	;; [unrolled: 1-line block ×4, first 2 shown]
	s_wait_loadcnt_dscnt 0x0
	s_barrier_signal -1
	s_barrier_wait -1
	global_inv scope:SCOPE_SE
	ds_store_2addr_b32 v1, v66, v68 offset1:1
	ds_store_2addr_b32 v1, v70, v76 offset0:2 offset1:3
	v_mov_b32_e32 v68, v60
	s_wait_loadcnt_dscnt 0x0
	s_barrier_signal -1
	s_barrier_wait -1
	global_inv scope:SCOPE_SE
	s_and_saveexec_b32 s8, s6
	s_cbranch_execz .LBB27_102
; %bb.99:                               ;   in Loop: Header=BB27_2 Depth=1
	v_mov_b32_e32 v68, v60
	v_mov_b32_e32 v66, v53
	s_mov_b32 s9, 0
.LBB27_100:                             ;   Parent Loop BB27_2 Depth=1
                                        ; =>  This Inner Loop Header: Depth=2
	s_delay_alu instid0(VALU_DEP_1) | instskip(NEXT) | instid1(VALU_DEP_1)
	v_sub_nc_u32_e32 v67, v66, v68
	v_lshrrev_b32_e32 v67, 1, v67
	s_delay_alu instid0(VALU_DEP_1) | instskip(NEXT) | instid1(VALU_DEP_1)
	v_add_nc_u32_e32 v67, v67, v68
	v_not_b32_e32 v69, v67
	v_lshl_add_u32 v70, v67, 2, v32
	v_add_nc_u32_e32 v71, 1, v67
	s_delay_alu instid0(VALU_DEP_3)
	v_lshl_add_u32 v69, v69, 2, v46
	ds_load_b32 v70, v70
	ds_load_b32 v69, v69
	s_wait_dscnt 0x0
	v_cmp_lt_i32_e64 s7, v69, v70
	s_wait_alu 0xf1ff
	s_delay_alu instid0(VALU_DEP_1) | instskip(SKIP_1) | instid1(VALU_DEP_1)
	v_cndmask_b32_e64 v66, v66, v67, s7
	v_cndmask_b32_e64 v68, v71, v68, s7
	v_cmp_ge_i32_e64 s7, v68, v66
	s_wait_alu 0xfffe
	s_or_b32 s9, s7, s9
	s_wait_alu 0xfffe
	s_and_not1_b32 exec_lo, exec_lo, s9
	s_cbranch_execnz .LBB27_100
; %bb.101:                              ;   in Loop: Header=BB27_2 Depth=1
	s_or_b32 exec_lo, exec_lo, s9
.LBB27_102:                             ;   in Loop: Header=BB27_2 Depth=1
	s_wait_alu 0xfffe
	s_or_b32 exec_lo, exec_lo, s8
	v_sub_nc_u32_e32 v70, v39, v68
	v_lshl_add_u32 v69, v68, 2, v32
	v_add_nc_u32_e32 v71, v68, v8
                                        ; implicit-def: $vgpr68
	s_delay_alu instid0(VALU_DEP_3) | instskip(SKIP_1) | instid1(VALU_DEP_3)
	v_lshlrev_b32_e32 v72, 2, v70
	v_cmp_gt_i32_e64 s9, v31, v70
	v_cmp_le_i32_e64 s7, v30, v71
	ds_load_b32 v66, v69
	ds_load_b32 v67, v72
	s_wait_dscnt 0x0
	v_cmp_lt_i32_e64 s8, v67, v66
	s_or_b32 s7, s7, s8
	s_wait_alu 0xfffe
	s_and_b32 s7, s9, s7
	s_wait_alu 0xfffe
	s_xor_b32 s8, s7, -1
	s_wait_alu 0xfffe
	s_and_saveexec_b32 s9, s8
	s_wait_alu 0xfffe
	s_xor_b32 s8, exec_lo, s9
; %bb.103:                              ;   in Loop: Header=BB27_2 Depth=1
	ds_load_b32 v68, v69 offset:4
                                        ; implicit-def: $vgpr72
; %bb.104:                              ;   in Loop: Header=BB27_2 Depth=1
	s_wait_alu 0xfffe
	s_or_saveexec_b32 s8, s8
	v_mov_b32_e32 v69, v67
	s_wait_alu 0xfffe
	s_xor_b32 exec_lo, exec_lo, s8
	s_cbranch_execz .LBB27_106
; %bb.105:                              ;   in Loop: Header=BB27_2 Depth=1
	ds_load_b32 v69, v72 offset:4
	s_wait_dscnt 0x1
	v_mov_b32_e32 v68, v66
.LBB27_106:                             ;   in Loop: Header=BB27_2 Depth=1
	s_or_b32 exec_lo, exec_lo, s8
	v_add_nc_u32_e32 v72, 1, v71
	v_add_nc_u32_e32 v73, 1, v70
	s_wait_dscnt 0x0
	v_cmp_lt_i32_e64 s9, v69, v68
	s_delay_alu instid0(VALU_DEP_3) | instskip(NEXT) | instid1(VALU_DEP_3)
	v_cndmask_b32_e64 v74, v72, v71, s7
	v_cndmask_b32_e64 v75, v70, v73, s7
                                        ; implicit-def: $vgpr72
	s_delay_alu instid0(VALU_DEP_2) | instskip(NEXT) | instid1(VALU_DEP_2)
	v_cmp_ge_i32_e64 s8, v74, v30
	v_cmp_lt_i32_e64 s10, v75, v31
	s_or_b32 s8, s8, s9
	s_wait_alu 0xfffe
	s_and_b32 s8, s10, s8
	s_wait_alu 0xfffe
	s_xor_b32 s9, s8, -1
	s_wait_alu 0xfffe
	s_and_saveexec_b32 s10, s9
	s_wait_alu 0xfffe
	s_xor_b32 s9, exec_lo, s10
; %bb.107:                              ;   in Loop: Header=BB27_2 Depth=1
	v_lshlrev_b32_e32 v72, 2, v74
	ds_load_b32 v72, v72 offset:4
; %bb.108:                              ;   in Loop: Header=BB27_2 Depth=1
	s_wait_alu 0xfffe
	s_or_saveexec_b32 s9, s9
	v_mov_b32_e32 v73, v69
	s_wait_alu 0xfffe
	s_xor_b32 exec_lo, exec_lo, s9
	s_cbranch_execz .LBB27_110
; %bb.109:                              ;   in Loop: Header=BB27_2 Depth=1
	s_wait_dscnt 0x0
	v_lshlrev_b32_e32 v72, 2, v75
	ds_load_b32 v73, v72 offset:4
	v_mov_b32_e32 v72, v68
.LBB27_110:                             ;   in Loop: Header=BB27_2 Depth=1
	s_or_b32 exec_lo, exec_lo, s9
	v_add_nc_u32_e32 v76, 1, v74
	v_add_nc_u32_e32 v77, 1, v75
	s_wait_dscnt 0x0
	v_cmp_lt_i32_e64 s10, v73, v72
	s_delay_alu instid0(VALU_DEP_3) | instskip(NEXT) | instid1(VALU_DEP_3)
	v_cndmask_b32_e64 v78, v76, v74, s8
	v_cndmask_b32_e64 v77, v75, v77, s8
                                        ; implicit-def: $vgpr76
	s_delay_alu instid0(VALU_DEP_2) | instskip(NEXT) | instid1(VALU_DEP_2)
	v_cmp_ge_i32_e64 s9, v78, v30
	v_cmp_lt_i32_e64 s11, v77, v31
	s_or_b32 s9, s9, s10
	s_wait_alu 0xfffe
	s_and_b32 s9, s11, s9
	s_wait_alu 0xfffe
	s_xor_b32 s10, s9, -1
	s_wait_alu 0xfffe
	s_and_saveexec_b32 s11, s10
	s_wait_alu 0xfffe
	s_xor_b32 s10, exec_lo, s11
; %bb.111:                              ;   in Loop: Header=BB27_2 Depth=1
	v_lshlrev_b32_e32 v76, 2, v78
	ds_load_b32 v76, v76 offset:4
; %bb.112:                              ;   in Loop: Header=BB27_2 Depth=1
	s_wait_alu 0xfffe
	s_or_saveexec_b32 s10, s10
	v_mov_b32_e32 v79, v73
	s_wait_alu 0xfffe
	s_xor_b32 exec_lo, exec_lo, s10
	s_cbranch_execz .LBB27_114
; %bb.113:                              ;   in Loop: Header=BB27_2 Depth=1
	s_wait_dscnt 0x0
	v_lshlrev_b32_e32 v76, 2, v77
	ds_load_b32 v79, v76 offset:4
	v_mov_b32_e32 v76, v72
.LBB27_114:                             ;   in Loop: Header=BB27_2 Depth=1
	s_or_b32 exec_lo, exec_lo, s10
	v_add_nc_u32_e32 v80, 1, v78
	v_add_nc_u32_e32 v81, 1, v77
	v_cndmask_b32_e64 v74, v74, v75, s8
	v_cndmask_b32_e64 v70, v71, v70, s7
	s_wait_dscnt 0x0
	v_cmp_lt_i32_e64 s10, v79, v76
	v_cndmask_b32_e64 v75, v80, v78, s9
	v_cndmask_b32_e64 v71, v77, v81, s9
	;; [unrolled: 1-line block ×3, first 2 shown]
	s_wait_loadcnt 0x0
	s_barrier_signal -1
	v_cmp_ge_i32_e64 s11, v75, v30
	v_cmp_lt_i32_e64 s12, v71, v31
	s_barrier_wait -1
	global_inv scope:SCOPE_SE
	ds_store_2addr_b32 v1, v62, v63 offset1:1
	ds_store_2addr_b32 v1, v64, v65 offset0:2 offset1:3
	s_or_b32 s10, s11, s10
	v_lshlrev_b32_e32 v63, 2, v70
	s_wait_alu 0xfffe
	s_and_b32 s10, s12, s10
	v_lshlrev_b32_e32 v64, 2, v74
	s_wait_alu 0xfffe
	v_cndmask_b32_e64 v62, v75, v71, s10
	v_lshlrev_b32_e32 v65, 2, v82
	s_wait_loadcnt_dscnt 0x0
	s_barrier_signal -1
	s_barrier_wait -1
	v_lshlrev_b32_e32 v70, 2, v62
	global_inv scope:SCOPE_SE
	ds_load_b32 v62, v63
	ds_load_b32 v63, v64
	;; [unrolled: 1-line block ×4, first 2 shown]
	v_cndmask_b32_e64 v68, v68, v69, s8
	v_cndmask_b32_e64 v66, v66, v67, s7
	;; [unrolled: 1-line block ×4, first 2 shown]
	s_wait_loadcnt_dscnt 0x0
	s_barrier_signal -1
	s_barrier_wait -1
	global_inv scope:SCOPE_SE
	ds_store_2addr_b32 v1, v66, v68 offset1:1
	ds_store_2addr_b32 v1, v70, v76 offset0:2 offset1:3
	v_mov_b32_e32 v66, v9
	s_wait_loadcnt_dscnt 0x0
	s_barrier_signal -1
	s_barrier_wait -1
	global_inv scope:SCOPE_SE
	s_and_saveexec_b32 s8, vcc_lo
	s_cbranch_execz .LBB27_118
; %bb.115:                              ;   in Loop: Header=BB27_2 Depth=1
	v_dual_mov_b32 v66, v9 :: v_dual_mov_b32 v67, v10
	s_mov_b32 s9, 0
.LBB27_116:                             ;   Parent Loop BB27_2 Depth=1
                                        ; =>  This Inner Loop Header: Depth=2
	s_delay_alu instid0(VALU_DEP_1) | instskip(NEXT) | instid1(VALU_DEP_1)
	v_sub_nc_u32_e32 v68, v67, v66
	v_lshrrev_b32_e32 v68, 1, v68
	s_delay_alu instid0(VALU_DEP_1) | instskip(NEXT) | instid1(VALU_DEP_1)
	v_add_nc_u32_e32 v68, v68, v66
	v_not_b32_e32 v69, v68
	v_lshlrev_b32_e32 v70, 2, v68
	v_add_nc_u32_e32 v71, 1, v68
	s_delay_alu instid0(VALU_DEP_3)
	v_lshl_add_u32 v69, v69, 2, v61
	ds_load_b32 v70, v70
	ds_load_b32 v69, v69
	s_wait_dscnt 0x0
	v_cmp_lt_i32_e64 s7, v69, v70
	s_wait_alu 0xf1ff
	s_delay_alu instid0(VALU_DEP_1) | instskip(SKIP_1) | instid1(VALU_DEP_1)
	v_cndmask_b32_e64 v67, v67, v68, s7
	v_cndmask_b32_e64 v66, v71, v66, s7
	v_cmp_ge_i32_e64 s7, v66, v67
	s_wait_alu 0xfffe
	s_or_b32 s9, s7, s9
	s_wait_alu 0xfffe
	s_and_not1_b32 exec_lo, exec_lo, s9
	s_cbranch_execnz .LBB27_116
; %bb.117:                              ;   in Loop: Header=BB27_2 Depth=1
	s_or_b32 exec_lo, exec_lo, s9
.LBB27_118:                             ;   in Loop: Header=BB27_2 Depth=1
	s_wait_alu 0xfffe
	s_or_b32 exec_lo, exec_lo, s8
	v_sub_nc_u32_e32 v70, v11, v66
	v_lshlrev_b32_e32 v71, 2, v66
	v_cmp_le_i32_e64 s7, 0x200, v66
                                        ; implicit-def: $vgpr69
	s_delay_alu instid0(VALU_DEP_3)
	v_lshlrev_b32_e32 v72, 2, v70
	v_cmp_gt_i32_e64 s9, 0x400, v70
	ds_load_b32 v67, v71
	ds_load_b32 v68, v72
	s_wait_dscnt 0x0
	v_cmp_lt_i32_e64 s8, v68, v67
	s_or_b32 s7, s7, s8
	s_wait_alu 0xfffe
	s_and_b32 s7, s9, s7
	s_wait_alu 0xfffe
	s_xor_b32 s8, s7, -1
	s_wait_alu 0xfffe
	s_and_saveexec_b32 s9, s8
	s_wait_alu 0xfffe
	s_xor_b32 s8, exec_lo, s9
; %bb.119:                              ;   in Loop: Header=BB27_2 Depth=1
	ds_load_b32 v69, v71 offset:4
                                        ; implicit-def: $vgpr72
; %bb.120:                              ;   in Loop: Header=BB27_2 Depth=1
	s_wait_alu 0xfffe
	s_or_saveexec_b32 s8, s8
	v_mov_b32_e32 v71, v68
	s_wait_alu 0xfffe
	s_xor_b32 exec_lo, exec_lo, s8
	s_cbranch_execz .LBB27_122
; %bb.121:                              ;   in Loop: Header=BB27_2 Depth=1
	ds_load_b32 v71, v72 offset:4
	s_wait_dscnt 0x1
	v_mov_b32_e32 v69, v67
.LBB27_122:                             ;   in Loop: Header=BB27_2 Depth=1
	s_or_b32 exec_lo, exec_lo, s8
	v_add_nc_u32_e32 v72, 1, v66
	v_add_nc_u32_e32 v73, 1, v70
	s_wait_dscnt 0x0
	v_cmp_lt_i32_e64 s9, v71, v69
	s_delay_alu instid0(VALU_DEP_3) | instskip(NEXT) | instid1(VALU_DEP_3)
	v_cndmask_b32_e64 v74, v72, v66, s7
	v_cndmask_b32_e64 v75, v70, v73, s7
                                        ; implicit-def: $vgpr72
	s_delay_alu instid0(VALU_DEP_2) | instskip(NEXT) | instid1(VALU_DEP_2)
	v_cmp_le_i32_e64 s8, 0x200, v74
	v_cmp_gt_i32_e64 s10, 0x400, v75
	s_or_b32 s8, s8, s9
	s_wait_alu 0xfffe
	s_and_b32 s8, s10, s8
	s_wait_alu 0xfffe
	s_xor_b32 s9, s8, -1
	s_wait_alu 0xfffe
	s_and_saveexec_b32 s10, s9
	s_wait_alu 0xfffe
	s_xor_b32 s9, exec_lo, s10
; %bb.123:                              ;   in Loop: Header=BB27_2 Depth=1
	v_lshlrev_b32_e32 v72, 2, v74
	ds_load_b32 v72, v72 offset:4
; %bb.124:                              ;   in Loop: Header=BB27_2 Depth=1
	s_wait_alu 0xfffe
	s_or_saveexec_b32 s9, s9
	v_mov_b32_e32 v73, v71
	s_wait_alu 0xfffe
	s_xor_b32 exec_lo, exec_lo, s9
	s_cbranch_execz .LBB27_126
; %bb.125:                              ;   in Loop: Header=BB27_2 Depth=1
	s_wait_dscnt 0x0
	v_lshlrev_b32_e32 v72, 2, v75
	ds_load_b32 v73, v72 offset:4
	v_mov_b32_e32 v72, v69
.LBB27_126:                             ;   in Loop: Header=BB27_2 Depth=1
	s_or_b32 exec_lo, exec_lo, s9
	v_add_nc_u32_e32 v76, 1, v74
	v_add_nc_u32_e32 v77, 1, v75
	s_wait_dscnt 0x0
	v_cmp_lt_i32_e64 s10, v73, v72
                                        ; implicit-def: $vgpr79
                                        ; implicit-def: $vgpr78
	s_delay_alu instid0(VALU_DEP_3) | instskip(NEXT) | instid1(VALU_DEP_3)
	v_cndmask_b32_e64 v80, v76, v74, s8
	v_cndmask_b32_e64 v76, v75, v77, s8
	s_delay_alu instid0(VALU_DEP_2) | instskip(NEXT) | instid1(VALU_DEP_2)
	v_cmp_le_i32_e64 s9, 0x200, v80
	v_cmp_gt_i32_e64 s11, 0x400, v76
	s_or_b32 s9, s9, s10
	s_wait_alu 0xfffe
	s_and_b32 s9, s11, s9
	s_wait_alu 0xfffe
	s_xor_b32 s10, s9, -1
	s_wait_alu 0xfffe
	s_and_saveexec_b32 s11, s10
	s_wait_alu 0xfffe
	s_xor_b32 s10, exec_lo, s11
; %bb.127:                              ;   in Loop: Header=BB27_2 Depth=1
	v_lshlrev_b32_e32 v77, 2, v80
	v_add_nc_u32_e32 v78, 1, v80
	ds_load_b32 v79, v77 offset:4
; %bb.128:                              ;   in Loop: Header=BB27_2 Depth=1
	s_wait_alu 0xfffe
	s_or_saveexec_b32 s10, s10
	v_mov_b32_e32 v77, v80
	v_mov_b32_e32 v81, v73
	s_wait_alu 0xfffe
	s_xor_b32 exec_lo, exec_lo, s10
	s_cbranch_execz .LBB27_1
; %bb.129:                              ;   in Loop: Header=BB27_2 Depth=1
	v_dual_mov_b32 v78, v80 :: v_dual_lshlrev_b32 v77, 2, v76
	s_wait_dscnt 0x0
	v_add_nc_u32_e32 v79, 1, v76
	ds_load_b32 v81, v77 offset:4
	v_dual_mov_b32 v77, v76 :: v_dual_mov_b32 v76, v79
	v_mov_b32_e32 v79, v72
	s_branch .LBB27_1
.LBB27_130:
	s_wait_dscnt 0x3
	v_add_nc_u32_e32 v1, v68, v64
	v_lshlrev_b32_e32 v0, 2, v0
	s_wait_dscnt 0x2
	v_add_nc_u32_e32 v2, v69, v65
	s_wait_dscnt 0x1
	v_add_nc_u32_e32 v3, v67, v62
	s_wait_dscnt 0x0
	v_add_nc_u32_e32 v4, v66, v63
	s_add_nc_u64 s[0:1], s[18:19], s[20:21]
	s_clause 0x3
	global_store_b32 v0, v1, s[0:1]
	global_store_b32 v0, v2, s[0:1] offset:1024
	global_store_b32 v0, v3, s[0:1] offset:2048
	;; [unrolled: 1-line block ×3, first 2 shown]
	s_endpgm
	.section	.rodata,"a",@progbits
	.p2align	6, 0x0
	.amdhsa_kernel _Z17sort_pairs_kernelIiLj256ELj4EN10test_utils4lessELj10EEvPKT_PS2_T2_
		.amdhsa_group_segment_fixed_size 4100
		.amdhsa_private_segment_fixed_size 0
		.amdhsa_kernarg_size 20
		.amdhsa_user_sgpr_count 2
		.amdhsa_user_sgpr_dispatch_ptr 0
		.amdhsa_user_sgpr_queue_ptr 0
		.amdhsa_user_sgpr_kernarg_segment_ptr 1
		.amdhsa_user_sgpr_dispatch_id 0
		.amdhsa_user_sgpr_private_segment_size 0
		.amdhsa_wavefront_size32 1
		.amdhsa_uses_dynamic_stack 0
		.amdhsa_enable_private_segment 0
		.amdhsa_system_sgpr_workgroup_id_x 1
		.amdhsa_system_sgpr_workgroup_id_y 0
		.amdhsa_system_sgpr_workgroup_id_z 0
		.amdhsa_system_sgpr_workgroup_info 0
		.amdhsa_system_vgpr_workitem_id 0
		.amdhsa_next_free_vgpr 84
		.amdhsa_next_free_sgpr 24
		.amdhsa_reserve_vcc 1
		.amdhsa_float_round_mode_32 0
		.amdhsa_float_round_mode_16_64 0
		.amdhsa_float_denorm_mode_32 3
		.amdhsa_float_denorm_mode_16_64 3
		.amdhsa_fp16_overflow 0
		.amdhsa_workgroup_processor_mode 1
		.amdhsa_memory_ordered 1
		.amdhsa_forward_progress 1
		.amdhsa_inst_pref_size 68
		.amdhsa_round_robin_scheduling 0
		.amdhsa_exception_fp_ieee_invalid_op 0
		.amdhsa_exception_fp_denorm_src 0
		.amdhsa_exception_fp_ieee_div_zero 0
		.amdhsa_exception_fp_ieee_overflow 0
		.amdhsa_exception_fp_ieee_underflow 0
		.amdhsa_exception_fp_ieee_inexact 0
		.amdhsa_exception_int_div_zero 0
	.end_amdhsa_kernel
	.section	.text._Z17sort_pairs_kernelIiLj256ELj4EN10test_utils4lessELj10EEvPKT_PS2_T2_,"axG",@progbits,_Z17sort_pairs_kernelIiLj256ELj4EN10test_utils4lessELj10EEvPKT_PS2_T2_,comdat
.Lfunc_end27:
	.size	_Z17sort_pairs_kernelIiLj256ELj4EN10test_utils4lessELj10EEvPKT_PS2_T2_, .Lfunc_end27-_Z17sort_pairs_kernelIiLj256ELj4EN10test_utils4lessELj10EEvPKT_PS2_T2_
                                        ; -- End function
	.set _Z17sort_pairs_kernelIiLj256ELj4EN10test_utils4lessELj10EEvPKT_PS2_T2_.num_vgpr, 84
	.set _Z17sort_pairs_kernelIiLj256ELj4EN10test_utils4lessELj10EEvPKT_PS2_T2_.num_agpr, 0
	.set _Z17sort_pairs_kernelIiLj256ELj4EN10test_utils4lessELj10EEvPKT_PS2_T2_.numbered_sgpr, 24
	.set _Z17sort_pairs_kernelIiLj256ELj4EN10test_utils4lessELj10EEvPKT_PS2_T2_.num_named_barrier, 0
	.set _Z17sort_pairs_kernelIiLj256ELj4EN10test_utils4lessELj10EEvPKT_PS2_T2_.private_seg_size, 0
	.set _Z17sort_pairs_kernelIiLj256ELj4EN10test_utils4lessELj10EEvPKT_PS2_T2_.uses_vcc, 1
	.set _Z17sort_pairs_kernelIiLj256ELj4EN10test_utils4lessELj10EEvPKT_PS2_T2_.uses_flat_scratch, 0
	.set _Z17sort_pairs_kernelIiLj256ELj4EN10test_utils4lessELj10EEvPKT_PS2_T2_.has_dyn_sized_stack, 0
	.set _Z17sort_pairs_kernelIiLj256ELj4EN10test_utils4lessELj10EEvPKT_PS2_T2_.has_recursion, 0
	.set _Z17sort_pairs_kernelIiLj256ELj4EN10test_utils4lessELj10EEvPKT_PS2_T2_.has_indirect_call, 0
	.section	.AMDGPU.csdata,"",@progbits
; Kernel info:
; codeLenInByte = 8696
; TotalNumSgprs: 26
; NumVgprs: 84
; ScratchSize: 0
; MemoryBound: 0
; FloatMode: 240
; IeeeMode: 1
; LDSByteSize: 4100 bytes/workgroup (compile time only)
; SGPRBlocks: 0
; VGPRBlocks: 10
; NumSGPRsForWavesPerEU: 26
; NumVGPRsForWavesPerEU: 84
; Occupancy: 16
; WaveLimiterHint : 1
; COMPUTE_PGM_RSRC2:SCRATCH_EN: 0
; COMPUTE_PGM_RSRC2:USER_SGPR: 2
; COMPUTE_PGM_RSRC2:TRAP_HANDLER: 0
; COMPUTE_PGM_RSRC2:TGID_X_EN: 1
; COMPUTE_PGM_RSRC2:TGID_Y_EN: 0
; COMPUTE_PGM_RSRC2:TGID_Z_EN: 0
; COMPUTE_PGM_RSRC2:TIDIG_COMP_CNT: 0
	.section	.text._Z16sort_keys_kernelIiLj256ELj8EN10test_utils4lessELj10EEvPKT_PS2_T2_,"axG",@progbits,_Z16sort_keys_kernelIiLj256ELj8EN10test_utils4lessELj10EEvPKT_PS2_T2_,comdat
	.protected	_Z16sort_keys_kernelIiLj256ELj8EN10test_utils4lessELj10EEvPKT_PS2_T2_ ; -- Begin function _Z16sort_keys_kernelIiLj256ELj8EN10test_utils4lessELj10EEvPKT_PS2_T2_
	.globl	_Z16sort_keys_kernelIiLj256ELj8EN10test_utils4lessELj10EEvPKT_PS2_T2_
	.p2align	8
	.type	_Z16sort_keys_kernelIiLj256ELj8EN10test_utils4lessELj10EEvPKT_PS2_T2_,@function
_Z16sort_keys_kernelIiLj256ELj8EN10test_utils4lessELj10EEvPKT_PS2_T2_: ; @_Z16sort_keys_kernelIiLj256ELj8EN10test_utils4lessELj10EEvPKT_PS2_T2_
; %bb.0:
	s_load_b128 s[16:19], s[0:1], 0x0
	s_lshl_b32 s20, ttmp9, 11
	s_mov_b32 s21, 0
	v_lshlrev_b32_e32 v1, 2, v0
	s_lshl_b64 s[22:23], s[20:21], 2
	v_lshlrev_b32_e32 v53, 3, v0
	v_lshlrev_b32_e32 v5, 5, v0
	s_delay_alu instid0(VALU_DEP_2)
	v_and_b32_e32 v25, 0x700, v53
	v_and_b32_e32 v58, 0xf8, v53
	v_and_b32_e32 v4, 0x7e0, v53
	v_and_b32_e32 v11, 0x7c0, v53
	v_and_b32_e32 v18, 0x780, v53
	v_or_b32_e32 v27, 0x80, v25
	v_add_nc_u32_e32 v28, 0x100, v25
	v_and_b32_e32 v32, 0x600, v53
	v_or_b32_e32 v6, 16, v4
	v_add_nc_u32_e32 v7, 32, v4
	s_wait_kmcnt 0x0
	s_add_nc_u64 s[0:1], s[16:17], s[22:23]
	v_sub_nc_u32_e32 v36, v28, v27
	s_clause 0x7
	global_load_b32 v67, v1, s[0:1]
	global_load_b32 v68, v1, s[0:1] offset:1024
	global_load_b32 v64, v1, s[0:1] offset:2048
	;; [unrolled: 1-line block ×7, first 2 shown]
	v_and_b32_e32 v1, 0x7f0, v53
	v_or_b32_e32 v13, 32, v11
	v_add_nc_u32_e32 v14, 64, v11
	v_sub_nc_u32_e32 v37, v58, v36
	v_cmp_ge_i32_e64 s3, v58, v36
	v_or_b32_e32 v2, 8, v1
	v_add_nc_u32_e32 v3, 16, v1
	v_or_b32_e32 v20, 64, v18
	v_add_nc_u32_e32 v21, 0x80, v18
	v_cndmask_b32_e64 v36, 0, v37, s3
	v_and_b32_e32 v37, 0x400, v53
	v_or_b32_e32 v34, 0x100, v32
	v_add_nc_u32_e32 v35, 0x200, v32
	v_and_b32_e32 v52, 8, v53
	v_sub_nc_u32_e32 v8, v3, v2
	v_or_b32_e32 v40, 0x200, v37
	v_add_nc_u32_e32 v41, 0x400, v37
	v_and_b32_e32 v54, 24, v53
	v_sub_nc_u32_e32 v15, v7, v6
	v_and_b32_e32 v56, 56, v53
	v_sub_nc_u32_e32 v22, v14, v13
	;; [unrolled: 2-line block ×5, first 2 shown]
	v_sub_nc_u32_e32 v9, v52, v8
	v_sub_nc_u32_e32 v10, v2, v1
	v_cmp_ge_i32_e32 vcc_lo, v52, v8
	v_sub_nc_u32_e32 v16, v54, v15
	v_sub_nc_u32_e32 v17, v6, v4
	v_cmp_ge_i32_e64 s0, v54, v15
	v_sub_nc_u32_e32 v23, v56, v22
	v_sub_nc_u32_e32 v24, v13, v11
	v_cmp_ge_i32_e64 s1, v56, v22
	;; [unrolled: 3-line block ×3, first 2 shown]
	v_sub_nc_u32_e32 v38, v27, v25
	v_sub_nc_u32_e32 v43, v59, v42
	;; [unrolled: 1-line block ×3, first 2 shown]
	v_cmp_ge_i32_e64 s4, v59, v42
	v_sub_nc_u32_e32 v47, v60, v46
	v_sub_nc_u32_e32 v48, v40, v37
	v_cmp_ge_i32_e64 s5, v60, v46
	v_cndmask_b32_e32 v8, 0, v9, vcc_lo
	v_min_i32_e32 v9, v52, v10
	v_add_nc_u32_e32 v12, v2, v52
	v_cndmask_b32_e64 v15, 0, v16, s0
	v_min_i32_e32 v16, v54, v17
	v_cndmask_b32_e64 v22, 0, v23, s1
	v_min_i32_e32 v23, v56, v24
	v_add_nc_u32_e32 v26, v13, v56
	s_wait_alu 0xf1ff
	v_cndmask_b32_e64 v29, 0, v30, s2
	v_min_i32_e32 v30, v57, v31
	v_add_nc_u32_e32 v33, v20, v57
	v_min_i32_e32 v38, v58, v38
	v_cndmask_b32_e64 v42, 0, v43, s4
	v_min_i32_e32 v43, v59, v44
	v_add_nc_u32_e32 v44, v27, v58
	v_cndmask_b32_e64 v46, 0, v47, s5
	v_min_i32_e32 v47, v60, v48
	v_add_nc_u32_e32 v48, v34, v59
	v_subrev_nc_u32_e64 v50, 0x400, v53 clamp
	v_min_i32_e32 v51, 0x400, v53
	v_lshlrev_b32_e32 v55, 2, v52
	v_lshlrev_b32_e32 v61, 2, v54
	v_add_nc_u32_e32 v52, v40, v60
	v_lshlrev_b32_e32 v56, 2, v56
	v_lshlrev_b32_e32 v57, 2, v57
	;; [unrolled: 1-line block ×7, first 2 shown]
	v_cmp_lt_i32_e64 s0, v15, v16
	v_add_nc_u32_e32 v19, v6, v54
	v_lshlrev_b32_e32 v24, 2, v11
	v_cmp_lt_i32_e64 s1, v22, v23
	v_lshlrev_b32_e32 v31, 2, v18
	v_cmp_lt_i32_e64 s2, v29, v30
	v_lshlrev_b32_e32 v39, 2, v25
	v_cmp_lt_i32_e64 s3, v36, v38
	v_lshlrev_b32_e32 v45, 2, v32
	v_cmp_lt_i32_e64 s4, v42, v43
	v_lshlrev_b32_e32 v49, 2, v37
	v_cmp_lt_i32_e64 s5, v46, v47
	v_cmp_lt_i32_e64 s6, v50, v51
	v_add_nc_u32_e32 v53, 0x400, v53
	v_lshl_add_u32 v54, v2, 2, v55
	v_lshl_add_u32 v55, v6, 2, v61
	;; [unrolled: 1-line block ×7, first 2 shown]
	v_add_nc_u32_e32 v61, 0x1000, v5
	v_cmp_lt_i32_e32 vcc_lo, v8, v9
	s_branch .LBB28_2
.LBB28_1:                               ;   in Loop: Header=BB28_2 Depth=1
	s_or_b32 exec_lo, exec_lo, s14
	v_cndmask_b32_e64 v67, v62, v63, s7
	v_cndmask_b32_e64 v68, v64, v65, s8
	v_cmp_le_i32_e64 s7, 0x400, v80
	s_wait_dscnt 0x0
	v_cmp_lt_i32_e64 s8, v81, v79
	v_cndmask_b32_e64 v64, v66, v69, s9
	v_cmp_gt_i32_e64 s9, 0x800, v78
	v_cndmask_b32_e64 v69, v70, v71, s10
	v_cndmask_b32_e64 v65, v72, v73, s11
	s_or_b32 s7, s7, s8
	v_cndmask_b32_e64 v66, v74, v75, s12
	s_wait_alu 0xfffe
	s_and_b32 s7, s9, s7
	v_cndmask_b32_e64 v62, v76, v77, s13
	s_wait_alu 0xfffe
	v_cndmask_b32_e64 v63, v79, v81, s7
	s_add_co_i32 s21, s21, 1
	s_delay_alu instid0(SALU_CYCLE_1)
	s_cmp_eq_u32 s21, 10
	s_cbranch_scc1 .LBB28_258
.LBB28_2:                               ; =>This Loop Header: Depth=1
                                        ;     Child Loop BB28_4 Depth 2
                                        ;     Child Loop BB28_36 Depth 2
	;; [unrolled: 1-line block ×8, first 2 shown]
	s_wait_loadcnt 0x6
	v_cmp_lt_i32_e64 s7, v68, v67
	v_min_i32_e32 v71, v68, v67
	s_wait_loadcnt 0x4
	v_cmp_lt_i32_e64 s8, v69, v64
	v_max_i32_e32 v72, v68, v67
	v_max_i32_e32 v74, v69, v64
	s_wait_alu 0xf1ff
	v_cndmask_b32_e64 v70, v67, v68, s7
	v_cndmask_b32_e64 v67, v68, v67, s7
	s_wait_loadcnt 0x2
	v_cmp_lt_i32_e64 s7, v66, v65
	v_cndmask_b32_e64 v68, v69, v64, s8
	v_cndmask_b32_e64 v73, v64, v69, s8
	v_min_i32_e32 v64, v69, v64
	v_max_i32_e32 v76, v66, v65
	s_wait_alu 0xf1ff
	v_cndmask_b32_e64 v69, v66, v65, s7
	v_cndmask_b32_e64 v75, v65, v66, s7
	s_wait_loadcnt 0x0
	v_cmp_lt_i32_e64 s7, v63, v62
	v_min_i32_e32 v65, v66, v65
	v_cmp_lt_i32_e64 s8, v64, v72
	v_max_i32_e32 v78, v63, v62
	s_wait_alu 0xf1ff
	v_cndmask_b32_e64 v66, v63, v62, s7
	v_cndmask_b32_e64 v77, v62, v63, s7
	v_min_i32_e32 v62, v63, v62
	v_cmp_lt_i32_e64 s7, v65, v74
	v_cndmask_b32_e64 v63, v73, v72, s8
	v_cndmask_b32_e64 v67, v67, v64, s8
	v_max_i32_e32 v73, v64, v72
	v_cmp_lt_i32_e64 s8, v62, v76
	s_wait_alu 0xf1ff
	v_cndmask_b32_e64 v68, v68, v65, s7
	v_max_i32_e32 v79, v65, v74
	v_min_i32_e32 v65, v65, v74
	v_min_i32_e32 v72, v64, v72
	v_cndmask_b32_e64 v75, v75, v74, s7
	v_cndmask_b32_e64 v69, v69, v62, s8
	v_cmp_lt_i32_e64 s7, v64, v71
	v_max_i32_e32 v64, v62, v76
	v_min_i32_e32 v62, v62, v76
	v_cndmask_b32_e64 v74, v77, v76, s8
	v_cmp_lt_i32_e64 s8, v65, v73
	s_wait_alu 0xf1ff
	v_cndmask_b32_e64 v70, v70, v72, s7
	v_cndmask_b32_e64 v67, v67, v71, s7
	;; [unrolled: 1-line block ×4, first 2 shown]
	v_cmp_lt_i32_e64 s7, v62, v79
	v_cndmask_b32_e64 v68, v68, v73, s8
	v_cndmask_b32_e64 v63, v63, v65, s8
	v_max_i32_e32 v72, v65, v73
	v_min_i32_e32 v65, v65, v73
	v_cmp_gt_i32_e64 s8, v76, v78
	s_wait_alu 0xf1ff
	v_cndmask_b32_e64 v73, v75, v62, s7
	v_max_i32_e32 v75, v62, v79
	v_min_i32_e32 v62, v62, v79
	v_cndmask_b32_e64 v69, v69, v79, s7
	v_cndmask_b32_e64 v66, v66, v64, s8
	v_cmp_lt_i32_e64 s7, v65, v71
	v_cndmask_b32_e64 v76, v78, v64, s8
	v_cndmask_b32_e64 v64, v64, v78, s8
	;; [unrolled: 1-line block ×3, first 2 shown]
	v_cmp_lt_i32_e64 s8, v62, v72
	s_wait_alu 0xf1ff
	v_cndmask_b32_e64 v63, v63, v71, s7
	v_cndmask_b32_e64 v67, v67, v65, s7
	v_max_i32_e32 v78, v65, v71
	v_min_i32_e32 v65, v65, v71
	v_cmp_lt_i32_e64 s7, v64, v75
	v_cndmask_b32_e64 v71, v73, v72, s8
	v_cndmask_b32_e64 v68, v68, v62, s8
	v_max_i32_e32 v73, v62, v72
	v_min_i32_e32 v62, v62, v72
	s_wait_alu 0xf1ff
	v_cndmask_b32_e64 v72, v74, v75, s7
	v_cmp_lt_i32_e64 s8, v65, v77
	v_cndmask_b32_e64 v69, v69, v64, s7
	v_max_i32_e32 v74, v64, v75
	v_min_i32_e32 v64, v64, v75
	v_cmp_lt_i32_e64 s7, v62, v78
	s_wait_alu 0xf1ff
	v_cndmask_b32_e64 v70, v70, v65, s8
	v_cndmask_b32_e64 v67, v67, v77, s8
	v_min_i32_e32 v75, v65, v77
	v_cmp_lt_i32_e64 s8, v64, v73
	v_max_i32_e32 v65, v65, v77
	v_cndmask_b32_e64 v68, v68, v78, s7
	v_cndmask_b32_e64 v63, v63, v62, s7
	v_max_i32_e32 v77, v62, v78
	v_min_i32_e32 v62, v62, v78
	v_cmp_lt_i32_e64 s7, v76, v74
	s_wait_alu 0xf1ff
	v_cndmask_b32_e64 v71, v71, v64, s8
	v_max_i32_e32 v78, v64, v73
	v_min_i32_e32 v64, v64, v73
	v_cndmask_b32_e64 v69, v69, v73, s8
	v_cndmask_b32_e64 v66, v66, v74, s7
	v_cmp_lt_i32_e64 s8, v62, v65
	v_max_i32_e32 v73, v76, v74
	v_min_i32_e32 v74, v76, v74
	v_cndmask_b32_e64 v72, v72, v76, s7
	v_cmp_lt_i32_e64 s7, v64, v77
	s_wait_alu 0xf1ff
	v_cndmask_b32_e64 v67, v67, v62, s8
	v_cndmask_b32_e64 v63, v63, v65, s8
	v_cmp_lt_i32_e64 s8, v74, v78
	v_max_i32_e32 v76, v62, v65
	v_cndmask_b32_e64 v68, v68, v64, s7
	v_max_i32_e32 v79, v64, v77
	v_min_i32_e32 v64, v64, v77
	v_min_i32_e32 v65, v62, v65
	v_cndmask_b32_e64 v71, v71, v77, s7
	s_wait_alu 0xf1ff
	v_cndmask_b32_e64 v69, v69, v74, s8
	v_cmp_lt_i32_e64 s7, v62, v75
	v_max_i32_e32 v62, v74, v78
	v_min_i32_e32 v74, v74, v78
	v_cndmask_b32_e64 v72, v72, v78, s8
	v_cmp_lt_i32_e64 s8, v64, v76
	s_wait_alu 0xf1ff
	v_cndmask_b32_e64 v70, v70, v65, s7
	v_cndmask_b32_e64 v67, v67, v75, s7
	;; [unrolled: 1-line block ×3, first 2 shown]
	v_cmp_lt_i32_e64 s7, v74, v79
	v_cndmask_b32_e64 v63, v63, v64, s8
	v_cndmask_b32_e64 v68, v68, v76, s8
	v_cmp_gt_i32_e64 s8, v78, v73
	v_max_i32_e32 v75, v64, v76
	v_min_i32_e32 v64, v64, v76
	s_wait_alu 0xf1ff
	v_cndmask_b32_e64 v71, v71, v74, s7
	v_max_i32_e32 v76, v74, v79
	v_min_i32_e32 v74, v74, v79
	v_cndmask_b32_e64 v66, v66, v62, s8
	v_cndmask_b32_e64 v62, v62, v73, s8
	;; [unrolled: 1-line block ×3, first 2 shown]
	v_cmp_lt_i32_e64 s7, v64, v65
	v_cndmask_b32_e64 v72, v72, v73, s8
	v_cmp_lt_i32_e64 s8, v74, v75
	v_cmp_lt_i32_e64 s9, v62, v76
	s_barrier_signal -1
	s_wait_alu 0xf1ff
	v_cndmask_b32_e64 v64, v67, v64, s7
	v_cndmask_b32_e64 v63, v63, v65, s7
	;; [unrolled: 1-line block ×6, first 2 shown]
	s_barrier_wait -1
	global_inv scope:SCOPE_SE
	ds_store_2addr_b32 v5, v70, v64 offset1:1
	ds_store_2addr_b32 v5, v63, v67 offset0:2 offset1:3
	ds_store_2addr_b32 v5, v65, v62 offset0:4 offset1:5
	ds_store_2addr_b32 v5, v68, v66 offset0:6 offset1:7
	v_mov_b32_e32 v64, v8
	s_wait_loadcnt_dscnt 0x0
	s_barrier_signal -1
	s_barrier_wait -1
	global_inv scope:SCOPE_SE
	s_and_saveexec_b32 s8, vcc_lo
	s_cbranch_execz .LBB28_6
; %bb.3:                                ;   in Loop: Header=BB28_2 Depth=1
	v_mov_b32_e32 v64, v8
	v_mov_b32_e32 v62, v9
	s_mov_b32 s9, 0
.LBB28_4:                               ;   Parent Loop BB28_2 Depth=1
                                        ; =>  This Inner Loop Header: Depth=2
	s_delay_alu instid0(VALU_DEP_1) | instskip(NEXT) | instid1(VALU_DEP_1)
	v_sub_nc_u32_e32 v63, v62, v64
	v_lshrrev_b32_e32 v63, 1, v63
	s_delay_alu instid0(VALU_DEP_1) | instskip(NEXT) | instid1(VALU_DEP_1)
	v_add_nc_u32_e32 v63, v63, v64
	v_not_b32_e32 v65, v63
	v_lshl_add_u32 v66, v63, 2, v10
	v_add_nc_u32_e32 v67, 1, v63
	s_delay_alu instid0(VALU_DEP_3)
	v_lshl_add_u32 v65, v65, 2, v54
	ds_load_b32 v66, v66
	ds_load_b32 v65, v65
	s_wait_dscnt 0x0
	v_cmp_lt_i32_e64 s7, v65, v66
	s_wait_alu 0xf1ff
	s_delay_alu instid0(VALU_DEP_1) | instskip(SKIP_1) | instid1(VALU_DEP_1)
	v_cndmask_b32_e64 v62, v62, v63, s7
	v_cndmask_b32_e64 v64, v67, v64, s7
	v_cmp_ge_i32_e64 s7, v64, v62
	s_wait_alu 0xfffe
	s_or_b32 s9, s7, s9
	s_wait_alu 0xfffe
	s_and_not1_b32 exec_lo, exec_lo, s9
	s_cbranch_execnz .LBB28_4
; %bb.5:                                ;   in Loop: Header=BB28_2 Depth=1
	s_or_b32 exec_lo, exec_lo, s9
.LBB28_6:                               ;   in Loop: Header=BB28_2 Depth=1
	s_wait_alu 0xfffe
	s_or_b32 exec_lo, exec_lo, s8
	v_sub_nc_u32_e32 v66, v12, v64
	v_lshl_add_u32 v65, v64, 2, v10
	v_add_nc_u32_e32 v67, v64, v1
                                        ; implicit-def: $vgpr64
	s_delay_alu instid0(VALU_DEP_3) | instskip(SKIP_1) | instid1(VALU_DEP_3)
	v_lshlrev_b32_e32 v68, 2, v66
	v_cmp_gt_i32_e64 s9, v3, v66
	v_cmp_le_i32_e64 s7, v2, v67
	ds_load_b32 v62, v65
	ds_load_b32 v63, v68
	s_wait_dscnt 0x0
	v_cmp_lt_i32_e64 s8, v63, v62
	s_or_b32 s7, s7, s8
	s_wait_alu 0xfffe
	s_and_b32 s7, s9, s7
	s_wait_alu 0xfffe
	s_xor_b32 s8, s7, -1
	s_wait_alu 0xfffe
	s_and_saveexec_b32 s9, s8
	s_wait_alu 0xfffe
	s_xor_b32 s8, exec_lo, s9
; %bb.7:                                ;   in Loop: Header=BB28_2 Depth=1
	ds_load_b32 v64, v65 offset:4
                                        ; implicit-def: $vgpr68
; %bb.8:                                ;   in Loop: Header=BB28_2 Depth=1
	s_wait_alu 0xfffe
	s_or_saveexec_b32 s8, s8
	v_mov_b32_e32 v65, v63
	s_wait_alu 0xfffe
	s_xor_b32 exec_lo, exec_lo, s8
	s_cbranch_execz .LBB28_10
; %bb.9:                                ;   in Loop: Header=BB28_2 Depth=1
	ds_load_b32 v65, v68 offset:4
	s_wait_dscnt 0x1
	v_mov_b32_e32 v64, v62
.LBB28_10:                              ;   in Loop: Header=BB28_2 Depth=1
	s_or_b32 exec_lo, exec_lo, s8
	v_add_nc_u32_e32 v68, 1, v67
	v_add_nc_u32_e32 v70, 1, v66
	s_wait_dscnt 0x0
	v_cmp_lt_i32_e64 s9, v65, v64
	s_delay_alu instid0(VALU_DEP_3) | instskip(NEXT) | instid1(VALU_DEP_3)
	v_cndmask_b32_e64 v69, v68, v67, s7
	v_cndmask_b32_e64 v68, v66, v70, s7
                                        ; implicit-def: $vgpr66
	s_delay_alu instid0(VALU_DEP_2) | instskip(NEXT) | instid1(VALU_DEP_2)
	v_cmp_ge_i32_e64 s8, v69, v2
	v_cmp_lt_i32_e64 s10, v68, v3
	s_or_b32 s8, s8, s9
	s_wait_alu 0xfffe
	s_and_b32 s8, s10, s8
	s_wait_alu 0xfffe
	s_xor_b32 s9, s8, -1
	s_wait_alu 0xfffe
	s_and_saveexec_b32 s10, s9
	s_wait_alu 0xfffe
	s_xor_b32 s9, exec_lo, s10
; %bb.11:                               ;   in Loop: Header=BB28_2 Depth=1
	v_lshlrev_b32_e32 v66, 2, v69
	ds_load_b32 v66, v66 offset:4
; %bb.12:                               ;   in Loop: Header=BB28_2 Depth=1
	s_wait_alu 0xfffe
	s_or_saveexec_b32 s9, s9
	v_mov_b32_e32 v67, v65
	s_wait_alu 0xfffe
	s_xor_b32 exec_lo, exec_lo, s9
	s_cbranch_execz .LBB28_14
; %bb.13:                               ;   in Loop: Header=BB28_2 Depth=1
	s_wait_dscnt 0x0
	v_lshlrev_b32_e32 v66, 2, v68
	ds_load_b32 v67, v66 offset:4
	v_mov_b32_e32 v66, v64
.LBB28_14:                              ;   in Loop: Header=BB28_2 Depth=1
	s_or_b32 exec_lo, exec_lo, s9
	v_add_nc_u32_e32 v70, 1, v69
	v_add_nc_u32_e32 v72, 1, v68
	s_wait_dscnt 0x0
	v_cmp_lt_i32_e64 s10, v67, v66
	s_delay_alu instid0(VALU_DEP_3) | instskip(NEXT) | instid1(VALU_DEP_3)
	v_cndmask_b32_e64 v71, v70, v69, s8
	v_cndmask_b32_e64 v70, v68, v72, s8
                                        ; implicit-def: $vgpr68
	s_delay_alu instid0(VALU_DEP_2) | instskip(NEXT) | instid1(VALU_DEP_2)
	v_cmp_ge_i32_e64 s9, v71, v2
	v_cmp_lt_i32_e64 s11, v70, v3
	s_or_b32 s9, s9, s10
	s_wait_alu 0xfffe
	s_and_b32 s9, s11, s9
	s_wait_alu 0xfffe
	s_xor_b32 s10, s9, -1
	s_wait_alu 0xfffe
	s_and_saveexec_b32 s11, s10
	s_wait_alu 0xfffe
	s_xor_b32 s10, exec_lo, s11
; %bb.15:                               ;   in Loop: Header=BB28_2 Depth=1
	v_lshlrev_b32_e32 v68, 2, v71
	ds_load_b32 v68, v68 offset:4
; %bb.16:                               ;   in Loop: Header=BB28_2 Depth=1
	s_wait_alu 0xfffe
	s_or_saveexec_b32 s10, s10
	v_mov_b32_e32 v69, v67
	s_wait_alu 0xfffe
	s_xor_b32 exec_lo, exec_lo, s10
	s_cbranch_execz .LBB28_18
; %bb.17:                               ;   in Loop: Header=BB28_2 Depth=1
	s_wait_dscnt 0x0
	v_lshlrev_b32_e32 v68, 2, v70
	ds_load_b32 v69, v68 offset:4
	v_mov_b32_e32 v68, v66
.LBB28_18:                              ;   in Loop: Header=BB28_2 Depth=1
	s_or_b32 exec_lo, exec_lo, s10
	v_add_nc_u32_e32 v72, 1, v71
	v_add_nc_u32_e32 v74, 1, v70
	s_wait_dscnt 0x0
	v_cmp_lt_i32_e64 s11, v69, v68
	s_delay_alu instid0(VALU_DEP_3) | instskip(NEXT) | instid1(VALU_DEP_3)
	v_cndmask_b32_e64 v73, v72, v71, s9
	v_cndmask_b32_e64 v72, v70, v74, s9
                                        ; implicit-def: $vgpr70
	s_delay_alu instid0(VALU_DEP_2) | instskip(NEXT) | instid1(VALU_DEP_2)
	v_cmp_ge_i32_e64 s10, v73, v2
	v_cmp_lt_i32_e64 s12, v72, v3
	s_or_b32 s10, s10, s11
	s_wait_alu 0xfffe
	s_and_b32 s10, s12, s10
	s_wait_alu 0xfffe
	s_xor_b32 s11, s10, -1
	s_wait_alu 0xfffe
	s_and_saveexec_b32 s12, s11
	s_wait_alu 0xfffe
	s_xor_b32 s11, exec_lo, s12
; %bb.19:                               ;   in Loop: Header=BB28_2 Depth=1
	v_lshlrev_b32_e32 v70, 2, v73
	ds_load_b32 v70, v70 offset:4
; %bb.20:                               ;   in Loop: Header=BB28_2 Depth=1
	s_wait_alu 0xfffe
	s_or_saveexec_b32 s11, s11
	v_mov_b32_e32 v71, v69
	s_wait_alu 0xfffe
	s_xor_b32 exec_lo, exec_lo, s11
	s_cbranch_execz .LBB28_22
; %bb.21:                               ;   in Loop: Header=BB28_2 Depth=1
	s_wait_dscnt 0x0
	v_lshlrev_b32_e32 v70, 2, v72
	ds_load_b32 v71, v70 offset:4
	v_mov_b32_e32 v70, v68
.LBB28_22:                              ;   in Loop: Header=BB28_2 Depth=1
	s_or_b32 exec_lo, exec_lo, s11
	v_add_nc_u32_e32 v74, 1, v73
	v_add_nc_u32_e32 v76, 1, v72
	s_wait_dscnt 0x0
	v_cmp_lt_i32_e64 s12, v71, v70
	s_delay_alu instid0(VALU_DEP_3) | instskip(NEXT) | instid1(VALU_DEP_3)
	v_cndmask_b32_e64 v75, v74, v73, s10
	v_cndmask_b32_e64 v74, v72, v76, s10
                                        ; implicit-def: $vgpr72
	s_delay_alu instid0(VALU_DEP_2) | instskip(NEXT) | instid1(VALU_DEP_2)
	v_cmp_ge_i32_e64 s11, v75, v2
	v_cmp_lt_i32_e64 s13, v74, v3
	s_or_b32 s11, s11, s12
	s_wait_alu 0xfffe
	s_and_b32 s11, s13, s11
	s_wait_alu 0xfffe
	s_xor_b32 s12, s11, -1
	s_wait_alu 0xfffe
	s_and_saveexec_b32 s13, s12
	s_wait_alu 0xfffe
	s_xor_b32 s12, exec_lo, s13
; %bb.23:                               ;   in Loop: Header=BB28_2 Depth=1
	v_lshlrev_b32_e32 v72, 2, v75
	ds_load_b32 v72, v72 offset:4
; %bb.24:                               ;   in Loop: Header=BB28_2 Depth=1
	s_wait_alu 0xfffe
	s_or_saveexec_b32 s12, s12
	v_mov_b32_e32 v73, v71
	s_wait_alu 0xfffe
	s_xor_b32 exec_lo, exec_lo, s12
	s_cbranch_execz .LBB28_26
; %bb.25:                               ;   in Loop: Header=BB28_2 Depth=1
	s_wait_dscnt 0x0
	v_lshlrev_b32_e32 v72, 2, v74
	ds_load_b32 v73, v72 offset:4
	v_mov_b32_e32 v72, v70
.LBB28_26:                              ;   in Loop: Header=BB28_2 Depth=1
	s_or_b32 exec_lo, exec_lo, s12
	v_add_nc_u32_e32 v76, 1, v75
	v_add_nc_u32_e32 v78, 1, v74
	s_wait_dscnt 0x0
	v_cmp_lt_i32_e64 s13, v73, v72
	s_delay_alu instid0(VALU_DEP_3) | instskip(NEXT) | instid1(VALU_DEP_3)
	v_cndmask_b32_e64 v77, v76, v75, s11
	v_cndmask_b32_e64 v76, v74, v78, s11
                                        ; implicit-def: $vgpr74
	s_delay_alu instid0(VALU_DEP_2) | instskip(NEXT) | instid1(VALU_DEP_2)
	v_cmp_ge_i32_e64 s12, v77, v2
	v_cmp_lt_i32_e64 s14, v76, v3
	s_or_b32 s12, s12, s13
	s_wait_alu 0xfffe
	s_and_b32 s12, s14, s12
	s_wait_alu 0xfffe
	s_xor_b32 s13, s12, -1
	s_wait_alu 0xfffe
	s_and_saveexec_b32 s14, s13
	s_delay_alu instid0(SALU_CYCLE_1)
	s_xor_b32 s13, exec_lo, s14
; %bb.27:                               ;   in Loop: Header=BB28_2 Depth=1
	v_lshlrev_b32_e32 v74, 2, v77
	ds_load_b32 v74, v74 offset:4
; %bb.28:                               ;   in Loop: Header=BB28_2 Depth=1
	s_wait_alu 0xfffe
	s_or_saveexec_b32 s13, s13
	v_mov_b32_e32 v75, v73
	s_wait_alu 0xfffe
	s_xor_b32 exec_lo, exec_lo, s13
	s_cbranch_execz .LBB28_30
; %bb.29:                               ;   in Loop: Header=BB28_2 Depth=1
	s_wait_dscnt 0x0
	v_lshlrev_b32_e32 v74, 2, v76
	ds_load_b32 v75, v74 offset:4
	v_mov_b32_e32 v74, v72
.LBB28_30:                              ;   in Loop: Header=BB28_2 Depth=1
	s_or_b32 exec_lo, exec_lo, s13
	v_add_nc_u32_e32 v78, 1, v77
	v_add_nc_u32_e32 v79, 1, v76
	s_wait_dscnt 0x0
	v_cmp_lt_i32_e64 s14, v75, v74
	s_delay_alu instid0(VALU_DEP_3) | instskip(NEXT) | instid1(VALU_DEP_3)
	v_cndmask_b32_e64 v78, v78, v77, s12
	v_cndmask_b32_e64 v77, v76, v79, s12
                                        ; implicit-def: $vgpr76
	s_delay_alu instid0(VALU_DEP_2) | instskip(NEXT) | instid1(VALU_DEP_2)
	v_cmp_ge_i32_e64 s13, v78, v2
	v_cmp_lt_i32_e64 s15, v77, v3
	s_or_b32 s13, s13, s14
	s_wait_alu 0xfffe
	s_and_b32 s13, s15, s13
	s_wait_alu 0xfffe
	s_xor_b32 s14, s13, -1
	s_delay_alu instid0(SALU_CYCLE_1) | instskip(NEXT) | instid1(SALU_CYCLE_1)
	s_and_saveexec_b32 s15, s14
	s_xor_b32 s14, exec_lo, s15
; %bb.31:                               ;   in Loop: Header=BB28_2 Depth=1
	v_lshlrev_b32_e32 v76, 2, v78
	ds_load_b32 v76, v76 offset:4
; %bb.32:                               ;   in Loop: Header=BB28_2 Depth=1
	s_or_saveexec_b32 s14, s14
	v_mov_b32_e32 v79, v75
	s_xor_b32 exec_lo, exec_lo, s14
	s_cbranch_execz .LBB28_34
; %bb.33:                               ;   in Loop: Header=BB28_2 Depth=1
	s_wait_dscnt 0x0
	v_lshlrev_b32_e32 v76, 2, v77
	ds_load_b32 v79, v76 offset:4
	v_mov_b32_e32 v76, v74
.LBB28_34:                              ;   in Loop: Header=BB28_2 Depth=1
	s_or_b32 exec_lo, exec_lo, s14
	v_add_nc_u32_e32 v80, 1, v78
	v_add_nc_u32_e32 v81, 1, v77
	v_cndmask_b32_e64 v72, v72, v73, s12
	v_cndmask_b32_e64 v70, v70, v71, s11
	;; [unrolled: 1-line block ×5, first 2 shown]
	s_wait_dscnt 0x0
	v_cmp_lt_i32_e64 s10, v79, v76
	v_cndmask_b32_e64 v66, v66, v67, s9
	v_cndmask_b32_e64 v62, v62, v63, s7
	v_cmp_ge_i32_e64 s11, v73, v2
	v_cmp_lt_i32_e64 s9, v71, v3
	v_cndmask_b32_e64 v64, v64, v65, s8
	v_cndmask_b32_e64 v74, v74, v75, s13
	s_wait_loadcnt 0x0
	s_or_b32 s7, s11, s10
	s_barrier_signal -1
	s_wait_alu 0xfffe
	s_and_b32 s7, s9, s7
	s_barrier_wait -1
	s_wait_alu 0xfffe
	v_cndmask_b32_e64 v63, v76, v79, s7
	global_inv scope:SCOPE_SE
	ds_store_2addr_b32 v5, v62, v64 offset1:1
	ds_store_2addr_b32 v5, v66, v68 offset0:2 offset1:3
	ds_store_2addr_b32 v5, v70, v72 offset0:4 offset1:5
	;; [unrolled: 1-line block ×3, first 2 shown]
	v_mov_b32_e32 v64, v15
	s_wait_loadcnt_dscnt 0x0
	s_barrier_signal -1
	s_barrier_wait -1
	global_inv scope:SCOPE_SE
	s_and_saveexec_b32 s8, s0
	s_cbranch_execz .LBB28_38
; %bb.35:                               ;   in Loop: Header=BB28_2 Depth=1
	v_mov_b32_e32 v64, v15
	v_mov_b32_e32 v62, v16
	s_mov_b32 s9, 0
.LBB28_36:                              ;   Parent Loop BB28_2 Depth=1
                                        ; =>  This Inner Loop Header: Depth=2
	s_delay_alu instid0(VALU_DEP_1) | instskip(NEXT) | instid1(VALU_DEP_1)
	v_sub_nc_u32_e32 v63, v62, v64
	v_lshrrev_b32_e32 v63, 1, v63
	s_delay_alu instid0(VALU_DEP_1) | instskip(NEXT) | instid1(VALU_DEP_1)
	v_add_nc_u32_e32 v63, v63, v64
	v_not_b32_e32 v65, v63
	v_lshl_add_u32 v66, v63, 2, v17
	v_add_nc_u32_e32 v67, 1, v63
	s_delay_alu instid0(VALU_DEP_3)
	v_lshl_add_u32 v65, v65, 2, v55
	ds_load_b32 v66, v66
	ds_load_b32 v65, v65
	s_wait_dscnt 0x0
	v_cmp_lt_i32_e64 s7, v65, v66
	s_wait_alu 0xf1ff
	s_delay_alu instid0(VALU_DEP_1) | instskip(SKIP_1) | instid1(VALU_DEP_1)
	v_cndmask_b32_e64 v62, v62, v63, s7
	v_cndmask_b32_e64 v64, v67, v64, s7
	v_cmp_ge_i32_e64 s7, v64, v62
	s_wait_alu 0xfffe
	s_or_b32 s9, s7, s9
	s_wait_alu 0xfffe
	s_and_not1_b32 exec_lo, exec_lo, s9
	s_cbranch_execnz .LBB28_36
; %bb.37:                               ;   in Loop: Header=BB28_2 Depth=1
	s_or_b32 exec_lo, exec_lo, s9
.LBB28_38:                              ;   in Loop: Header=BB28_2 Depth=1
	s_wait_alu 0xfffe
	s_or_b32 exec_lo, exec_lo, s8
	v_sub_nc_u32_e32 v66, v19, v64
	v_lshl_add_u32 v65, v64, 2, v17
	v_add_nc_u32_e32 v67, v64, v4
                                        ; implicit-def: $vgpr64
	s_delay_alu instid0(VALU_DEP_3) | instskip(SKIP_1) | instid1(VALU_DEP_3)
	v_lshlrev_b32_e32 v68, 2, v66
	v_cmp_gt_i32_e64 s9, v7, v66
	v_cmp_le_i32_e64 s7, v6, v67
	ds_load_b32 v62, v65
	ds_load_b32 v63, v68
	s_wait_dscnt 0x0
	v_cmp_lt_i32_e64 s8, v63, v62
	s_or_b32 s7, s7, s8
	s_wait_alu 0xfffe
	s_and_b32 s7, s9, s7
	s_wait_alu 0xfffe
	s_xor_b32 s8, s7, -1
	s_wait_alu 0xfffe
	s_and_saveexec_b32 s9, s8
	s_wait_alu 0xfffe
	s_xor_b32 s8, exec_lo, s9
; %bb.39:                               ;   in Loop: Header=BB28_2 Depth=1
	ds_load_b32 v64, v65 offset:4
                                        ; implicit-def: $vgpr68
; %bb.40:                               ;   in Loop: Header=BB28_2 Depth=1
	s_wait_alu 0xfffe
	s_or_saveexec_b32 s8, s8
	v_mov_b32_e32 v65, v63
	s_wait_alu 0xfffe
	s_xor_b32 exec_lo, exec_lo, s8
	s_cbranch_execz .LBB28_42
; %bb.41:                               ;   in Loop: Header=BB28_2 Depth=1
	ds_load_b32 v65, v68 offset:4
	s_wait_dscnt 0x1
	v_mov_b32_e32 v64, v62
.LBB28_42:                              ;   in Loop: Header=BB28_2 Depth=1
	s_or_b32 exec_lo, exec_lo, s8
	v_add_nc_u32_e32 v68, 1, v67
	v_add_nc_u32_e32 v70, 1, v66
	s_wait_dscnt 0x0
	v_cmp_lt_i32_e64 s9, v65, v64
	s_delay_alu instid0(VALU_DEP_3) | instskip(NEXT) | instid1(VALU_DEP_3)
	v_cndmask_b32_e64 v69, v68, v67, s7
	v_cndmask_b32_e64 v68, v66, v70, s7
                                        ; implicit-def: $vgpr66
	s_delay_alu instid0(VALU_DEP_2) | instskip(NEXT) | instid1(VALU_DEP_2)
	v_cmp_ge_i32_e64 s8, v69, v6
	v_cmp_lt_i32_e64 s10, v68, v7
	s_or_b32 s8, s8, s9
	s_wait_alu 0xfffe
	s_and_b32 s8, s10, s8
	s_wait_alu 0xfffe
	s_xor_b32 s9, s8, -1
	s_wait_alu 0xfffe
	s_and_saveexec_b32 s10, s9
	s_wait_alu 0xfffe
	s_xor_b32 s9, exec_lo, s10
; %bb.43:                               ;   in Loop: Header=BB28_2 Depth=1
	v_lshlrev_b32_e32 v66, 2, v69
	ds_load_b32 v66, v66 offset:4
; %bb.44:                               ;   in Loop: Header=BB28_2 Depth=1
	s_wait_alu 0xfffe
	s_or_saveexec_b32 s9, s9
	v_mov_b32_e32 v67, v65
	s_wait_alu 0xfffe
	s_xor_b32 exec_lo, exec_lo, s9
	s_cbranch_execz .LBB28_46
; %bb.45:                               ;   in Loop: Header=BB28_2 Depth=1
	s_wait_dscnt 0x0
	v_lshlrev_b32_e32 v66, 2, v68
	ds_load_b32 v67, v66 offset:4
	v_mov_b32_e32 v66, v64
.LBB28_46:                              ;   in Loop: Header=BB28_2 Depth=1
	s_or_b32 exec_lo, exec_lo, s9
	v_add_nc_u32_e32 v70, 1, v69
	v_add_nc_u32_e32 v72, 1, v68
	s_wait_dscnt 0x0
	v_cmp_lt_i32_e64 s10, v67, v66
	s_delay_alu instid0(VALU_DEP_3) | instskip(NEXT) | instid1(VALU_DEP_3)
	v_cndmask_b32_e64 v71, v70, v69, s8
	v_cndmask_b32_e64 v70, v68, v72, s8
                                        ; implicit-def: $vgpr68
	s_delay_alu instid0(VALU_DEP_2) | instskip(NEXT) | instid1(VALU_DEP_2)
	v_cmp_ge_i32_e64 s9, v71, v6
	v_cmp_lt_i32_e64 s11, v70, v7
	s_or_b32 s9, s9, s10
	s_wait_alu 0xfffe
	s_and_b32 s9, s11, s9
	s_wait_alu 0xfffe
	s_xor_b32 s10, s9, -1
	s_wait_alu 0xfffe
	s_and_saveexec_b32 s11, s10
	s_wait_alu 0xfffe
	s_xor_b32 s10, exec_lo, s11
; %bb.47:                               ;   in Loop: Header=BB28_2 Depth=1
	v_lshlrev_b32_e32 v68, 2, v71
	ds_load_b32 v68, v68 offset:4
; %bb.48:                               ;   in Loop: Header=BB28_2 Depth=1
	s_wait_alu 0xfffe
	s_or_saveexec_b32 s10, s10
	v_mov_b32_e32 v69, v67
	s_wait_alu 0xfffe
	s_xor_b32 exec_lo, exec_lo, s10
	s_cbranch_execz .LBB28_50
; %bb.49:                               ;   in Loop: Header=BB28_2 Depth=1
	s_wait_dscnt 0x0
	v_lshlrev_b32_e32 v68, 2, v70
	ds_load_b32 v69, v68 offset:4
	v_mov_b32_e32 v68, v66
.LBB28_50:                              ;   in Loop: Header=BB28_2 Depth=1
	s_or_b32 exec_lo, exec_lo, s10
	v_add_nc_u32_e32 v72, 1, v71
	v_add_nc_u32_e32 v74, 1, v70
	s_wait_dscnt 0x0
	v_cmp_lt_i32_e64 s11, v69, v68
	s_delay_alu instid0(VALU_DEP_3) | instskip(NEXT) | instid1(VALU_DEP_3)
	v_cndmask_b32_e64 v73, v72, v71, s9
	v_cndmask_b32_e64 v72, v70, v74, s9
                                        ; implicit-def: $vgpr70
	s_delay_alu instid0(VALU_DEP_2) | instskip(NEXT) | instid1(VALU_DEP_2)
	v_cmp_ge_i32_e64 s10, v73, v6
	v_cmp_lt_i32_e64 s12, v72, v7
	s_or_b32 s10, s10, s11
	s_wait_alu 0xfffe
	s_and_b32 s10, s12, s10
	s_wait_alu 0xfffe
	s_xor_b32 s11, s10, -1
	s_wait_alu 0xfffe
	s_and_saveexec_b32 s12, s11
	s_wait_alu 0xfffe
	s_xor_b32 s11, exec_lo, s12
; %bb.51:                               ;   in Loop: Header=BB28_2 Depth=1
	v_lshlrev_b32_e32 v70, 2, v73
	ds_load_b32 v70, v70 offset:4
; %bb.52:                               ;   in Loop: Header=BB28_2 Depth=1
	s_wait_alu 0xfffe
	s_or_saveexec_b32 s11, s11
	v_mov_b32_e32 v71, v69
	s_wait_alu 0xfffe
	s_xor_b32 exec_lo, exec_lo, s11
	s_cbranch_execz .LBB28_54
; %bb.53:                               ;   in Loop: Header=BB28_2 Depth=1
	s_wait_dscnt 0x0
	v_lshlrev_b32_e32 v70, 2, v72
	ds_load_b32 v71, v70 offset:4
	v_mov_b32_e32 v70, v68
.LBB28_54:                              ;   in Loop: Header=BB28_2 Depth=1
	s_or_b32 exec_lo, exec_lo, s11
	v_add_nc_u32_e32 v74, 1, v73
	v_add_nc_u32_e32 v76, 1, v72
	s_wait_dscnt 0x0
	v_cmp_lt_i32_e64 s12, v71, v70
	s_delay_alu instid0(VALU_DEP_3) | instskip(NEXT) | instid1(VALU_DEP_3)
	v_cndmask_b32_e64 v75, v74, v73, s10
	v_cndmask_b32_e64 v74, v72, v76, s10
                                        ; implicit-def: $vgpr72
	s_delay_alu instid0(VALU_DEP_2) | instskip(NEXT) | instid1(VALU_DEP_2)
	v_cmp_ge_i32_e64 s11, v75, v6
	v_cmp_lt_i32_e64 s13, v74, v7
	s_or_b32 s11, s11, s12
	s_wait_alu 0xfffe
	s_and_b32 s11, s13, s11
	s_wait_alu 0xfffe
	s_xor_b32 s12, s11, -1
	s_wait_alu 0xfffe
	s_and_saveexec_b32 s13, s12
	s_wait_alu 0xfffe
	s_xor_b32 s12, exec_lo, s13
; %bb.55:                               ;   in Loop: Header=BB28_2 Depth=1
	v_lshlrev_b32_e32 v72, 2, v75
	ds_load_b32 v72, v72 offset:4
; %bb.56:                               ;   in Loop: Header=BB28_2 Depth=1
	s_wait_alu 0xfffe
	s_or_saveexec_b32 s12, s12
	v_mov_b32_e32 v73, v71
	s_wait_alu 0xfffe
	s_xor_b32 exec_lo, exec_lo, s12
	s_cbranch_execz .LBB28_58
; %bb.57:                               ;   in Loop: Header=BB28_2 Depth=1
	s_wait_dscnt 0x0
	v_lshlrev_b32_e32 v72, 2, v74
	ds_load_b32 v73, v72 offset:4
	v_mov_b32_e32 v72, v70
.LBB28_58:                              ;   in Loop: Header=BB28_2 Depth=1
	s_or_b32 exec_lo, exec_lo, s12
	v_add_nc_u32_e32 v76, 1, v75
	v_add_nc_u32_e32 v78, 1, v74
	s_wait_dscnt 0x0
	v_cmp_lt_i32_e64 s13, v73, v72
	s_delay_alu instid0(VALU_DEP_3) | instskip(NEXT) | instid1(VALU_DEP_3)
	v_cndmask_b32_e64 v77, v76, v75, s11
	v_cndmask_b32_e64 v76, v74, v78, s11
                                        ; implicit-def: $vgpr74
	s_delay_alu instid0(VALU_DEP_2) | instskip(NEXT) | instid1(VALU_DEP_2)
	v_cmp_ge_i32_e64 s12, v77, v6
	v_cmp_lt_i32_e64 s14, v76, v7
	s_or_b32 s12, s12, s13
	s_wait_alu 0xfffe
	s_and_b32 s12, s14, s12
	s_wait_alu 0xfffe
	s_xor_b32 s13, s12, -1
	s_wait_alu 0xfffe
	s_and_saveexec_b32 s14, s13
	s_delay_alu instid0(SALU_CYCLE_1)
	s_xor_b32 s13, exec_lo, s14
; %bb.59:                               ;   in Loop: Header=BB28_2 Depth=1
	v_lshlrev_b32_e32 v74, 2, v77
	ds_load_b32 v74, v74 offset:4
; %bb.60:                               ;   in Loop: Header=BB28_2 Depth=1
	s_wait_alu 0xfffe
	s_or_saveexec_b32 s13, s13
	v_mov_b32_e32 v75, v73
	s_wait_alu 0xfffe
	s_xor_b32 exec_lo, exec_lo, s13
	s_cbranch_execz .LBB28_62
; %bb.61:                               ;   in Loop: Header=BB28_2 Depth=1
	s_wait_dscnt 0x0
	v_lshlrev_b32_e32 v74, 2, v76
	ds_load_b32 v75, v74 offset:4
	v_mov_b32_e32 v74, v72
.LBB28_62:                              ;   in Loop: Header=BB28_2 Depth=1
	s_or_b32 exec_lo, exec_lo, s13
	v_add_nc_u32_e32 v78, 1, v77
	v_add_nc_u32_e32 v79, 1, v76
	s_wait_dscnt 0x0
	v_cmp_lt_i32_e64 s14, v75, v74
	s_delay_alu instid0(VALU_DEP_3) | instskip(NEXT) | instid1(VALU_DEP_3)
	v_cndmask_b32_e64 v78, v78, v77, s12
	v_cndmask_b32_e64 v77, v76, v79, s12
                                        ; implicit-def: $vgpr76
	s_delay_alu instid0(VALU_DEP_2) | instskip(NEXT) | instid1(VALU_DEP_2)
	v_cmp_ge_i32_e64 s13, v78, v6
	v_cmp_lt_i32_e64 s15, v77, v7
	s_or_b32 s13, s13, s14
	s_wait_alu 0xfffe
	s_and_b32 s13, s15, s13
	s_wait_alu 0xfffe
	s_xor_b32 s14, s13, -1
	s_delay_alu instid0(SALU_CYCLE_1) | instskip(NEXT) | instid1(SALU_CYCLE_1)
	s_and_saveexec_b32 s15, s14
	s_xor_b32 s14, exec_lo, s15
; %bb.63:                               ;   in Loop: Header=BB28_2 Depth=1
	v_lshlrev_b32_e32 v76, 2, v78
	ds_load_b32 v76, v76 offset:4
; %bb.64:                               ;   in Loop: Header=BB28_2 Depth=1
	s_or_saveexec_b32 s14, s14
	v_mov_b32_e32 v79, v75
	s_xor_b32 exec_lo, exec_lo, s14
	s_cbranch_execz .LBB28_66
; %bb.65:                               ;   in Loop: Header=BB28_2 Depth=1
	s_wait_dscnt 0x0
	v_lshlrev_b32_e32 v76, 2, v77
	ds_load_b32 v79, v76 offset:4
	v_mov_b32_e32 v76, v74
.LBB28_66:                              ;   in Loop: Header=BB28_2 Depth=1
	s_or_b32 exec_lo, exec_lo, s14
	v_add_nc_u32_e32 v80, 1, v78
	v_add_nc_u32_e32 v81, 1, v77
	v_cndmask_b32_e64 v72, v72, v73, s12
	v_cndmask_b32_e64 v70, v70, v71, s11
	;; [unrolled: 1-line block ×5, first 2 shown]
	s_wait_dscnt 0x0
	v_cmp_lt_i32_e64 s10, v79, v76
	v_cndmask_b32_e64 v66, v66, v67, s9
	v_cndmask_b32_e64 v62, v62, v63, s7
	v_cmp_ge_i32_e64 s11, v73, v6
	v_cmp_lt_i32_e64 s9, v71, v7
	v_cndmask_b32_e64 v64, v64, v65, s8
	v_cndmask_b32_e64 v74, v74, v75, s13
	s_wait_loadcnt 0x0
	s_or_b32 s7, s11, s10
	s_barrier_signal -1
	s_wait_alu 0xfffe
	s_and_b32 s7, s9, s7
	s_barrier_wait -1
	s_wait_alu 0xfffe
	v_cndmask_b32_e64 v63, v76, v79, s7
	global_inv scope:SCOPE_SE
	ds_store_2addr_b32 v5, v62, v64 offset1:1
	ds_store_2addr_b32 v5, v66, v68 offset0:2 offset1:3
	ds_store_2addr_b32 v5, v70, v72 offset0:4 offset1:5
	;; [unrolled: 1-line block ×3, first 2 shown]
	v_mov_b32_e32 v64, v22
	s_wait_loadcnt_dscnt 0x0
	s_barrier_signal -1
	s_barrier_wait -1
	global_inv scope:SCOPE_SE
	s_and_saveexec_b32 s8, s1
	s_cbranch_execz .LBB28_70
; %bb.67:                               ;   in Loop: Header=BB28_2 Depth=1
	v_mov_b32_e32 v64, v22
	v_mov_b32_e32 v62, v23
	s_mov_b32 s9, 0
.LBB28_68:                              ;   Parent Loop BB28_2 Depth=1
                                        ; =>  This Inner Loop Header: Depth=2
	s_delay_alu instid0(VALU_DEP_1) | instskip(NEXT) | instid1(VALU_DEP_1)
	v_sub_nc_u32_e32 v63, v62, v64
	v_lshrrev_b32_e32 v63, 1, v63
	s_delay_alu instid0(VALU_DEP_1) | instskip(NEXT) | instid1(VALU_DEP_1)
	v_add_nc_u32_e32 v63, v63, v64
	v_not_b32_e32 v65, v63
	v_lshl_add_u32 v66, v63, 2, v24
	v_add_nc_u32_e32 v67, 1, v63
	s_delay_alu instid0(VALU_DEP_3)
	v_lshl_add_u32 v65, v65, 2, v56
	ds_load_b32 v66, v66
	ds_load_b32 v65, v65
	s_wait_dscnt 0x0
	v_cmp_lt_i32_e64 s7, v65, v66
	s_wait_alu 0xf1ff
	s_delay_alu instid0(VALU_DEP_1) | instskip(SKIP_1) | instid1(VALU_DEP_1)
	v_cndmask_b32_e64 v62, v62, v63, s7
	v_cndmask_b32_e64 v64, v67, v64, s7
	v_cmp_ge_i32_e64 s7, v64, v62
	s_wait_alu 0xfffe
	s_or_b32 s9, s7, s9
	s_wait_alu 0xfffe
	s_and_not1_b32 exec_lo, exec_lo, s9
	s_cbranch_execnz .LBB28_68
; %bb.69:                               ;   in Loop: Header=BB28_2 Depth=1
	s_or_b32 exec_lo, exec_lo, s9
.LBB28_70:                              ;   in Loop: Header=BB28_2 Depth=1
	s_wait_alu 0xfffe
	s_or_b32 exec_lo, exec_lo, s8
	v_sub_nc_u32_e32 v66, v26, v64
	v_lshl_add_u32 v65, v64, 2, v24
	v_add_nc_u32_e32 v67, v64, v11
                                        ; implicit-def: $vgpr64
	s_delay_alu instid0(VALU_DEP_3) | instskip(SKIP_1) | instid1(VALU_DEP_3)
	v_lshlrev_b32_e32 v68, 2, v66
	v_cmp_gt_i32_e64 s9, v14, v66
	v_cmp_le_i32_e64 s7, v13, v67
	ds_load_b32 v62, v65
	ds_load_b32 v63, v68
	s_wait_dscnt 0x0
	v_cmp_lt_i32_e64 s8, v63, v62
	s_or_b32 s7, s7, s8
	s_wait_alu 0xfffe
	s_and_b32 s7, s9, s7
	s_wait_alu 0xfffe
	s_xor_b32 s8, s7, -1
	s_wait_alu 0xfffe
	s_and_saveexec_b32 s9, s8
	s_wait_alu 0xfffe
	s_xor_b32 s8, exec_lo, s9
; %bb.71:                               ;   in Loop: Header=BB28_2 Depth=1
	ds_load_b32 v64, v65 offset:4
                                        ; implicit-def: $vgpr68
; %bb.72:                               ;   in Loop: Header=BB28_2 Depth=1
	s_wait_alu 0xfffe
	s_or_saveexec_b32 s8, s8
	v_mov_b32_e32 v65, v63
	s_wait_alu 0xfffe
	s_xor_b32 exec_lo, exec_lo, s8
	s_cbranch_execz .LBB28_74
; %bb.73:                               ;   in Loop: Header=BB28_2 Depth=1
	ds_load_b32 v65, v68 offset:4
	s_wait_dscnt 0x1
	v_mov_b32_e32 v64, v62
.LBB28_74:                              ;   in Loop: Header=BB28_2 Depth=1
	s_or_b32 exec_lo, exec_lo, s8
	v_add_nc_u32_e32 v68, 1, v67
	v_add_nc_u32_e32 v70, 1, v66
	s_wait_dscnt 0x0
	v_cmp_lt_i32_e64 s9, v65, v64
	s_delay_alu instid0(VALU_DEP_3) | instskip(NEXT) | instid1(VALU_DEP_3)
	v_cndmask_b32_e64 v69, v68, v67, s7
	v_cndmask_b32_e64 v68, v66, v70, s7
                                        ; implicit-def: $vgpr66
	s_delay_alu instid0(VALU_DEP_2) | instskip(NEXT) | instid1(VALU_DEP_2)
	v_cmp_ge_i32_e64 s8, v69, v13
	v_cmp_lt_i32_e64 s10, v68, v14
	s_or_b32 s8, s8, s9
	s_wait_alu 0xfffe
	s_and_b32 s8, s10, s8
	s_wait_alu 0xfffe
	s_xor_b32 s9, s8, -1
	s_wait_alu 0xfffe
	s_and_saveexec_b32 s10, s9
	s_wait_alu 0xfffe
	s_xor_b32 s9, exec_lo, s10
; %bb.75:                               ;   in Loop: Header=BB28_2 Depth=1
	v_lshlrev_b32_e32 v66, 2, v69
	ds_load_b32 v66, v66 offset:4
; %bb.76:                               ;   in Loop: Header=BB28_2 Depth=1
	s_wait_alu 0xfffe
	s_or_saveexec_b32 s9, s9
	v_mov_b32_e32 v67, v65
	s_wait_alu 0xfffe
	s_xor_b32 exec_lo, exec_lo, s9
	s_cbranch_execz .LBB28_78
; %bb.77:                               ;   in Loop: Header=BB28_2 Depth=1
	s_wait_dscnt 0x0
	v_lshlrev_b32_e32 v66, 2, v68
	ds_load_b32 v67, v66 offset:4
	v_mov_b32_e32 v66, v64
.LBB28_78:                              ;   in Loop: Header=BB28_2 Depth=1
	s_or_b32 exec_lo, exec_lo, s9
	v_add_nc_u32_e32 v70, 1, v69
	v_add_nc_u32_e32 v72, 1, v68
	s_wait_dscnt 0x0
	v_cmp_lt_i32_e64 s10, v67, v66
	s_delay_alu instid0(VALU_DEP_3) | instskip(NEXT) | instid1(VALU_DEP_3)
	v_cndmask_b32_e64 v71, v70, v69, s8
	v_cndmask_b32_e64 v70, v68, v72, s8
                                        ; implicit-def: $vgpr68
	s_delay_alu instid0(VALU_DEP_2) | instskip(NEXT) | instid1(VALU_DEP_2)
	v_cmp_ge_i32_e64 s9, v71, v13
	v_cmp_lt_i32_e64 s11, v70, v14
	s_or_b32 s9, s9, s10
	s_wait_alu 0xfffe
	s_and_b32 s9, s11, s9
	s_wait_alu 0xfffe
	s_xor_b32 s10, s9, -1
	s_wait_alu 0xfffe
	s_and_saveexec_b32 s11, s10
	s_wait_alu 0xfffe
	s_xor_b32 s10, exec_lo, s11
; %bb.79:                               ;   in Loop: Header=BB28_2 Depth=1
	v_lshlrev_b32_e32 v68, 2, v71
	ds_load_b32 v68, v68 offset:4
; %bb.80:                               ;   in Loop: Header=BB28_2 Depth=1
	s_wait_alu 0xfffe
	s_or_saveexec_b32 s10, s10
	v_mov_b32_e32 v69, v67
	s_wait_alu 0xfffe
	s_xor_b32 exec_lo, exec_lo, s10
	s_cbranch_execz .LBB28_82
; %bb.81:                               ;   in Loop: Header=BB28_2 Depth=1
	s_wait_dscnt 0x0
	v_lshlrev_b32_e32 v68, 2, v70
	ds_load_b32 v69, v68 offset:4
	v_mov_b32_e32 v68, v66
.LBB28_82:                              ;   in Loop: Header=BB28_2 Depth=1
	s_or_b32 exec_lo, exec_lo, s10
	v_add_nc_u32_e32 v72, 1, v71
	v_add_nc_u32_e32 v74, 1, v70
	s_wait_dscnt 0x0
	v_cmp_lt_i32_e64 s11, v69, v68
	s_delay_alu instid0(VALU_DEP_3) | instskip(NEXT) | instid1(VALU_DEP_3)
	v_cndmask_b32_e64 v73, v72, v71, s9
	v_cndmask_b32_e64 v72, v70, v74, s9
                                        ; implicit-def: $vgpr70
	s_delay_alu instid0(VALU_DEP_2) | instskip(NEXT) | instid1(VALU_DEP_2)
	v_cmp_ge_i32_e64 s10, v73, v13
	v_cmp_lt_i32_e64 s12, v72, v14
	s_or_b32 s10, s10, s11
	s_wait_alu 0xfffe
	s_and_b32 s10, s12, s10
	s_wait_alu 0xfffe
	s_xor_b32 s11, s10, -1
	s_wait_alu 0xfffe
	s_and_saveexec_b32 s12, s11
	s_wait_alu 0xfffe
	s_xor_b32 s11, exec_lo, s12
; %bb.83:                               ;   in Loop: Header=BB28_2 Depth=1
	v_lshlrev_b32_e32 v70, 2, v73
	ds_load_b32 v70, v70 offset:4
; %bb.84:                               ;   in Loop: Header=BB28_2 Depth=1
	s_wait_alu 0xfffe
	s_or_saveexec_b32 s11, s11
	v_mov_b32_e32 v71, v69
	s_wait_alu 0xfffe
	s_xor_b32 exec_lo, exec_lo, s11
	s_cbranch_execz .LBB28_86
; %bb.85:                               ;   in Loop: Header=BB28_2 Depth=1
	s_wait_dscnt 0x0
	v_lshlrev_b32_e32 v70, 2, v72
	ds_load_b32 v71, v70 offset:4
	v_mov_b32_e32 v70, v68
.LBB28_86:                              ;   in Loop: Header=BB28_2 Depth=1
	s_or_b32 exec_lo, exec_lo, s11
	v_add_nc_u32_e32 v74, 1, v73
	v_add_nc_u32_e32 v76, 1, v72
	s_wait_dscnt 0x0
	v_cmp_lt_i32_e64 s12, v71, v70
	s_delay_alu instid0(VALU_DEP_3) | instskip(NEXT) | instid1(VALU_DEP_3)
	v_cndmask_b32_e64 v75, v74, v73, s10
	v_cndmask_b32_e64 v74, v72, v76, s10
                                        ; implicit-def: $vgpr72
	s_delay_alu instid0(VALU_DEP_2) | instskip(NEXT) | instid1(VALU_DEP_2)
	v_cmp_ge_i32_e64 s11, v75, v13
	v_cmp_lt_i32_e64 s13, v74, v14
	s_or_b32 s11, s11, s12
	s_wait_alu 0xfffe
	s_and_b32 s11, s13, s11
	s_wait_alu 0xfffe
	s_xor_b32 s12, s11, -1
	s_wait_alu 0xfffe
	s_and_saveexec_b32 s13, s12
	s_wait_alu 0xfffe
	s_xor_b32 s12, exec_lo, s13
; %bb.87:                               ;   in Loop: Header=BB28_2 Depth=1
	v_lshlrev_b32_e32 v72, 2, v75
	ds_load_b32 v72, v72 offset:4
; %bb.88:                               ;   in Loop: Header=BB28_2 Depth=1
	s_wait_alu 0xfffe
	s_or_saveexec_b32 s12, s12
	v_mov_b32_e32 v73, v71
	s_wait_alu 0xfffe
	s_xor_b32 exec_lo, exec_lo, s12
	s_cbranch_execz .LBB28_90
; %bb.89:                               ;   in Loop: Header=BB28_2 Depth=1
	s_wait_dscnt 0x0
	v_lshlrev_b32_e32 v72, 2, v74
	ds_load_b32 v73, v72 offset:4
	v_mov_b32_e32 v72, v70
.LBB28_90:                              ;   in Loop: Header=BB28_2 Depth=1
	s_or_b32 exec_lo, exec_lo, s12
	v_add_nc_u32_e32 v76, 1, v75
	v_add_nc_u32_e32 v78, 1, v74
	s_wait_dscnt 0x0
	v_cmp_lt_i32_e64 s13, v73, v72
	s_delay_alu instid0(VALU_DEP_3) | instskip(NEXT) | instid1(VALU_DEP_3)
	v_cndmask_b32_e64 v77, v76, v75, s11
	v_cndmask_b32_e64 v76, v74, v78, s11
                                        ; implicit-def: $vgpr74
	s_delay_alu instid0(VALU_DEP_2) | instskip(NEXT) | instid1(VALU_DEP_2)
	v_cmp_ge_i32_e64 s12, v77, v13
	v_cmp_lt_i32_e64 s14, v76, v14
	s_or_b32 s12, s12, s13
	s_wait_alu 0xfffe
	s_and_b32 s12, s14, s12
	s_wait_alu 0xfffe
	s_xor_b32 s13, s12, -1
	s_wait_alu 0xfffe
	s_and_saveexec_b32 s14, s13
	s_delay_alu instid0(SALU_CYCLE_1)
	s_xor_b32 s13, exec_lo, s14
; %bb.91:                               ;   in Loop: Header=BB28_2 Depth=1
	v_lshlrev_b32_e32 v74, 2, v77
	ds_load_b32 v74, v74 offset:4
; %bb.92:                               ;   in Loop: Header=BB28_2 Depth=1
	s_wait_alu 0xfffe
	s_or_saveexec_b32 s13, s13
	v_mov_b32_e32 v75, v73
	s_wait_alu 0xfffe
	s_xor_b32 exec_lo, exec_lo, s13
	s_cbranch_execz .LBB28_94
; %bb.93:                               ;   in Loop: Header=BB28_2 Depth=1
	s_wait_dscnt 0x0
	v_lshlrev_b32_e32 v74, 2, v76
	ds_load_b32 v75, v74 offset:4
	v_mov_b32_e32 v74, v72
.LBB28_94:                              ;   in Loop: Header=BB28_2 Depth=1
	s_or_b32 exec_lo, exec_lo, s13
	v_add_nc_u32_e32 v78, 1, v77
	v_add_nc_u32_e32 v79, 1, v76
	s_wait_dscnt 0x0
	v_cmp_lt_i32_e64 s14, v75, v74
	s_delay_alu instid0(VALU_DEP_3) | instskip(NEXT) | instid1(VALU_DEP_3)
	v_cndmask_b32_e64 v78, v78, v77, s12
	v_cndmask_b32_e64 v77, v76, v79, s12
                                        ; implicit-def: $vgpr76
	s_delay_alu instid0(VALU_DEP_2) | instskip(NEXT) | instid1(VALU_DEP_2)
	v_cmp_ge_i32_e64 s13, v78, v13
	v_cmp_lt_i32_e64 s15, v77, v14
	s_or_b32 s13, s13, s14
	s_wait_alu 0xfffe
	s_and_b32 s13, s15, s13
	s_wait_alu 0xfffe
	s_xor_b32 s14, s13, -1
	s_delay_alu instid0(SALU_CYCLE_1) | instskip(NEXT) | instid1(SALU_CYCLE_1)
	s_and_saveexec_b32 s15, s14
	s_xor_b32 s14, exec_lo, s15
; %bb.95:                               ;   in Loop: Header=BB28_2 Depth=1
	v_lshlrev_b32_e32 v76, 2, v78
	ds_load_b32 v76, v76 offset:4
; %bb.96:                               ;   in Loop: Header=BB28_2 Depth=1
	s_or_saveexec_b32 s14, s14
	v_mov_b32_e32 v79, v75
	s_xor_b32 exec_lo, exec_lo, s14
	s_cbranch_execz .LBB28_98
; %bb.97:                               ;   in Loop: Header=BB28_2 Depth=1
	s_wait_dscnt 0x0
	v_lshlrev_b32_e32 v76, 2, v77
	ds_load_b32 v79, v76 offset:4
	v_mov_b32_e32 v76, v74
.LBB28_98:                              ;   in Loop: Header=BB28_2 Depth=1
	s_or_b32 exec_lo, exec_lo, s14
	v_add_nc_u32_e32 v80, 1, v78
	v_add_nc_u32_e32 v81, 1, v77
	v_cndmask_b32_e64 v72, v72, v73, s12
	v_cndmask_b32_e64 v70, v70, v71, s11
	;; [unrolled: 1-line block ×5, first 2 shown]
	s_wait_dscnt 0x0
	v_cmp_lt_i32_e64 s10, v79, v76
	v_cndmask_b32_e64 v66, v66, v67, s9
	v_cndmask_b32_e64 v62, v62, v63, s7
	v_cmp_ge_i32_e64 s11, v73, v13
	v_cmp_lt_i32_e64 s9, v71, v14
	v_cndmask_b32_e64 v64, v64, v65, s8
	v_cndmask_b32_e64 v74, v74, v75, s13
	s_wait_loadcnt 0x0
	s_or_b32 s7, s11, s10
	s_barrier_signal -1
	s_wait_alu 0xfffe
	s_and_b32 s7, s9, s7
	s_barrier_wait -1
	s_wait_alu 0xfffe
	v_cndmask_b32_e64 v63, v76, v79, s7
	global_inv scope:SCOPE_SE
	ds_store_2addr_b32 v5, v62, v64 offset1:1
	ds_store_2addr_b32 v5, v66, v68 offset0:2 offset1:3
	ds_store_2addr_b32 v5, v70, v72 offset0:4 offset1:5
	;; [unrolled: 1-line block ×3, first 2 shown]
	v_mov_b32_e32 v64, v29
	s_wait_loadcnt_dscnt 0x0
	s_barrier_signal -1
	s_barrier_wait -1
	global_inv scope:SCOPE_SE
	s_and_saveexec_b32 s8, s2
	s_cbranch_execz .LBB28_102
; %bb.99:                               ;   in Loop: Header=BB28_2 Depth=1
	v_mov_b32_e32 v64, v29
	v_mov_b32_e32 v62, v30
	s_mov_b32 s9, 0
.LBB28_100:                             ;   Parent Loop BB28_2 Depth=1
                                        ; =>  This Inner Loop Header: Depth=2
	s_delay_alu instid0(VALU_DEP_1) | instskip(NEXT) | instid1(VALU_DEP_1)
	v_sub_nc_u32_e32 v63, v62, v64
	v_lshrrev_b32_e32 v63, 1, v63
	s_delay_alu instid0(VALU_DEP_1) | instskip(NEXT) | instid1(VALU_DEP_1)
	v_add_nc_u32_e32 v63, v63, v64
	v_not_b32_e32 v65, v63
	v_lshl_add_u32 v66, v63, 2, v31
	v_add_nc_u32_e32 v67, 1, v63
	s_delay_alu instid0(VALU_DEP_3)
	v_lshl_add_u32 v65, v65, 2, v57
	ds_load_b32 v66, v66
	ds_load_b32 v65, v65
	s_wait_dscnt 0x0
	v_cmp_lt_i32_e64 s7, v65, v66
	s_wait_alu 0xf1ff
	s_delay_alu instid0(VALU_DEP_1) | instskip(SKIP_1) | instid1(VALU_DEP_1)
	v_cndmask_b32_e64 v62, v62, v63, s7
	v_cndmask_b32_e64 v64, v67, v64, s7
	v_cmp_ge_i32_e64 s7, v64, v62
	s_wait_alu 0xfffe
	s_or_b32 s9, s7, s9
	s_wait_alu 0xfffe
	s_and_not1_b32 exec_lo, exec_lo, s9
	s_cbranch_execnz .LBB28_100
; %bb.101:                              ;   in Loop: Header=BB28_2 Depth=1
	s_or_b32 exec_lo, exec_lo, s9
.LBB28_102:                             ;   in Loop: Header=BB28_2 Depth=1
	s_wait_alu 0xfffe
	s_or_b32 exec_lo, exec_lo, s8
	v_sub_nc_u32_e32 v66, v33, v64
	v_lshl_add_u32 v65, v64, 2, v31
	v_add_nc_u32_e32 v67, v64, v18
                                        ; implicit-def: $vgpr64
	s_delay_alu instid0(VALU_DEP_3) | instskip(SKIP_1) | instid1(VALU_DEP_3)
	v_lshlrev_b32_e32 v68, 2, v66
	v_cmp_gt_i32_e64 s9, v21, v66
	v_cmp_le_i32_e64 s7, v20, v67
	ds_load_b32 v62, v65
	ds_load_b32 v63, v68
	s_wait_dscnt 0x0
	v_cmp_lt_i32_e64 s8, v63, v62
	s_or_b32 s7, s7, s8
	s_wait_alu 0xfffe
	s_and_b32 s7, s9, s7
	s_wait_alu 0xfffe
	s_xor_b32 s8, s7, -1
	s_wait_alu 0xfffe
	s_and_saveexec_b32 s9, s8
	s_wait_alu 0xfffe
	s_xor_b32 s8, exec_lo, s9
; %bb.103:                              ;   in Loop: Header=BB28_2 Depth=1
	ds_load_b32 v64, v65 offset:4
                                        ; implicit-def: $vgpr68
; %bb.104:                              ;   in Loop: Header=BB28_2 Depth=1
	s_wait_alu 0xfffe
	s_or_saveexec_b32 s8, s8
	v_mov_b32_e32 v65, v63
	s_wait_alu 0xfffe
	s_xor_b32 exec_lo, exec_lo, s8
	s_cbranch_execz .LBB28_106
; %bb.105:                              ;   in Loop: Header=BB28_2 Depth=1
	ds_load_b32 v65, v68 offset:4
	s_wait_dscnt 0x1
	v_mov_b32_e32 v64, v62
.LBB28_106:                             ;   in Loop: Header=BB28_2 Depth=1
	s_or_b32 exec_lo, exec_lo, s8
	v_add_nc_u32_e32 v68, 1, v67
	v_add_nc_u32_e32 v70, 1, v66
	s_wait_dscnt 0x0
	v_cmp_lt_i32_e64 s9, v65, v64
	s_delay_alu instid0(VALU_DEP_3) | instskip(NEXT) | instid1(VALU_DEP_3)
	v_cndmask_b32_e64 v69, v68, v67, s7
	v_cndmask_b32_e64 v68, v66, v70, s7
                                        ; implicit-def: $vgpr66
	s_delay_alu instid0(VALU_DEP_2) | instskip(NEXT) | instid1(VALU_DEP_2)
	v_cmp_ge_i32_e64 s8, v69, v20
	v_cmp_lt_i32_e64 s10, v68, v21
	s_or_b32 s8, s8, s9
	s_wait_alu 0xfffe
	s_and_b32 s8, s10, s8
	s_wait_alu 0xfffe
	s_xor_b32 s9, s8, -1
	s_wait_alu 0xfffe
	s_and_saveexec_b32 s10, s9
	s_wait_alu 0xfffe
	s_xor_b32 s9, exec_lo, s10
; %bb.107:                              ;   in Loop: Header=BB28_2 Depth=1
	v_lshlrev_b32_e32 v66, 2, v69
	ds_load_b32 v66, v66 offset:4
; %bb.108:                              ;   in Loop: Header=BB28_2 Depth=1
	s_wait_alu 0xfffe
	s_or_saveexec_b32 s9, s9
	v_mov_b32_e32 v67, v65
	s_wait_alu 0xfffe
	s_xor_b32 exec_lo, exec_lo, s9
	s_cbranch_execz .LBB28_110
; %bb.109:                              ;   in Loop: Header=BB28_2 Depth=1
	s_wait_dscnt 0x0
	v_lshlrev_b32_e32 v66, 2, v68
	ds_load_b32 v67, v66 offset:4
	v_mov_b32_e32 v66, v64
.LBB28_110:                             ;   in Loop: Header=BB28_2 Depth=1
	s_or_b32 exec_lo, exec_lo, s9
	v_add_nc_u32_e32 v70, 1, v69
	v_add_nc_u32_e32 v72, 1, v68
	s_wait_dscnt 0x0
	v_cmp_lt_i32_e64 s10, v67, v66
	s_delay_alu instid0(VALU_DEP_3) | instskip(NEXT) | instid1(VALU_DEP_3)
	v_cndmask_b32_e64 v71, v70, v69, s8
	v_cndmask_b32_e64 v70, v68, v72, s8
                                        ; implicit-def: $vgpr68
	s_delay_alu instid0(VALU_DEP_2) | instskip(NEXT) | instid1(VALU_DEP_2)
	v_cmp_ge_i32_e64 s9, v71, v20
	v_cmp_lt_i32_e64 s11, v70, v21
	s_or_b32 s9, s9, s10
	s_wait_alu 0xfffe
	s_and_b32 s9, s11, s9
	s_wait_alu 0xfffe
	s_xor_b32 s10, s9, -1
	s_wait_alu 0xfffe
	s_and_saveexec_b32 s11, s10
	s_wait_alu 0xfffe
	s_xor_b32 s10, exec_lo, s11
; %bb.111:                              ;   in Loop: Header=BB28_2 Depth=1
	v_lshlrev_b32_e32 v68, 2, v71
	ds_load_b32 v68, v68 offset:4
; %bb.112:                              ;   in Loop: Header=BB28_2 Depth=1
	s_wait_alu 0xfffe
	s_or_saveexec_b32 s10, s10
	v_mov_b32_e32 v69, v67
	s_wait_alu 0xfffe
	s_xor_b32 exec_lo, exec_lo, s10
	s_cbranch_execz .LBB28_114
; %bb.113:                              ;   in Loop: Header=BB28_2 Depth=1
	s_wait_dscnt 0x0
	v_lshlrev_b32_e32 v68, 2, v70
	ds_load_b32 v69, v68 offset:4
	v_mov_b32_e32 v68, v66
.LBB28_114:                             ;   in Loop: Header=BB28_2 Depth=1
	s_or_b32 exec_lo, exec_lo, s10
	v_add_nc_u32_e32 v72, 1, v71
	v_add_nc_u32_e32 v74, 1, v70
	s_wait_dscnt 0x0
	v_cmp_lt_i32_e64 s11, v69, v68
	s_delay_alu instid0(VALU_DEP_3) | instskip(NEXT) | instid1(VALU_DEP_3)
	v_cndmask_b32_e64 v73, v72, v71, s9
	v_cndmask_b32_e64 v72, v70, v74, s9
                                        ; implicit-def: $vgpr70
	s_delay_alu instid0(VALU_DEP_2) | instskip(NEXT) | instid1(VALU_DEP_2)
	v_cmp_ge_i32_e64 s10, v73, v20
	v_cmp_lt_i32_e64 s12, v72, v21
	s_or_b32 s10, s10, s11
	s_wait_alu 0xfffe
	s_and_b32 s10, s12, s10
	s_wait_alu 0xfffe
	s_xor_b32 s11, s10, -1
	s_wait_alu 0xfffe
	s_and_saveexec_b32 s12, s11
	s_wait_alu 0xfffe
	s_xor_b32 s11, exec_lo, s12
; %bb.115:                              ;   in Loop: Header=BB28_2 Depth=1
	v_lshlrev_b32_e32 v70, 2, v73
	ds_load_b32 v70, v70 offset:4
; %bb.116:                              ;   in Loop: Header=BB28_2 Depth=1
	s_wait_alu 0xfffe
	s_or_saveexec_b32 s11, s11
	v_mov_b32_e32 v71, v69
	s_wait_alu 0xfffe
	s_xor_b32 exec_lo, exec_lo, s11
	s_cbranch_execz .LBB28_118
; %bb.117:                              ;   in Loop: Header=BB28_2 Depth=1
	s_wait_dscnt 0x0
	v_lshlrev_b32_e32 v70, 2, v72
	ds_load_b32 v71, v70 offset:4
	v_mov_b32_e32 v70, v68
.LBB28_118:                             ;   in Loop: Header=BB28_2 Depth=1
	s_or_b32 exec_lo, exec_lo, s11
	v_add_nc_u32_e32 v74, 1, v73
	v_add_nc_u32_e32 v76, 1, v72
	s_wait_dscnt 0x0
	v_cmp_lt_i32_e64 s12, v71, v70
	s_delay_alu instid0(VALU_DEP_3) | instskip(NEXT) | instid1(VALU_DEP_3)
	v_cndmask_b32_e64 v75, v74, v73, s10
	v_cndmask_b32_e64 v74, v72, v76, s10
                                        ; implicit-def: $vgpr72
	s_delay_alu instid0(VALU_DEP_2) | instskip(NEXT) | instid1(VALU_DEP_2)
	v_cmp_ge_i32_e64 s11, v75, v20
	v_cmp_lt_i32_e64 s13, v74, v21
	s_or_b32 s11, s11, s12
	s_wait_alu 0xfffe
	s_and_b32 s11, s13, s11
	s_wait_alu 0xfffe
	s_xor_b32 s12, s11, -1
	s_wait_alu 0xfffe
	s_and_saveexec_b32 s13, s12
	s_wait_alu 0xfffe
	s_xor_b32 s12, exec_lo, s13
; %bb.119:                              ;   in Loop: Header=BB28_2 Depth=1
	v_lshlrev_b32_e32 v72, 2, v75
	ds_load_b32 v72, v72 offset:4
; %bb.120:                              ;   in Loop: Header=BB28_2 Depth=1
	s_wait_alu 0xfffe
	s_or_saveexec_b32 s12, s12
	v_mov_b32_e32 v73, v71
	s_wait_alu 0xfffe
	s_xor_b32 exec_lo, exec_lo, s12
	s_cbranch_execz .LBB28_122
; %bb.121:                              ;   in Loop: Header=BB28_2 Depth=1
	s_wait_dscnt 0x0
	v_lshlrev_b32_e32 v72, 2, v74
	ds_load_b32 v73, v72 offset:4
	v_mov_b32_e32 v72, v70
.LBB28_122:                             ;   in Loop: Header=BB28_2 Depth=1
	s_or_b32 exec_lo, exec_lo, s12
	v_add_nc_u32_e32 v76, 1, v75
	v_add_nc_u32_e32 v78, 1, v74
	s_wait_dscnt 0x0
	v_cmp_lt_i32_e64 s13, v73, v72
	s_delay_alu instid0(VALU_DEP_3) | instskip(NEXT) | instid1(VALU_DEP_3)
	v_cndmask_b32_e64 v77, v76, v75, s11
	v_cndmask_b32_e64 v76, v74, v78, s11
                                        ; implicit-def: $vgpr74
	s_delay_alu instid0(VALU_DEP_2) | instskip(NEXT) | instid1(VALU_DEP_2)
	v_cmp_ge_i32_e64 s12, v77, v20
	v_cmp_lt_i32_e64 s14, v76, v21
	s_or_b32 s12, s12, s13
	s_wait_alu 0xfffe
	s_and_b32 s12, s14, s12
	s_wait_alu 0xfffe
	s_xor_b32 s13, s12, -1
	s_wait_alu 0xfffe
	s_and_saveexec_b32 s14, s13
	s_delay_alu instid0(SALU_CYCLE_1)
	s_xor_b32 s13, exec_lo, s14
; %bb.123:                              ;   in Loop: Header=BB28_2 Depth=1
	v_lshlrev_b32_e32 v74, 2, v77
	ds_load_b32 v74, v74 offset:4
; %bb.124:                              ;   in Loop: Header=BB28_2 Depth=1
	s_wait_alu 0xfffe
	s_or_saveexec_b32 s13, s13
	v_mov_b32_e32 v75, v73
	s_wait_alu 0xfffe
	s_xor_b32 exec_lo, exec_lo, s13
	s_cbranch_execz .LBB28_126
; %bb.125:                              ;   in Loop: Header=BB28_2 Depth=1
	s_wait_dscnt 0x0
	v_lshlrev_b32_e32 v74, 2, v76
	ds_load_b32 v75, v74 offset:4
	v_mov_b32_e32 v74, v72
.LBB28_126:                             ;   in Loop: Header=BB28_2 Depth=1
	s_or_b32 exec_lo, exec_lo, s13
	v_add_nc_u32_e32 v78, 1, v77
	v_add_nc_u32_e32 v79, 1, v76
	s_wait_dscnt 0x0
	v_cmp_lt_i32_e64 s14, v75, v74
	s_delay_alu instid0(VALU_DEP_3) | instskip(NEXT) | instid1(VALU_DEP_3)
	v_cndmask_b32_e64 v78, v78, v77, s12
	v_cndmask_b32_e64 v77, v76, v79, s12
                                        ; implicit-def: $vgpr76
	s_delay_alu instid0(VALU_DEP_2) | instskip(NEXT) | instid1(VALU_DEP_2)
	v_cmp_ge_i32_e64 s13, v78, v20
	v_cmp_lt_i32_e64 s15, v77, v21
	s_or_b32 s13, s13, s14
	s_wait_alu 0xfffe
	s_and_b32 s13, s15, s13
	s_wait_alu 0xfffe
	s_xor_b32 s14, s13, -1
	s_delay_alu instid0(SALU_CYCLE_1) | instskip(NEXT) | instid1(SALU_CYCLE_1)
	s_and_saveexec_b32 s15, s14
	s_xor_b32 s14, exec_lo, s15
; %bb.127:                              ;   in Loop: Header=BB28_2 Depth=1
	v_lshlrev_b32_e32 v76, 2, v78
	ds_load_b32 v76, v76 offset:4
; %bb.128:                              ;   in Loop: Header=BB28_2 Depth=1
	s_or_saveexec_b32 s14, s14
	v_mov_b32_e32 v79, v75
	s_xor_b32 exec_lo, exec_lo, s14
	s_cbranch_execz .LBB28_130
; %bb.129:                              ;   in Loop: Header=BB28_2 Depth=1
	s_wait_dscnt 0x0
	v_lshlrev_b32_e32 v76, 2, v77
	ds_load_b32 v79, v76 offset:4
	v_mov_b32_e32 v76, v74
.LBB28_130:                             ;   in Loop: Header=BB28_2 Depth=1
	s_or_b32 exec_lo, exec_lo, s14
	v_add_nc_u32_e32 v80, 1, v78
	v_add_nc_u32_e32 v81, 1, v77
	v_cndmask_b32_e64 v72, v72, v73, s12
	v_cndmask_b32_e64 v70, v70, v71, s11
	;; [unrolled: 1-line block ×5, first 2 shown]
	s_wait_dscnt 0x0
	v_cmp_lt_i32_e64 s10, v79, v76
	v_cndmask_b32_e64 v66, v66, v67, s9
	v_cndmask_b32_e64 v62, v62, v63, s7
	v_cmp_ge_i32_e64 s11, v73, v20
	v_cmp_lt_i32_e64 s9, v71, v21
	v_cndmask_b32_e64 v64, v64, v65, s8
	v_cndmask_b32_e64 v74, v74, v75, s13
	s_wait_loadcnt 0x0
	s_or_b32 s7, s11, s10
	s_barrier_signal -1
	s_wait_alu 0xfffe
	s_and_b32 s7, s9, s7
	s_barrier_wait -1
	s_wait_alu 0xfffe
	v_cndmask_b32_e64 v63, v76, v79, s7
	global_inv scope:SCOPE_SE
	ds_store_2addr_b32 v5, v62, v64 offset1:1
	ds_store_2addr_b32 v5, v66, v68 offset0:2 offset1:3
	ds_store_2addr_b32 v5, v70, v72 offset0:4 offset1:5
	;; [unrolled: 1-line block ×3, first 2 shown]
	v_mov_b32_e32 v64, v36
	s_wait_loadcnt_dscnt 0x0
	s_barrier_signal -1
	s_barrier_wait -1
	global_inv scope:SCOPE_SE
	s_and_saveexec_b32 s8, s3
	s_cbranch_execz .LBB28_134
; %bb.131:                              ;   in Loop: Header=BB28_2 Depth=1
	v_mov_b32_e32 v64, v36
	v_mov_b32_e32 v62, v38
	s_mov_b32 s9, 0
.LBB28_132:                             ;   Parent Loop BB28_2 Depth=1
                                        ; =>  This Inner Loop Header: Depth=2
	s_delay_alu instid0(VALU_DEP_1) | instskip(NEXT) | instid1(VALU_DEP_1)
	v_sub_nc_u32_e32 v63, v62, v64
	v_lshrrev_b32_e32 v63, 1, v63
	s_delay_alu instid0(VALU_DEP_1) | instskip(NEXT) | instid1(VALU_DEP_1)
	v_add_nc_u32_e32 v63, v63, v64
	v_not_b32_e32 v65, v63
	v_lshl_add_u32 v66, v63, 2, v39
	v_add_nc_u32_e32 v67, 1, v63
	s_delay_alu instid0(VALU_DEP_3)
	v_lshl_add_u32 v65, v65, 2, v58
	ds_load_b32 v66, v66
	ds_load_b32 v65, v65
	s_wait_dscnt 0x0
	v_cmp_lt_i32_e64 s7, v65, v66
	s_wait_alu 0xf1ff
	s_delay_alu instid0(VALU_DEP_1) | instskip(SKIP_1) | instid1(VALU_DEP_1)
	v_cndmask_b32_e64 v62, v62, v63, s7
	v_cndmask_b32_e64 v64, v67, v64, s7
	v_cmp_ge_i32_e64 s7, v64, v62
	s_wait_alu 0xfffe
	s_or_b32 s9, s7, s9
	s_wait_alu 0xfffe
	s_and_not1_b32 exec_lo, exec_lo, s9
	s_cbranch_execnz .LBB28_132
; %bb.133:                              ;   in Loop: Header=BB28_2 Depth=1
	s_or_b32 exec_lo, exec_lo, s9
.LBB28_134:                             ;   in Loop: Header=BB28_2 Depth=1
	s_wait_alu 0xfffe
	s_or_b32 exec_lo, exec_lo, s8
	v_sub_nc_u32_e32 v66, v44, v64
	v_lshl_add_u32 v65, v64, 2, v39
	v_add_nc_u32_e32 v67, v64, v25
                                        ; implicit-def: $vgpr64
	s_delay_alu instid0(VALU_DEP_3) | instskip(SKIP_1) | instid1(VALU_DEP_3)
	v_lshlrev_b32_e32 v68, 2, v66
	v_cmp_gt_i32_e64 s9, v28, v66
	v_cmp_le_i32_e64 s7, v27, v67
	ds_load_b32 v62, v65
	ds_load_b32 v63, v68
	s_wait_dscnt 0x0
	v_cmp_lt_i32_e64 s8, v63, v62
	s_or_b32 s7, s7, s8
	s_wait_alu 0xfffe
	s_and_b32 s7, s9, s7
	s_wait_alu 0xfffe
	s_xor_b32 s8, s7, -1
	s_wait_alu 0xfffe
	s_and_saveexec_b32 s9, s8
	s_wait_alu 0xfffe
	s_xor_b32 s8, exec_lo, s9
; %bb.135:                              ;   in Loop: Header=BB28_2 Depth=1
	ds_load_b32 v64, v65 offset:4
                                        ; implicit-def: $vgpr68
; %bb.136:                              ;   in Loop: Header=BB28_2 Depth=1
	s_wait_alu 0xfffe
	s_or_saveexec_b32 s8, s8
	v_mov_b32_e32 v65, v63
	s_wait_alu 0xfffe
	s_xor_b32 exec_lo, exec_lo, s8
	s_cbranch_execz .LBB28_138
; %bb.137:                              ;   in Loop: Header=BB28_2 Depth=1
	ds_load_b32 v65, v68 offset:4
	s_wait_dscnt 0x1
	v_mov_b32_e32 v64, v62
.LBB28_138:                             ;   in Loop: Header=BB28_2 Depth=1
	s_or_b32 exec_lo, exec_lo, s8
	v_add_nc_u32_e32 v68, 1, v67
	v_add_nc_u32_e32 v70, 1, v66
	s_wait_dscnt 0x0
	v_cmp_lt_i32_e64 s9, v65, v64
	s_delay_alu instid0(VALU_DEP_3) | instskip(NEXT) | instid1(VALU_DEP_3)
	v_cndmask_b32_e64 v69, v68, v67, s7
	v_cndmask_b32_e64 v68, v66, v70, s7
                                        ; implicit-def: $vgpr66
	s_delay_alu instid0(VALU_DEP_2) | instskip(NEXT) | instid1(VALU_DEP_2)
	v_cmp_ge_i32_e64 s8, v69, v27
	v_cmp_lt_i32_e64 s10, v68, v28
	s_or_b32 s8, s8, s9
	s_wait_alu 0xfffe
	s_and_b32 s8, s10, s8
	s_wait_alu 0xfffe
	s_xor_b32 s9, s8, -1
	s_wait_alu 0xfffe
	s_and_saveexec_b32 s10, s9
	s_wait_alu 0xfffe
	s_xor_b32 s9, exec_lo, s10
; %bb.139:                              ;   in Loop: Header=BB28_2 Depth=1
	v_lshlrev_b32_e32 v66, 2, v69
	ds_load_b32 v66, v66 offset:4
; %bb.140:                              ;   in Loop: Header=BB28_2 Depth=1
	s_wait_alu 0xfffe
	s_or_saveexec_b32 s9, s9
	v_mov_b32_e32 v67, v65
	s_wait_alu 0xfffe
	s_xor_b32 exec_lo, exec_lo, s9
	s_cbranch_execz .LBB28_142
; %bb.141:                              ;   in Loop: Header=BB28_2 Depth=1
	s_wait_dscnt 0x0
	v_lshlrev_b32_e32 v66, 2, v68
	ds_load_b32 v67, v66 offset:4
	v_mov_b32_e32 v66, v64
.LBB28_142:                             ;   in Loop: Header=BB28_2 Depth=1
	s_or_b32 exec_lo, exec_lo, s9
	v_add_nc_u32_e32 v70, 1, v69
	v_add_nc_u32_e32 v72, 1, v68
	s_wait_dscnt 0x0
	v_cmp_lt_i32_e64 s10, v67, v66
	s_delay_alu instid0(VALU_DEP_3) | instskip(NEXT) | instid1(VALU_DEP_3)
	v_cndmask_b32_e64 v71, v70, v69, s8
	v_cndmask_b32_e64 v70, v68, v72, s8
                                        ; implicit-def: $vgpr68
	s_delay_alu instid0(VALU_DEP_2) | instskip(NEXT) | instid1(VALU_DEP_2)
	v_cmp_ge_i32_e64 s9, v71, v27
	v_cmp_lt_i32_e64 s11, v70, v28
	s_or_b32 s9, s9, s10
	s_wait_alu 0xfffe
	s_and_b32 s9, s11, s9
	s_wait_alu 0xfffe
	s_xor_b32 s10, s9, -1
	s_wait_alu 0xfffe
	s_and_saveexec_b32 s11, s10
	s_wait_alu 0xfffe
	s_xor_b32 s10, exec_lo, s11
; %bb.143:                              ;   in Loop: Header=BB28_2 Depth=1
	v_lshlrev_b32_e32 v68, 2, v71
	ds_load_b32 v68, v68 offset:4
; %bb.144:                              ;   in Loop: Header=BB28_2 Depth=1
	s_wait_alu 0xfffe
	s_or_saveexec_b32 s10, s10
	v_mov_b32_e32 v69, v67
	s_wait_alu 0xfffe
	s_xor_b32 exec_lo, exec_lo, s10
	s_cbranch_execz .LBB28_146
; %bb.145:                              ;   in Loop: Header=BB28_2 Depth=1
	s_wait_dscnt 0x0
	v_lshlrev_b32_e32 v68, 2, v70
	ds_load_b32 v69, v68 offset:4
	v_mov_b32_e32 v68, v66
.LBB28_146:                             ;   in Loop: Header=BB28_2 Depth=1
	s_or_b32 exec_lo, exec_lo, s10
	v_add_nc_u32_e32 v72, 1, v71
	v_add_nc_u32_e32 v74, 1, v70
	s_wait_dscnt 0x0
	v_cmp_lt_i32_e64 s11, v69, v68
	s_delay_alu instid0(VALU_DEP_3) | instskip(NEXT) | instid1(VALU_DEP_3)
	v_cndmask_b32_e64 v73, v72, v71, s9
	v_cndmask_b32_e64 v72, v70, v74, s9
                                        ; implicit-def: $vgpr70
	s_delay_alu instid0(VALU_DEP_2) | instskip(NEXT) | instid1(VALU_DEP_2)
	v_cmp_ge_i32_e64 s10, v73, v27
	v_cmp_lt_i32_e64 s12, v72, v28
	s_or_b32 s10, s10, s11
	s_wait_alu 0xfffe
	s_and_b32 s10, s12, s10
	s_wait_alu 0xfffe
	s_xor_b32 s11, s10, -1
	s_wait_alu 0xfffe
	s_and_saveexec_b32 s12, s11
	s_wait_alu 0xfffe
	s_xor_b32 s11, exec_lo, s12
; %bb.147:                              ;   in Loop: Header=BB28_2 Depth=1
	v_lshlrev_b32_e32 v70, 2, v73
	ds_load_b32 v70, v70 offset:4
; %bb.148:                              ;   in Loop: Header=BB28_2 Depth=1
	s_wait_alu 0xfffe
	s_or_saveexec_b32 s11, s11
	v_mov_b32_e32 v71, v69
	s_wait_alu 0xfffe
	s_xor_b32 exec_lo, exec_lo, s11
	s_cbranch_execz .LBB28_150
; %bb.149:                              ;   in Loop: Header=BB28_2 Depth=1
	s_wait_dscnt 0x0
	v_lshlrev_b32_e32 v70, 2, v72
	ds_load_b32 v71, v70 offset:4
	v_mov_b32_e32 v70, v68
.LBB28_150:                             ;   in Loop: Header=BB28_2 Depth=1
	s_or_b32 exec_lo, exec_lo, s11
	v_add_nc_u32_e32 v74, 1, v73
	v_add_nc_u32_e32 v76, 1, v72
	s_wait_dscnt 0x0
	v_cmp_lt_i32_e64 s12, v71, v70
	s_delay_alu instid0(VALU_DEP_3) | instskip(NEXT) | instid1(VALU_DEP_3)
	v_cndmask_b32_e64 v75, v74, v73, s10
	v_cndmask_b32_e64 v74, v72, v76, s10
                                        ; implicit-def: $vgpr72
	s_delay_alu instid0(VALU_DEP_2) | instskip(NEXT) | instid1(VALU_DEP_2)
	v_cmp_ge_i32_e64 s11, v75, v27
	v_cmp_lt_i32_e64 s13, v74, v28
	s_or_b32 s11, s11, s12
	s_wait_alu 0xfffe
	s_and_b32 s11, s13, s11
	s_wait_alu 0xfffe
	s_xor_b32 s12, s11, -1
	s_wait_alu 0xfffe
	s_and_saveexec_b32 s13, s12
	s_wait_alu 0xfffe
	s_xor_b32 s12, exec_lo, s13
; %bb.151:                              ;   in Loop: Header=BB28_2 Depth=1
	v_lshlrev_b32_e32 v72, 2, v75
	ds_load_b32 v72, v72 offset:4
; %bb.152:                              ;   in Loop: Header=BB28_2 Depth=1
	s_wait_alu 0xfffe
	s_or_saveexec_b32 s12, s12
	v_mov_b32_e32 v73, v71
	s_wait_alu 0xfffe
	s_xor_b32 exec_lo, exec_lo, s12
	s_cbranch_execz .LBB28_154
; %bb.153:                              ;   in Loop: Header=BB28_2 Depth=1
	s_wait_dscnt 0x0
	v_lshlrev_b32_e32 v72, 2, v74
	ds_load_b32 v73, v72 offset:4
	v_mov_b32_e32 v72, v70
.LBB28_154:                             ;   in Loop: Header=BB28_2 Depth=1
	s_or_b32 exec_lo, exec_lo, s12
	v_add_nc_u32_e32 v76, 1, v75
	v_add_nc_u32_e32 v78, 1, v74
	s_wait_dscnt 0x0
	v_cmp_lt_i32_e64 s13, v73, v72
	s_delay_alu instid0(VALU_DEP_3) | instskip(NEXT) | instid1(VALU_DEP_3)
	v_cndmask_b32_e64 v77, v76, v75, s11
	v_cndmask_b32_e64 v76, v74, v78, s11
                                        ; implicit-def: $vgpr74
	s_delay_alu instid0(VALU_DEP_2) | instskip(NEXT) | instid1(VALU_DEP_2)
	v_cmp_ge_i32_e64 s12, v77, v27
	v_cmp_lt_i32_e64 s14, v76, v28
	s_or_b32 s12, s12, s13
	s_wait_alu 0xfffe
	s_and_b32 s12, s14, s12
	s_wait_alu 0xfffe
	s_xor_b32 s13, s12, -1
	s_wait_alu 0xfffe
	s_and_saveexec_b32 s14, s13
	s_delay_alu instid0(SALU_CYCLE_1)
	s_xor_b32 s13, exec_lo, s14
; %bb.155:                              ;   in Loop: Header=BB28_2 Depth=1
	v_lshlrev_b32_e32 v74, 2, v77
	ds_load_b32 v74, v74 offset:4
; %bb.156:                              ;   in Loop: Header=BB28_2 Depth=1
	s_wait_alu 0xfffe
	s_or_saveexec_b32 s13, s13
	v_mov_b32_e32 v75, v73
	s_wait_alu 0xfffe
	s_xor_b32 exec_lo, exec_lo, s13
	s_cbranch_execz .LBB28_158
; %bb.157:                              ;   in Loop: Header=BB28_2 Depth=1
	s_wait_dscnt 0x0
	v_lshlrev_b32_e32 v74, 2, v76
	ds_load_b32 v75, v74 offset:4
	v_mov_b32_e32 v74, v72
.LBB28_158:                             ;   in Loop: Header=BB28_2 Depth=1
	s_or_b32 exec_lo, exec_lo, s13
	v_add_nc_u32_e32 v78, 1, v77
	v_add_nc_u32_e32 v79, 1, v76
	s_wait_dscnt 0x0
	v_cmp_lt_i32_e64 s14, v75, v74
	s_delay_alu instid0(VALU_DEP_3) | instskip(NEXT) | instid1(VALU_DEP_3)
	v_cndmask_b32_e64 v78, v78, v77, s12
	v_cndmask_b32_e64 v77, v76, v79, s12
                                        ; implicit-def: $vgpr76
	s_delay_alu instid0(VALU_DEP_2) | instskip(NEXT) | instid1(VALU_DEP_2)
	v_cmp_ge_i32_e64 s13, v78, v27
	v_cmp_lt_i32_e64 s15, v77, v28
	s_or_b32 s13, s13, s14
	s_wait_alu 0xfffe
	s_and_b32 s13, s15, s13
	s_wait_alu 0xfffe
	s_xor_b32 s14, s13, -1
	s_delay_alu instid0(SALU_CYCLE_1) | instskip(NEXT) | instid1(SALU_CYCLE_1)
	s_and_saveexec_b32 s15, s14
	s_xor_b32 s14, exec_lo, s15
; %bb.159:                              ;   in Loop: Header=BB28_2 Depth=1
	v_lshlrev_b32_e32 v76, 2, v78
	ds_load_b32 v76, v76 offset:4
; %bb.160:                              ;   in Loop: Header=BB28_2 Depth=1
	s_or_saveexec_b32 s14, s14
	v_mov_b32_e32 v79, v75
	s_xor_b32 exec_lo, exec_lo, s14
	s_cbranch_execz .LBB28_162
; %bb.161:                              ;   in Loop: Header=BB28_2 Depth=1
	s_wait_dscnt 0x0
	v_lshlrev_b32_e32 v76, 2, v77
	ds_load_b32 v79, v76 offset:4
	v_mov_b32_e32 v76, v74
.LBB28_162:                             ;   in Loop: Header=BB28_2 Depth=1
	s_or_b32 exec_lo, exec_lo, s14
	v_add_nc_u32_e32 v80, 1, v78
	v_add_nc_u32_e32 v81, 1, v77
	v_cndmask_b32_e64 v72, v72, v73, s12
	v_cndmask_b32_e64 v70, v70, v71, s11
	;; [unrolled: 1-line block ×5, first 2 shown]
	s_wait_dscnt 0x0
	v_cmp_lt_i32_e64 s10, v79, v76
	v_cndmask_b32_e64 v66, v66, v67, s9
	v_cndmask_b32_e64 v62, v62, v63, s7
	v_cmp_ge_i32_e64 s11, v73, v27
	v_cmp_lt_i32_e64 s9, v71, v28
	v_cndmask_b32_e64 v64, v64, v65, s8
	v_cndmask_b32_e64 v74, v74, v75, s13
	s_wait_loadcnt 0x0
	s_or_b32 s7, s11, s10
	s_barrier_signal -1
	s_wait_alu 0xfffe
	s_and_b32 s7, s9, s7
	s_barrier_wait -1
	s_wait_alu 0xfffe
	v_cndmask_b32_e64 v63, v76, v79, s7
	global_inv scope:SCOPE_SE
	ds_store_2addr_b32 v5, v62, v64 offset1:1
	ds_store_2addr_b32 v5, v66, v68 offset0:2 offset1:3
	ds_store_2addr_b32 v5, v70, v72 offset0:4 offset1:5
	;; [unrolled: 1-line block ×3, first 2 shown]
	v_mov_b32_e32 v64, v42
	s_wait_loadcnt_dscnt 0x0
	s_barrier_signal -1
	s_barrier_wait -1
	global_inv scope:SCOPE_SE
	s_and_saveexec_b32 s8, s4
	s_cbranch_execz .LBB28_166
; %bb.163:                              ;   in Loop: Header=BB28_2 Depth=1
	v_mov_b32_e32 v64, v42
	v_mov_b32_e32 v62, v43
	s_mov_b32 s9, 0
.LBB28_164:                             ;   Parent Loop BB28_2 Depth=1
                                        ; =>  This Inner Loop Header: Depth=2
	s_delay_alu instid0(VALU_DEP_1) | instskip(NEXT) | instid1(VALU_DEP_1)
	v_sub_nc_u32_e32 v63, v62, v64
	v_lshrrev_b32_e32 v63, 1, v63
	s_delay_alu instid0(VALU_DEP_1) | instskip(NEXT) | instid1(VALU_DEP_1)
	v_add_nc_u32_e32 v63, v63, v64
	v_not_b32_e32 v65, v63
	v_lshl_add_u32 v66, v63, 2, v45
	v_add_nc_u32_e32 v67, 1, v63
	s_delay_alu instid0(VALU_DEP_3)
	v_lshl_add_u32 v65, v65, 2, v59
	ds_load_b32 v66, v66
	ds_load_b32 v65, v65
	s_wait_dscnt 0x0
	v_cmp_lt_i32_e64 s7, v65, v66
	s_wait_alu 0xf1ff
	s_delay_alu instid0(VALU_DEP_1) | instskip(SKIP_1) | instid1(VALU_DEP_1)
	v_cndmask_b32_e64 v62, v62, v63, s7
	v_cndmask_b32_e64 v64, v67, v64, s7
	v_cmp_ge_i32_e64 s7, v64, v62
	s_wait_alu 0xfffe
	s_or_b32 s9, s7, s9
	s_wait_alu 0xfffe
	s_and_not1_b32 exec_lo, exec_lo, s9
	s_cbranch_execnz .LBB28_164
; %bb.165:                              ;   in Loop: Header=BB28_2 Depth=1
	s_or_b32 exec_lo, exec_lo, s9
.LBB28_166:                             ;   in Loop: Header=BB28_2 Depth=1
	s_wait_alu 0xfffe
	s_or_b32 exec_lo, exec_lo, s8
	v_sub_nc_u32_e32 v66, v48, v64
	v_lshl_add_u32 v65, v64, 2, v45
	v_add_nc_u32_e32 v67, v64, v32
                                        ; implicit-def: $vgpr64
	s_delay_alu instid0(VALU_DEP_3) | instskip(SKIP_1) | instid1(VALU_DEP_3)
	v_lshlrev_b32_e32 v68, 2, v66
	v_cmp_gt_i32_e64 s9, v35, v66
	v_cmp_le_i32_e64 s7, v34, v67
	ds_load_b32 v62, v65
	ds_load_b32 v63, v68
	s_wait_dscnt 0x0
	v_cmp_lt_i32_e64 s8, v63, v62
	s_or_b32 s7, s7, s8
	s_wait_alu 0xfffe
	s_and_b32 s7, s9, s7
	s_wait_alu 0xfffe
	s_xor_b32 s8, s7, -1
	s_wait_alu 0xfffe
	s_and_saveexec_b32 s9, s8
	s_wait_alu 0xfffe
	s_xor_b32 s8, exec_lo, s9
; %bb.167:                              ;   in Loop: Header=BB28_2 Depth=1
	ds_load_b32 v64, v65 offset:4
                                        ; implicit-def: $vgpr68
; %bb.168:                              ;   in Loop: Header=BB28_2 Depth=1
	s_wait_alu 0xfffe
	s_or_saveexec_b32 s8, s8
	v_mov_b32_e32 v65, v63
	s_wait_alu 0xfffe
	s_xor_b32 exec_lo, exec_lo, s8
	s_cbranch_execz .LBB28_170
; %bb.169:                              ;   in Loop: Header=BB28_2 Depth=1
	ds_load_b32 v65, v68 offset:4
	s_wait_dscnt 0x1
	v_mov_b32_e32 v64, v62
.LBB28_170:                             ;   in Loop: Header=BB28_2 Depth=1
	s_or_b32 exec_lo, exec_lo, s8
	v_add_nc_u32_e32 v68, 1, v67
	v_add_nc_u32_e32 v70, 1, v66
	s_wait_dscnt 0x0
	v_cmp_lt_i32_e64 s9, v65, v64
	s_delay_alu instid0(VALU_DEP_3) | instskip(NEXT) | instid1(VALU_DEP_3)
	v_cndmask_b32_e64 v69, v68, v67, s7
	v_cndmask_b32_e64 v68, v66, v70, s7
                                        ; implicit-def: $vgpr66
	s_delay_alu instid0(VALU_DEP_2) | instskip(NEXT) | instid1(VALU_DEP_2)
	v_cmp_ge_i32_e64 s8, v69, v34
	v_cmp_lt_i32_e64 s10, v68, v35
	s_or_b32 s8, s8, s9
	s_wait_alu 0xfffe
	s_and_b32 s8, s10, s8
	s_wait_alu 0xfffe
	s_xor_b32 s9, s8, -1
	s_wait_alu 0xfffe
	s_and_saveexec_b32 s10, s9
	s_wait_alu 0xfffe
	s_xor_b32 s9, exec_lo, s10
; %bb.171:                              ;   in Loop: Header=BB28_2 Depth=1
	v_lshlrev_b32_e32 v66, 2, v69
	ds_load_b32 v66, v66 offset:4
; %bb.172:                              ;   in Loop: Header=BB28_2 Depth=1
	s_wait_alu 0xfffe
	s_or_saveexec_b32 s9, s9
	v_mov_b32_e32 v67, v65
	s_wait_alu 0xfffe
	s_xor_b32 exec_lo, exec_lo, s9
	s_cbranch_execz .LBB28_174
; %bb.173:                              ;   in Loop: Header=BB28_2 Depth=1
	s_wait_dscnt 0x0
	v_lshlrev_b32_e32 v66, 2, v68
	ds_load_b32 v67, v66 offset:4
	v_mov_b32_e32 v66, v64
.LBB28_174:                             ;   in Loop: Header=BB28_2 Depth=1
	s_or_b32 exec_lo, exec_lo, s9
	v_add_nc_u32_e32 v70, 1, v69
	v_add_nc_u32_e32 v72, 1, v68
	s_wait_dscnt 0x0
	v_cmp_lt_i32_e64 s10, v67, v66
	s_delay_alu instid0(VALU_DEP_3) | instskip(NEXT) | instid1(VALU_DEP_3)
	v_cndmask_b32_e64 v71, v70, v69, s8
	v_cndmask_b32_e64 v70, v68, v72, s8
                                        ; implicit-def: $vgpr68
	s_delay_alu instid0(VALU_DEP_2) | instskip(NEXT) | instid1(VALU_DEP_2)
	v_cmp_ge_i32_e64 s9, v71, v34
	v_cmp_lt_i32_e64 s11, v70, v35
	s_or_b32 s9, s9, s10
	s_wait_alu 0xfffe
	s_and_b32 s9, s11, s9
	s_wait_alu 0xfffe
	s_xor_b32 s10, s9, -1
	s_wait_alu 0xfffe
	s_and_saveexec_b32 s11, s10
	s_wait_alu 0xfffe
	s_xor_b32 s10, exec_lo, s11
; %bb.175:                              ;   in Loop: Header=BB28_2 Depth=1
	v_lshlrev_b32_e32 v68, 2, v71
	ds_load_b32 v68, v68 offset:4
; %bb.176:                              ;   in Loop: Header=BB28_2 Depth=1
	s_wait_alu 0xfffe
	s_or_saveexec_b32 s10, s10
	v_mov_b32_e32 v69, v67
	s_wait_alu 0xfffe
	s_xor_b32 exec_lo, exec_lo, s10
	s_cbranch_execz .LBB28_178
; %bb.177:                              ;   in Loop: Header=BB28_2 Depth=1
	s_wait_dscnt 0x0
	v_lshlrev_b32_e32 v68, 2, v70
	ds_load_b32 v69, v68 offset:4
	v_mov_b32_e32 v68, v66
.LBB28_178:                             ;   in Loop: Header=BB28_2 Depth=1
	s_or_b32 exec_lo, exec_lo, s10
	v_add_nc_u32_e32 v72, 1, v71
	v_add_nc_u32_e32 v74, 1, v70
	s_wait_dscnt 0x0
	v_cmp_lt_i32_e64 s11, v69, v68
	s_delay_alu instid0(VALU_DEP_3) | instskip(NEXT) | instid1(VALU_DEP_3)
	v_cndmask_b32_e64 v73, v72, v71, s9
	v_cndmask_b32_e64 v72, v70, v74, s9
                                        ; implicit-def: $vgpr70
	s_delay_alu instid0(VALU_DEP_2) | instskip(NEXT) | instid1(VALU_DEP_2)
	v_cmp_ge_i32_e64 s10, v73, v34
	v_cmp_lt_i32_e64 s12, v72, v35
	s_or_b32 s10, s10, s11
	s_wait_alu 0xfffe
	s_and_b32 s10, s12, s10
	s_wait_alu 0xfffe
	s_xor_b32 s11, s10, -1
	s_wait_alu 0xfffe
	s_and_saveexec_b32 s12, s11
	s_wait_alu 0xfffe
	s_xor_b32 s11, exec_lo, s12
; %bb.179:                              ;   in Loop: Header=BB28_2 Depth=1
	v_lshlrev_b32_e32 v70, 2, v73
	ds_load_b32 v70, v70 offset:4
; %bb.180:                              ;   in Loop: Header=BB28_2 Depth=1
	s_wait_alu 0xfffe
	s_or_saveexec_b32 s11, s11
	v_mov_b32_e32 v71, v69
	s_wait_alu 0xfffe
	s_xor_b32 exec_lo, exec_lo, s11
	s_cbranch_execz .LBB28_182
; %bb.181:                              ;   in Loop: Header=BB28_2 Depth=1
	s_wait_dscnt 0x0
	v_lshlrev_b32_e32 v70, 2, v72
	ds_load_b32 v71, v70 offset:4
	v_mov_b32_e32 v70, v68
.LBB28_182:                             ;   in Loop: Header=BB28_2 Depth=1
	s_or_b32 exec_lo, exec_lo, s11
	v_add_nc_u32_e32 v74, 1, v73
	v_add_nc_u32_e32 v76, 1, v72
	s_wait_dscnt 0x0
	v_cmp_lt_i32_e64 s12, v71, v70
	s_delay_alu instid0(VALU_DEP_3) | instskip(NEXT) | instid1(VALU_DEP_3)
	v_cndmask_b32_e64 v75, v74, v73, s10
	v_cndmask_b32_e64 v74, v72, v76, s10
                                        ; implicit-def: $vgpr72
	s_delay_alu instid0(VALU_DEP_2) | instskip(NEXT) | instid1(VALU_DEP_2)
	v_cmp_ge_i32_e64 s11, v75, v34
	v_cmp_lt_i32_e64 s13, v74, v35
	s_or_b32 s11, s11, s12
	s_wait_alu 0xfffe
	s_and_b32 s11, s13, s11
	s_wait_alu 0xfffe
	s_xor_b32 s12, s11, -1
	s_wait_alu 0xfffe
	s_and_saveexec_b32 s13, s12
	s_wait_alu 0xfffe
	s_xor_b32 s12, exec_lo, s13
; %bb.183:                              ;   in Loop: Header=BB28_2 Depth=1
	v_lshlrev_b32_e32 v72, 2, v75
	ds_load_b32 v72, v72 offset:4
; %bb.184:                              ;   in Loop: Header=BB28_2 Depth=1
	s_wait_alu 0xfffe
	s_or_saveexec_b32 s12, s12
	v_mov_b32_e32 v73, v71
	s_wait_alu 0xfffe
	s_xor_b32 exec_lo, exec_lo, s12
	s_cbranch_execz .LBB28_186
; %bb.185:                              ;   in Loop: Header=BB28_2 Depth=1
	s_wait_dscnt 0x0
	v_lshlrev_b32_e32 v72, 2, v74
	ds_load_b32 v73, v72 offset:4
	v_mov_b32_e32 v72, v70
.LBB28_186:                             ;   in Loop: Header=BB28_2 Depth=1
	s_or_b32 exec_lo, exec_lo, s12
	v_add_nc_u32_e32 v76, 1, v75
	v_add_nc_u32_e32 v78, 1, v74
	s_wait_dscnt 0x0
	v_cmp_lt_i32_e64 s13, v73, v72
	s_delay_alu instid0(VALU_DEP_3) | instskip(NEXT) | instid1(VALU_DEP_3)
	v_cndmask_b32_e64 v77, v76, v75, s11
	v_cndmask_b32_e64 v76, v74, v78, s11
                                        ; implicit-def: $vgpr74
	s_delay_alu instid0(VALU_DEP_2) | instskip(NEXT) | instid1(VALU_DEP_2)
	v_cmp_ge_i32_e64 s12, v77, v34
	v_cmp_lt_i32_e64 s14, v76, v35
	s_or_b32 s12, s12, s13
	s_wait_alu 0xfffe
	s_and_b32 s12, s14, s12
	s_wait_alu 0xfffe
	s_xor_b32 s13, s12, -1
	s_wait_alu 0xfffe
	s_and_saveexec_b32 s14, s13
	s_delay_alu instid0(SALU_CYCLE_1)
	s_xor_b32 s13, exec_lo, s14
; %bb.187:                              ;   in Loop: Header=BB28_2 Depth=1
	v_lshlrev_b32_e32 v74, 2, v77
	ds_load_b32 v74, v74 offset:4
; %bb.188:                              ;   in Loop: Header=BB28_2 Depth=1
	s_wait_alu 0xfffe
	s_or_saveexec_b32 s13, s13
	v_mov_b32_e32 v75, v73
	s_wait_alu 0xfffe
	s_xor_b32 exec_lo, exec_lo, s13
	s_cbranch_execz .LBB28_190
; %bb.189:                              ;   in Loop: Header=BB28_2 Depth=1
	s_wait_dscnt 0x0
	v_lshlrev_b32_e32 v74, 2, v76
	ds_load_b32 v75, v74 offset:4
	v_mov_b32_e32 v74, v72
.LBB28_190:                             ;   in Loop: Header=BB28_2 Depth=1
	s_or_b32 exec_lo, exec_lo, s13
	v_add_nc_u32_e32 v78, 1, v77
	v_add_nc_u32_e32 v79, 1, v76
	s_wait_dscnt 0x0
	v_cmp_lt_i32_e64 s14, v75, v74
	s_delay_alu instid0(VALU_DEP_3) | instskip(NEXT) | instid1(VALU_DEP_3)
	v_cndmask_b32_e64 v78, v78, v77, s12
	v_cndmask_b32_e64 v77, v76, v79, s12
                                        ; implicit-def: $vgpr76
	s_delay_alu instid0(VALU_DEP_2) | instskip(NEXT) | instid1(VALU_DEP_2)
	v_cmp_ge_i32_e64 s13, v78, v34
	v_cmp_lt_i32_e64 s15, v77, v35
	s_or_b32 s13, s13, s14
	s_wait_alu 0xfffe
	s_and_b32 s13, s15, s13
	s_wait_alu 0xfffe
	s_xor_b32 s14, s13, -1
	s_delay_alu instid0(SALU_CYCLE_1) | instskip(NEXT) | instid1(SALU_CYCLE_1)
	s_and_saveexec_b32 s15, s14
	s_xor_b32 s14, exec_lo, s15
; %bb.191:                              ;   in Loop: Header=BB28_2 Depth=1
	v_lshlrev_b32_e32 v76, 2, v78
	ds_load_b32 v76, v76 offset:4
; %bb.192:                              ;   in Loop: Header=BB28_2 Depth=1
	s_or_saveexec_b32 s14, s14
	v_mov_b32_e32 v79, v75
	s_xor_b32 exec_lo, exec_lo, s14
	s_cbranch_execz .LBB28_194
; %bb.193:                              ;   in Loop: Header=BB28_2 Depth=1
	s_wait_dscnt 0x0
	v_lshlrev_b32_e32 v76, 2, v77
	ds_load_b32 v79, v76 offset:4
	v_mov_b32_e32 v76, v74
.LBB28_194:                             ;   in Loop: Header=BB28_2 Depth=1
	s_or_b32 exec_lo, exec_lo, s14
	v_add_nc_u32_e32 v80, 1, v78
	v_add_nc_u32_e32 v81, 1, v77
	v_cndmask_b32_e64 v72, v72, v73, s12
	v_cndmask_b32_e64 v70, v70, v71, s11
	;; [unrolled: 1-line block ×5, first 2 shown]
	s_wait_dscnt 0x0
	v_cmp_lt_i32_e64 s10, v79, v76
	v_cndmask_b32_e64 v66, v66, v67, s9
	v_cndmask_b32_e64 v62, v62, v63, s7
	v_cmp_ge_i32_e64 s11, v73, v34
	v_cmp_lt_i32_e64 s9, v71, v35
	v_cndmask_b32_e64 v64, v64, v65, s8
	v_cndmask_b32_e64 v74, v74, v75, s13
	s_wait_loadcnt 0x0
	s_or_b32 s7, s11, s10
	s_barrier_signal -1
	s_wait_alu 0xfffe
	s_and_b32 s7, s9, s7
	s_barrier_wait -1
	s_wait_alu 0xfffe
	v_cndmask_b32_e64 v63, v76, v79, s7
	global_inv scope:SCOPE_SE
	ds_store_2addr_b32 v5, v62, v64 offset1:1
	ds_store_2addr_b32 v5, v66, v68 offset0:2 offset1:3
	ds_store_2addr_b32 v5, v70, v72 offset0:4 offset1:5
	;; [unrolled: 1-line block ×3, first 2 shown]
	v_mov_b32_e32 v64, v46
	s_wait_loadcnt_dscnt 0x0
	s_barrier_signal -1
	s_barrier_wait -1
	global_inv scope:SCOPE_SE
	s_and_saveexec_b32 s8, s5
	s_cbranch_execz .LBB28_198
; %bb.195:                              ;   in Loop: Header=BB28_2 Depth=1
	v_mov_b32_e32 v64, v46
	v_mov_b32_e32 v62, v47
	s_mov_b32 s9, 0
.LBB28_196:                             ;   Parent Loop BB28_2 Depth=1
                                        ; =>  This Inner Loop Header: Depth=2
	s_delay_alu instid0(VALU_DEP_1) | instskip(NEXT) | instid1(VALU_DEP_1)
	v_sub_nc_u32_e32 v63, v62, v64
	v_lshrrev_b32_e32 v63, 1, v63
	s_delay_alu instid0(VALU_DEP_1) | instskip(NEXT) | instid1(VALU_DEP_1)
	v_add_nc_u32_e32 v63, v63, v64
	v_not_b32_e32 v65, v63
	v_lshl_add_u32 v66, v63, 2, v49
	v_add_nc_u32_e32 v67, 1, v63
	s_delay_alu instid0(VALU_DEP_3)
	v_lshl_add_u32 v65, v65, 2, v60
	ds_load_b32 v66, v66
	ds_load_b32 v65, v65
	s_wait_dscnt 0x0
	v_cmp_lt_i32_e64 s7, v65, v66
	s_wait_alu 0xf1ff
	s_delay_alu instid0(VALU_DEP_1) | instskip(SKIP_1) | instid1(VALU_DEP_1)
	v_cndmask_b32_e64 v62, v62, v63, s7
	v_cndmask_b32_e64 v64, v67, v64, s7
	v_cmp_ge_i32_e64 s7, v64, v62
	s_wait_alu 0xfffe
	s_or_b32 s9, s7, s9
	s_wait_alu 0xfffe
	s_and_not1_b32 exec_lo, exec_lo, s9
	s_cbranch_execnz .LBB28_196
; %bb.197:                              ;   in Loop: Header=BB28_2 Depth=1
	s_or_b32 exec_lo, exec_lo, s9
.LBB28_198:                             ;   in Loop: Header=BB28_2 Depth=1
	s_wait_alu 0xfffe
	s_or_b32 exec_lo, exec_lo, s8
	v_sub_nc_u32_e32 v66, v52, v64
	v_lshl_add_u32 v65, v64, 2, v49
	v_add_nc_u32_e32 v67, v64, v37
                                        ; implicit-def: $vgpr64
	s_delay_alu instid0(VALU_DEP_3) | instskip(SKIP_1) | instid1(VALU_DEP_3)
	v_lshlrev_b32_e32 v68, 2, v66
	v_cmp_gt_i32_e64 s9, v41, v66
	v_cmp_le_i32_e64 s7, v40, v67
	ds_load_b32 v62, v65
	ds_load_b32 v63, v68
	s_wait_dscnt 0x0
	v_cmp_lt_i32_e64 s8, v63, v62
	s_or_b32 s7, s7, s8
	s_wait_alu 0xfffe
	s_and_b32 s7, s9, s7
	s_wait_alu 0xfffe
	s_xor_b32 s8, s7, -1
	s_wait_alu 0xfffe
	s_and_saveexec_b32 s9, s8
	s_wait_alu 0xfffe
	s_xor_b32 s8, exec_lo, s9
; %bb.199:                              ;   in Loop: Header=BB28_2 Depth=1
	ds_load_b32 v64, v65 offset:4
                                        ; implicit-def: $vgpr68
; %bb.200:                              ;   in Loop: Header=BB28_2 Depth=1
	s_wait_alu 0xfffe
	s_or_saveexec_b32 s8, s8
	v_mov_b32_e32 v65, v63
	s_wait_alu 0xfffe
	s_xor_b32 exec_lo, exec_lo, s8
	s_cbranch_execz .LBB28_202
; %bb.201:                              ;   in Loop: Header=BB28_2 Depth=1
	ds_load_b32 v65, v68 offset:4
	s_wait_dscnt 0x1
	v_mov_b32_e32 v64, v62
.LBB28_202:                             ;   in Loop: Header=BB28_2 Depth=1
	s_or_b32 exec_lo, exec_lo, s8
	v_add_nc_u32_e32 v68, 1, v67
	v_add_nc_u32_e32 v70, 1, v66
	s_wait_dscnt 0x0
	v_cmp_lt_i32_e64 s9, v65, v64
	s_delay_alu instid0(VALU_DEP_3) | instskip(NEXT) | instid1(VALU_DEP_3)
	v_cndmask_b32_e64 v69, v68, v67, s7
	v_cndmask_b32_e64 v68, v66, v70, s7
                                        ; implicit-def: $vgpr66
	s_delay_alu instid0(VALU_DEP_2) | instskip(NEXT) | instid1(VALU_DEP_2)
	v_cmp_ge_i32_e64 s8, v69, v40
	v_cmp_lt_i32_e64 s10, v68, v41
	s_or_b32 s8, s8, s9
	s_wait_alu 0xfffe
	s_and_b32 s8, s10, s8
	s_wait_alu 0xfffe
	s_xor_b32 s9, s8, -1
	s_wait_alu 0xfffe
	s_and_saveexec_b32 s10, s9
	s_wait_alu 0xfffe
	s_xor_b32 s9, exec_lo, s10
; %bb.203:                              ;   in Loop: Header=BB28_2 Depth=1
	v_lshlrev_b32_e32 v66, 2, v69
	ds_load_b32 v66, v66 offset:4
; %bb.204:                              ;   in Loop: Header=BB28_2 Depth=1
	s_wait_alu 0xfffe
	s_or_saveexec_b32 s9, s9
	v_mov_b32_e32 v67, v65
	s_wait_alu 0xfffe
	s_xor_b32 exec_lo, exec_lo, s9
	s_cbranch_execz .LBB28_206
; %bb.205:                              ;   in Loop: Header=BB28_2 Depth=1
	s_wait_dscnt 0x0
	v_lshlrev_b32_e32 v66, 2, v68
	ds_load_b32 v67, v66 offset:4
	v_mov_b32_e32 v66, v64
.LBB28_206:                             ;   in Loop: Header=BB28_2 Depth=1
	s_or_b32 exec_lo, exec_lo, s9
	v_add_nc_u32_e32 v70, 1, v69
	v_add_nc_u32_e32 v72, 1, v68
	s_wait_dscnt 0x0
	v_cmp_lt_i32_e64 s10, v67, v66
	s_delay_alu instid0(VALU_DEP_3) | instskip(NEXT) | instid1(VALU_DEP_3)
	v_cndmask_b32_e64 v71, v70, v69, s8
	v_cndmask_b32_e64 v70, v68, v72, s8
                                        ; implicit-def: $vgpr68
	s_delay_alu instid0(VALU_DEP_2) | instskip(NEXT) | instid1(VALU_DEP_2)
	v_cmp_ge_i32_e64 s9, v71, v40
	v_cmp_lt_i32_e64 s11, v70, v41
	s_or_b32 s9, s9, s10
	s_wait_alu 0xfffe
	s_and_b32 s9, s11, s9
	s_wait_alu 0xfffe
	s_xor_b32 s10, s9, -1
	s_wait_alu 0xfffe
	s_and_saveexec_b32 s11, s10
	s_wait_alu 0xfffe
	s_xor_b32 s10, exec_lo, s11
; %bb.207:                              ;   in Loop: Header=BB28_2 Depth=1
	v_lshlrev_b32_e32 v68, 2, v71
	ds_load_b32 v68, v68 offset:4
; %bb.208:                              ;   in Loop: Header=BB28_2 Depth=1
	s_wait_alu 0xfffe
	s_or_saveexec_b32 s10, s10
	v_mov_b32_e32 v69, v67
	s_wait_alu 0xfffe
	s_xor_b32 exec_lo, exec_lo, s10
	s_cbranch_execz .LBB28_210
; %bb.209:                              ;   in Loop: Header=BB28_2 Depth=1
	s_wait_dscnt 0x0
	v_lshlrev_b32_e32 v68, 2, v70
	ds_load_b32 v69, v68 offset:4
	v_mov_b32_e32 v68, v66
.LBB28_210:                             ;   in Loop: Header=BB28_2 Depth=1
	s_or_b32 exec_lo, exec_lo, s10
	v_add_nc_u32_e32 v72, 1, v71
	v_add_nc_u32_e32 v74, 1, v70
	s_wait_dscnt 0x0
	v_cmp_lt_i32_e64 s11, v69, v68
	s_delay_alu instid0(VALU_DEP_3) | instskip(NEXT) | instid1(VALU_DEP_3)
	v_cndmask_b32_e64 v73, v72, v71, s9
	v_cndmask_b32_e64 v72, v70, v74, s9
                                        ; implicit-def: $vgpr70
	s_delay_alu instid0(VALU_DEP_2) | instskip(NEXT) | instid1(VALU_DEP_2)
	v_cmp_ge_i32_e64 s10, v73, v40
	v_cmp_lt_i32_e64 s12, v72, v41
	s_or_b32 s10, s10, s11
	s_wait_alu 0xfffe
	s_and_b32 s10, s12, s10
	s_wait_alu 0xfffe
	s_xor_b32 s11, s10, -1
	s_wait_alu 0xfffe
	s_and_saveexec_b32 s12, s11
	s_wait_alu 0xfffe
	s_xor_b32 s11, exec_lo, s12
; %bb.211:                              ;   in Loop: Header=BB28_2 Depth=1
	v_lshlrev_b32_e32 v70, 2, v73
	ds_load_b32 v70, v70 offset:4
; %bb.212:                              ;   in Loop: Header=BB28_2 Depth=1
	s_wait_alu 0xfffe
	s_or_saveexec_b32 s11, s11
	v_mov_b32_e32 v71, v69
	s_wait_alu 0xfffe
	s_xor_b32 exec_lo, exec_lo, s11
	s_cbranch_execz .LBB28_214
; %bb.213:                              ;   in Loop: Header=BB28_2 Depth=1
	s_wait_dscnt 0x0
	v_lshlrev_b32_e32 v70, 2, v72
	ds_load_b32 v71, v70 offset:4
	v_mov_b32_e32 v70, v68
.LBB28_214:                             ;   in Loop: Header=BB28_2 Depth=1
	s_or_b32 exec_lo, exec_lo, s11
	v_add_nc_u32_e32 v74, 1, v73
	v_add_nc_u32_e32 v76, 1, v72
	s_wait_dscnt 0x0
	v_cmp_lt_i32_e64 s12, v71, v70
	s_delay_alu instid0(VALU_DEP_3) | instskip(NEXT) | instid1(VALU_DEP_3)
	v_cndmask_b32_e64 v75, v74, v73, s10
	v_cndmask_b32_e64 v74, v72, v76, s10
                                        ; implicit-def: $vgpr72
	s_delay_alu instid0(VALU_DEP_2) | instskip(NEXT) | instid1(VALU_DEP_2)
	v_cmp_ge_i32_e64 s11, v75, v40
	v_cmp_lt_i32_e64 s13, v74, v41
	s_or_b32 s11, s11, s12
	s_wait_alu 0xfffe
	s_and_b32 s11, s13, s11
	s_wait_alu 0xfffe
	s_xor_b32 s12, s11, -1
	s_wait_alu 0xfffe
	s_and_saveexec_b32 s13, s12
	s_wait_alu 0xfffe
	s_xor_b32 s12, exec_lo, s13
; %bb.215:                              ;   in Loop: Header=BB28_2 Depth=1
	v_lshlrev_b32_e32 v72, 2, v75
	ds_load_b32 v72, v72 offset:4
; %bb.216:                              ;   in Loop: Header=BB28_2 Depth=1
	s_wait_alu 0xfffe
	s_or_saveexec_b32 s12, s12
	v_mov_b32_e32 v73, v71
	s_wait_alu 0xfffe
	s_xor_b32 exec_lo, exec_lo, s12
	s_cbranch_execz .LBB28_218
; %bb.217:                              ;   in Loop: Header=BB28_2 Depth=1
	s_wait_dscnt 0x0
	v_lshlrev_b32_e32 v72, 2, v74
	ds_load_b32 v73, v72 offset:4
	v_mov_b32_e32 v72, v70
.LBB28_218:                             ;   in Loop: Header=BB28_2 Depth=1
	s_or_b32 exec_lo, exec_lo, s12
	v_add_nc_u32_e32 v76, 1, v75
	v_add_nc_u32_e32 v78, 1, v74
	s_wait_dscnt 0x0
	v_cmp_lt_i32_e64 s13, v73, v72
	s_delay_alu instid0(VALU_DEP_3) | instskip(NEXT) | instid1(VALU_DEP_3)
	v_cndmask_b32_e64 v77, v76, v75, s11
	v_cndmask_b32_e64 v76, v74, v78, s11
                                        ; implicit-def: $vgpr74
	s_delay_alu instid0(VALU_DEP_2) | instskip(NEXT) | instid1(VALU_DEP_2)
	v_cmp_ge_i32_e64 s12, v77, v40
	v_cmp_lt_i32_e64 s14, v76, v41
	s_or_b32 s12, s12, s13
	s_wait_alu 0xfffe
	s_and_b32 s12, s14, s12
	s_wait_alu 0xfffe
	s_xor_b32 s13, s12, -1
	s_wait_alu 0xfffe
	s_and_saveexec_b32 s14, s13
	s_delay_alu instid0(SALU_CYCLE_1)
	s_xor_b32 s13, exec_lo, s14
; %bb.219:                              ;   in Loop: Header=BB28_2 Depth=1
	v_lshlrev_b32_e32 v74, 2, v77
	ds_load_b32 v74, v74 offset:4
; %bb.220:                              ;   in Loop: Header=BB28_2 Depth=1
	s_wait_alu 0xfffe
	s_or_saveexec_b32 s13, s13
	v_mov_b32_e32 v75, v73
	s_wait_alu 0xfffe
	s_xor_b32 exec_lo, exec_lo, s13
	s_cbranch_execz .LBB28_222
; %bb.221:                              ;   in Loop: Header=BB28_2 Depth=1
	s_wait_dscnt 0x0
	v_lshlrev_b32_e32 v74, 2, v76
	ds_load_b32 v75, v74 offset:4
	v_mov_b32_e32 v74, v72
.LBB28_222:                             ;   in Loop: Header=BB28_2 Depth=1
	s_or_b32 exec_lo, exec_lo, s13
	v_add_nc_u32_e32 v78, 1, v77
	v_add_nc_u32_e32 v79, 1, v76
	s_wait_dscnt 0x0
	v_cmp_lt_i32_e64 s14, v75, v74
	s_delay_alu instid0(VALU_DEP_3) | instskip(NEXT) | instid1(VALU_DEP_3)
	v_cndmask_b32_e64 v78, v78, v77, s12
	v_cndmask_b32_e64 v77, v76, v79, s12
                                        ; implicit-def: $vgpr76
	s_delay_alu instid0(VALU_DEP_2) | instskip(NEXT) | instid1(VALU_DEP_2)
	v_cmp_ge_i32_e64 s13, v78, v40
	v_cmp_lt_i32_e64 s15, v77, v41
	s_or_b32 s13, s13, s14
	s_wait_alu 0xfffe
	s_and_b32 s13, s15, s13
	s_wait_alu 0xfffe
	s_xor_b32 s14, s13, -1
	s_delay_alu instid0(SALU_CYCLE_1) | instskip(NEXT) | instid1(SALU_CYCLE_1)
	s_and_saveexec_b32 s15, s14
	s_xor_b32 s14, exec_lo, s15
; %bb.223:                              ;   in Loop: Header=BB28_2 Depth=1
	v_lshlrev_b32_e32 v76, 2, v78
	ds_load_b32 v76, v76 offset:4
; %bb.224:                              ;   in Loop: Header=BB28_2 Depth=1
	s_or_saveexec_b32 s14, s14
	v_mov_b32_e32 v79, v75
	s_xor_b32 exec_lo, exec_lo, s14
	s_cbranch_execz .LBB28_226
; %bb.225:                              ;   in Loop: Header=BB28_2 Depth=1
	s_wait_dscnt 0x0
	v_lshlrev_b32_e32 v76, 2, v77
	ds_load_b32 v79, v76 offset:4
	v_mov_b32_e32 v76, v74
.LBB28_226:                             ;   in Loop: Header=BB28_2 Depth=1
	s_or_b32 exec_lo, exec_lo, s14
	v_add_nc_u32_e32 v80, 1, v78
	v_add_nc_u32_e32 v81, 1, v77
	v_cndmask_b32_e64 v72, v72, v73, s12
	v_cndmask_b32_e64 v70, v70, v71, s11
	;; [unrolled: 1-line block ×5, first 2 shown]
	s_wait_dscnt 0x0
	v_cmp_lt_i32_e64 s10, v79, v76
	v_cndmask_b32_e64 v66, v66, v67, s9
	v_cndmask_b32_e64 v62, v62, v63, s7
	v_cmp_ge_i32_e64 s11, v73, v40
	v_cmp_lt_i32_e64 s9, v71, v41
	v_cndmask_b32_e64 v64, v64, v65, s8
	v_cndmask_b32_e64 v74, v74, v75, s13
	s_wait_loadcnt 0x0
	s_or_b32 s7, s11, s10
	s_barrier_signal -1
	s_wait_alu 0xfffe
	s_and_b32 s7, s9, s7
	s_barrier_wait -1
	s_wait_alu 0xfffe
	v_cndmask_b32_e64 v63, v76, v79, s7
	global_inv scope:SCOPE_SE
	ds_store_2addr_b32 v5, v62, v64 offset1:1
	ds_store_2addr_b32 v5, v66, v68 offset0:2 offset1:3
	ds_store_2addr_b32 v5, v70, v72 offset0:4 offset1:5
	ds_store_2addr_b32 v5, v74, v63 offset0:6 offset1:7
	v_mov_b32_e32 v66, v50
	s_wait_loadcnt_dscnt 0x0
	s_barrier_signal -1
	s_barrier_wait -1
	global_inv scope:SCOPE_SE
	s_and_saveexec_b32 s8, s6
	s_cbranch_execz .LBB28_230
; %bb.227:                              ;   in Loop: Header=BB28_2 Depth=1
	v_mov_b32_e32 v66, v50
	v_mov_b32_e32 v62, v51
	s_mov_b32 s9, 0
.LBB28_228:                             ;   Parent Loop BB28_2 Depth=1
                                        ; =>  This Inner Loop Header: Depth=2
	s_delay_alu instid0(VALU_DEP_1) | instskip(NEXT) | instid1(VALU_DEP_1)
	v_sub_nc_u32_e32 v63, v62, v66
	v_lshrrev_b32_e32 v63, 1, v63
	s_delay_alu instid0(VALU_DEP_1) | instskip(NEXT) | instid1(VALU_DEP_1)
	v_add_nc_u32_e32 v63, v63, v66
	v_not_b32_e32 v64, v63
	v_lshlrev_b32_e32 v65, 2, v63
	v_add_nc_u32_e32 v67, 1, v63
	s_delay_alu instid0(VALU_DEP_3)
	v_lshl_add_u32 v64, v64, 2, v61
	ds_load_b32 v65, v65
	ds_load_b32 v64, v64
	s_wait_dscnt 0x0
	v_cmp_lt_i32_e64 s7, v64, v65
	s_wait_alu 0xf1ff
	s_delay_alu instid0(VALU_DEP_1) | instskip(SKIP_1) | instid1(VALU_DEP_1)
	v_cndmask_b32_e64 v62, v62, v63, s7
	v_cndmask_b32_e64 v66, v67, v66, s7
	v_cmp_ge_i32_e64 s7, v66, v62
	s_wait_alu 0xfffe
	s_or_b32 s9, s7, s9
	s_wait_alu 0xfffe
	s_and_not1_b32 exec_lo, exec_lo, s9
	s_cbranch_execnz .LBB28_228
; %bb.229:                              ;   in Loop: Header=BB28_2 Depth=1
	s_or_b32 exec_lo, exec_lo, s9
.LBB28_230:                             ;   in Loop: Header=BB28_2 Depth=1
	s_wait_alu 0xfffe
	s_or_b32 exec_lo, exec_lo, s8
	v_sub_nc_u32_e32 v67, v53, v66
	v_lshlrev_b32_e32 v65, 2, v66
	v_cmp_le_i32_e64 s7, 0x400, v66
                                        ; implicit-def: $vgpr64
	s_delay_alu instid0(VALU_DEP_3)
	v_lshlrev_b32_e32 v68, 2, v67
	v_cmp_gt_i32_e64 s9, 0x800, v67
	ds_load_b32 v62, v65
	ds_load_b32 v63, v68
	s_wait_dscnt 0x0
	v_cmp_lt_i32_e64 s8, v63, v62
	s_or_b32 s7, s7, s8
	s_wait_alu 0xfffe
	s_and_b32 s7, s9, s7
	s_wait_alu 0xfffe
	s_xor_b32 s8, s7, -1
	s_wait_alu 0xfffe
	s_and_saveexec_b32 s9, s8
	s_wait_alu 0xfffe
	s_xor_b32 s8, exec_lo, s9
; %bb.231:                              ;   in Loop: Header=BB28_2 Depth=1
	ds_load_b32 v64, v65 offset:4
                                        ; implicit-def: $vgpr68
; %bb.232:                              ;   in Loop: Header=BB28_2 Depth=1
	s_wait_alu 0xfffe
	s_or_saveexec_b32 s8, s8
	v_mov_b32_e32 v65, v63
	s_wait_alu 0xfffe
	s_xor_b32 exec_lo, exec_lo, s8
	s_cbranch_execz .LBB28_234
; %bb.233:                              ;   in Loop: Header=BB28_2 Depth=1
	ds_load_b32 v65, v68 offset:4
	s_wait_dscnt 0x1
	v_mov_b32_e32 v64, v62
.LBB28_234:                             ;   in Loop: Header=BB28_2 Depth=1
	s_or_b32 exec_lo, exec_lo, s8
	v_add_nc_u32_e32 v68, 1, v66
	v_add_nc_u32_e32 v69, 1, v67
	s_wait_dscnt 0x0
	v_cmp_lt_i32_e64 s9, v65, v64
	s_delay_alu instid0(VALU_DEP_3) | instskip(NEXT) | instid1(VALU_DEP_3)
	v_cndmask_b32_e64 v68, v68, v66, s7
	v_cndmask_b32_e64 v67, v67, v69, s7
                                        ; implicit-def: $vgpr66
	s_delay_alu instid0(VALU_DEP_2) | instskip(NEXT) | instid1(VALU_DEP_2)
	v_cmp_le_i32_e64 s8, 0x400, v68
	v_cmp_gt_i32_e64 s10, 0x800, v67
	s_or_b32 s8, s8, s9
	s_wait_alu 0xfffe
	s_and_b32 s8, s10, s8
	s_wait_alu 0xfffe
	s_xor_b32 s9, s8, -1
	s_wait_alu 0xfffe
	s_and_saveexec_b32 s10, s9
	s_wait_alu 0xfffe
	s_xor_b32 s9, exec_lo, s10
; %bb.235:                              ;   in Loop: Header=BB28_2 Depth=1
	v_lshlrev_b32_e32 v66, 2, v68
	ds_load_b32 v66, v66 offset:4
; %bb.236:                              ;   in Loop: Header=BB28_2 Depth=1
	s_wait_alu 0xfffe
	s_or_saveexec_b32 s9, s9
	v_mov_b32_e32 v69, v65
	s_wait_alu 0xfffe
	s_xor_b32 exec_lo, exec_lo, s9
	s_cbranch_execz .LBB28_238
; %bb.237:                              ;   in Loop: Header=BB28_2 Depth=1
	s_wait_dscnt 0x0
	v_lshlrev_b32_e32 v66, 2, v67
	ds_load_b32 v69, v66 offset:4
	v_mov_b32_e32 v66, v64
.LBB28_238:                             ;   in Loop: Header=BB28_2 Depth=1
	s_or_b32 exec_lo, exec_lo, s9
	v_add_nc_u32_e32 v70, 1, v68
	v_add_nc_u32_e32 v71, 1, v67
	s_wait_dscnt 0x0
	v_cmp_lt_i32_e64 s10, v69, v66
	s_delay_alu instid0(VALU_DEP_3) | instskip(NEXT) | instid1(VALU_DEP_3)
	v_cndmask_b32_e64 v68, v70, v68, s8
	v_cndmask_b32_e64 v67, v67, v71, s8
                                        ; implicit-def: $vgpr70
	s_delay_alu instid0(VALU_DEP_2) | instskip(NEXT) | instid1(VALU_DEP_2)
	v_cmp_le_i32_e64 s9, 0x400, v68
	v_cmp_gt_i32_e64 s11, 0x800, v67
	s_or_b32 s9, s9, s10
	s_wait_alu 0xfffe
	s_and_b32 s9, s11, s9
	s_wait_alu 0xfffe
	s_xor_b32 s10, s9, -1
	s_wait_alu 0xfffe
	s_and_saveexec_b32 s11, s10
	s_wait_alu 0xfffe
	s_xor_b32 s10, exec_lo, s11
; %bb.239:                              ;   in Loop: Header=BB28_2 Depth=1
	v_lshlrev_b32_e32 v70, 2, v68
	ds_load_b32 v70, v70 offset:4
; %bb.240:                              ;   in Loop: Header=BB28_2 Depth=1
	s_wait_alu 0xfffe
	s_or_saveexec_b32 s10, s10
	v_mov_b32_e32 v71, v69
	s_wait_alu 0xfffe
	s_xor_b32 exec_lo, exec_lo, s10
	s_cbranch_execz .LBB28_242
; %bb.241:                              ;   in Loop: Header=BB28_2 Depth=1
	s_wait_dscnt 0x0
	v_lshlrev_b32_e32 v70, 2, v67
	ds_load_b32 v71, v70 offset:4
	v_mov_b32_e32 v70, v66
.LBB28_242:                             ;   in Loop: Header=BB28_2 Depth=1
	s_or_b32 exec_lo, exec_lo, s10
	v_add_nc_u32_e32 v72, 1, v68
	v_add_nc_u32_e32 v73, 1, v67
	s_wait_dscnt 0x0
	v_cmp_lt_i32_e64 s11, v71, v70
	s_delay_alu instid0(VALU_DEP_3) | instskip(NEXT) | instid1(VALU_DEP_3)
	v_cndmask_b32_e64 v68, v72, v68, s9
	v_cndmask_b32_e64 v67, v67, v73, s9
                                        ; implicit-def: $vgpr72
	s_delay_alu instid0(VALU_DEP_2) | instskip(NEXT) | instid1(VALU_DEP_2)
	v_cmp_le_i32_e64 s10, 0x400, v68
	v_cmp_gt_i32_e64 s12, 0x800, v67
	s_or_b32 s10, s10, s11
	s_wait_alu 0xfffe
	s_and_b32 s10, s12, s10
	s_wait_alu 0xfffe
	s_xor_b32 s11, s10, -1
	s_wait_alu 0xfffe
	s_and_saveexec_b32 s12, s11
	s_wait_alu 0xfffe
	s_xor_b32 s11, exec_lo, s12
; %bb.243:                              ;   in Loop: Header=BB28_2 Depth=1
	v_lshlrev_b32_e32 v72, 2, v68
	ds_load_b32 v72, v72 offset:4
; %bb.244:                              ;   in Loop: Header=BB28_2 Depth=1
	s_wait_alu 0xfffe
	s_or_saveexec_b32 s11, s11
	v_mov_b32_e32 v73, v71
	s_wait_alu 0xfffe
	s_xor_b32 exec_lo, exec_lo, s11
	s_cbranch_execz .LBB28_246
; %bb.245:                              ;   in Loop: Header=BB28_2 Depth=1
	s_wait_dscnt 0x0
	v_lshlrev_b32_e32 v72, 2, v67
	ds_load_b32 v73, v72 offset:4
	v_mov_b32_e32 v72, v70
.LBB28_246:                             ;   in Loop: Header=BB28_2 Depth=1
	s_or_b32 exec_lo, exec_lo, s11
	v_add_nc_u32_e32 v74, 1, v68
	v_add_nc_u32_e32 v75, 1, v67
	s_wait_dscnt 0x0
	v_cmp_lt_i32_e64 s12, v73, v72
	s_delay_alu instid0(VALU_DEP_3) | instskip(NEXT) | instid1(VALU_DEP_3)
	v_cndmask_b32_e64 v68, v74, v68, s10
	v_cndmask_b32_e64 v67, v67, v75, s10
                                        ; implicit-def: $vgpr74
	s_delay_alu instid0(VALU_DEP_2) | instskip(NEXT) | instid1(VALU_DEP_2)
	v_cmp_le_i32_e64 s11, 0x400, v68
	v_cmp_gt_i32_e64 s13, 0x800, v67
	s_or_b32 s11, s11, s12
	s_wait_alu 0xfffe
	s_and_b32 s11, s13, s11
	s_wait_alu 0xfffe
	s_xor_b32 s12, s11, -1
	s_wait_alu 0xfffe
	s_and_saveexec_b32 s13, s12
	s_wait_alu 0xfffe
	s_xor_b32 s12, exec_lo, s13
; %bb.247:                              ;   in Loop: Header=BB28_2 Depth=1
	v_lshlrev_b32_e32 v74, 2, v68
	ds_load_b32 v74, v74 offset:4
; %bb.248:                              ;   in Loop: Header=BB28_2 Depth=1
	s_wait_alu 0xfffe
	s_or_saveexec_b32 s12, s12
	v_mov_b32_e32 v75, v73
	s_wait_alu 0xfffe
	s_xor_b32 exec_lo, exec_lo, s12
	s_cbranch_execz .LBB28_250
; %bb.249:                              ;   in Loop: Header=BB28_2 Depth=1
	s_wait_dscnt 0x0
	v_lshlrev_b32_e32 v74, 2, v67
	ds_load_b32 v75, v74 offset:4
	v_mov_b32_e32 v74, v72
.LBB28_250:                             ;   in Loop: Header=BB28_2 Depth=1
	s_or_b32 exec_lo, exec_lo, s12
	v_add_nc_u32_e32 v76, 1, v68
	v_add_nc_u32_e32 v77, 1, v67
	s_wait_dscnt 0x0
	v_cmp_lt_i32_e64 s13, v75, v74
	s_delay_alu instid0(VALU_DEP_3) | instskip(NEXT) | instid1(VALU_DEP_3)
	v_cndmask_b32_e64 v68, v76, v68, s11
	v_cndmask_b32_e64 v67, v67, v77, s11
                                        ; implicit-def: $vgpr76
	s_delay_alu instid0(VALU_DEP_2) | instskip(NEXT) | instid1(VALU_DEP_2)
	v_cmp_le_i32_e64 s12, 0x400, v68
	v_cmp_gt_i32_e64 s14, 0x800, v67
	s_or_b32 s12, s12, s13
	s_wait_alu 0xfffe
	s_and_b32 s12, s14, s12
	s_wait_alu 0xfffe
	s_xor_b32 s13, s12, -1
	s_wait_alu 0xfffe
	s_and_saveexec_b32 s14, s13
	s_delay_alu instid0(SALU_CYCLE_1)
	s_xor_b32 s13, exec_lo, s14
; %bb.251:                              ;   in Loop: Header=BB28_2 Depth=1
	v_lshlrev_b32_e32 v76, 2, v68
	ds_load_b32 v76, v76 offset:4
; %bb.252:                              ;   in Loop: Header=BB28_2 Depth=1
	s_wait_alu 0xfffe
	s_or_saveexec_b32 s13, s13
	v_mov_b32_e32 v77, v75
	s_wait_alu 0xfffe
	s_xor_b32 exec_lo, exec_lo, s13
	s_cbranch_execz .LBB28_254
; %bb.253:                              ;   in Loop: Header=BB28_2 Depth=1
	s_wait_dscnt 0x0
	v_lshlrev_b32_e32 v76, 2, v67
	ds_load_b32 v77, v76 offset:4
	v_mov_b32_e32 v76, v74
.LBB28_254:                             ;   in Loop: Header=BB28_2 Depth=1
	s_or_b32 exec_lo, exec_lo, s13
	v_add_nc_u32_e32 v78, 1, v68
	v_add_nc_u32_e32 v79, 1, v67
	s_wait_dscnt 0x0
	v_cmp_lt_i32_e64 s14, v77, v76
                                        ; implicit-def: $vgpr80
	s_delay_alu instid0(VALU_DEP_3) | instskip(NEXT) | instid1(VALU_DEP_3)
	v_cndmask_b32_e64 v68, v78, v68, s12
	v_cndmask_b32_e64 v78, v67, v79, s12
                                        ; implicit-def: $vgpr79
	s_delay_alu instid0(VALU_DEP_2) | instskip(NEXT) | instid1(VALU_DEP_2)
	v_cmp_le_i32_e64 s13, 0x400, v68
	v_cmp_gt_i32_e64 s15, 0x800, v78
	s_or_b32 s13, s13, s14
	s_wait_alu 0xfffe
	s_and_b32 s13, s15, s13
	s_wait_alu 0xfffe
	s_xor_b32 s14, s13, -1
	s_delay_alu instid0(SALU_CYCLE_1) | instskip(NEXT) | instid1(SALU_CYCLE_1)
	s_and_saveexec_b32 s15, s14
	s_xor_b32 s14, exec_lo, s15
; %bb.255:                              ;   in Loop: Header=BB28_2 Depth=1
	v_lshlrev_b32_e32 v67, 2, v68
	v_add_nc_u32_e32 v80, 1, v68
                                        ; implicit-def: $vgpr68
	ds_load_b32 v79, v67 offset:4
; %bb.256:                              ;   in Loop: Header=BB28_2 Depth=1
	s_or_saveexec_b32 s14, s14
	v_mov_b32_e32 v81, v77
	s_xor_b32 exec_lo, exec_lo, s14
	s_cbranch_execz .LBB28_1
; %bb.257:                              ;   in Loop: Header=BB28_2 Depth=1
	v_dual_mov_b32 v80, v68 :: v_dual_lshlrev_b32 v67, 2, v78
	s_wait_dscnt 0x0
	v_dual_mov_b32 v79, v76 :: v_dual_add_nc_u32 v78, 1, v78
	ds_load_b32 v81, v67 offset:4
	s_branch .LBB28_1
.LBB28_258:
	v_lshlrev_b32_e32 v0, 2, v0
	s_add_nc_u64 s[0:1], s[18:19], s[22:23]
	s_clause 0x7
	global_store_b32 v0, v67, s[0:1]
	global_store_b32 v0, v68, s[0:1] offset:1024
	global_store_b32 v0, v64, s[0:1] offset:2048
	;; [unrolled: 1-line block ×7, first 2 shown]
	s_endpgm
	.section	.rodata,"a",@progbits
	.p2align	6, 0x0
	.amdhsa_kernel _Z16sort_keys_kernelIiLj256ELj8EN10test_utils4lessELj10EEvPKT_PS2_T2_
		.amdhsa_group_segment_fixed_size 8196
		.amdhsa_private_segment_fixed_size 0
		.amdhsa_kernarg_size 20
		.amdhsa_user_sgpr_count 2
		.amdhsa_user_sgpr_dispatch_ptr 0
		.amdhsa_user_sgpr_queue_ptr 0
		.amdhsa_user_sgpr_kernarg_segment_ptr 1
		.amdhsa_user_sgpr_dispatch_id 0
		.amdhsa_user_sgpr_private_segment_size 0
		.amdhsa_wavefront_size32 1
		.amdhsa_uses_dynamic_stack 0
		.amdhsa_enable_private_segment 0
		.amdhsa_system_sgpr_workgroup_id_x 1
		.amdhsa_system_sgpr_workgroup_id_y 0
		.amdhsa_system_sgpr_workgroup_id_z 0
		.amdhsa_system_sgpr_workgroup_info 0
		.amdhsa_system_vgpr_workitem_id 0
		.amdhsa_next_free_vgpr 82
		.amdhsa_next_free_sgpr 24
		.amdhsa_reserve_vcc 1
		.amdhsa_float_round_mode_32 0
		.amdhsa_float_round_mode_16_64 0
		.amdhsa_float_denorm_mode_32 3
		.amdhsa_float_denorm_mode_16_64 3
		.amdhsa_fp16_overflow 0
		.amdhsa_workgroup_processor_mode 1
		.amdhsa_memory_ordered 1
		.amdhsa_forward_progress 1
		.amdhsa_inst_pref_size 106
		.amdhsa_round_robin_scheduling 0
		.amdhsa_exception_fp_ieee_invalid_op 0
		.amdhsa_exception_fp_denorm_src 0
		.amdhsa_exception_fp_ieee_div_zero 0
		.amdhsa_exception_fp_ieee_overflow 0
		.amdhsa_exception_fp_ieee_underflow 0
		.amdhsa_exception_fp_ieee_inexact 0
		.amdhsa_exception_int_div_zero 0
	.end_amdhsa_kernel
	.section	.text._Z16sort_keys_kernelIiLj256ELj8EN10test_utils4lessELj10EEvPKT_PS2_T2_,"axG",@progbits,_Z16sort_keys_kernelIiLj256ELj8EN10test_utils4lessELj10EEvPKT_PS2_T2_,comdat
.Lfunc_end28:
	.size	_Z16sort_keys_kernelIiLj256ELj8EN10test_utils4lessELj10EEvPKT_PS2_T2_, .Lfunc_end28-_Z16sort_keys_kernelIiLj256ELj8EN10test_utils4lessELj10EEvPKT_PS2_T2_
                                        ; -- End function
	.set _Z16sort_keys_kernelIiLj256ELj8EN10test_utils4lessELj10EEvPKT_PS2_T2_.num_vgpr, 82
	.set _Z16sort_keys_kernelIiLj256ELj8EN10test_utils4lessELj10EEvPKT_PS2_T2_.num_agpr, 0
	.set _Z16sort_keys_kernelIiLj256ELj8EN10test_utils4lessELj10EEvPKT_PS2_T2_.numbered_sgpr, 24
	.set _Z16sort_keys_kernelIiLj256ELj8EN10test_utils4lessELj10EEvPKT_PS2_T2_.num_named_barrier, 0
	.set _Z16sort_keys_kernelIiLj256ELj8EN10test_utils4lessELj10EEvPKT_PS2_T2_.private_seg_size, 0
	.set _Z16sort_keys_kernelIiLj256ELj8EN10test_utils4lessELj10EEvPKT_PS2_T2_.uses_vcc, 1
	.set _Z16sort_keys_kernelIiLj256ELj8EN10test_utils4lessELj10EEvPKT_PS2_T2_.uses_flat_scratch, 0
	.set _Z16sort_keys_kernelIiLj256ELj8EN10test_utils4lessELj10EEvPKT_PS2_T2_.has_dyn_sized_stack, 0
	.set _Z16sort_keys_kernelIiLj256ELj8EN10test_utils4lessELj10EEvPKT_PS2_T2_.has_recursion, 0
	.set _Z16sort_keys_kernelIiLj256ELj8EN10test_utils4lessELj10EEvPKT_PS2_T2_.has_indirect_call, 0
	.section	.AMDGPU.csdata,"",@progbits
; Kernel info:
; codeLenInByte = 13568
; TotalNumSgprs: 26
; NumVgprs: 82
; ScratchSize: 0
; MemoryBound: 0
; FloatMode: 240
; IeeeMode: 1
; LDSByteSize: 8196 bytes/workgroup (compile time only)
; SGPRBlocks: 0
; VGPRBlocks: 10
; NumSGPRsForWavesPerEU: 26
; NumVGPRsForWavesPerEU: 82
; Occupancy: 16
; WaveLimiterHint : 1
; COMPUTE_PGM_RSRC2:SCRATCH_EN: 0
; COMPUTE_PGM_RSRC2:USER_SGPR: 2
; COMPUTE_PGM_RSRC2:TRAP_HANDLER: 0
; COMPUTE_PGM_RSRC2:TGID_X_EN: 1
; COMPUTE_PGM_RSRC2:TGID_Y_EN: 0
; COMPUTE_PGM_RSRC2:TGID_Z_EN: 0
; COMPUTE_PGM_RSRC2:TIDIG_COMP_CNT: 0
	.section	.text._Z17sort_pairs_kernelIiLj256ELj8EN10test_utils4lessELj10EEvPKT_PS2_T2_,"axG",@progbits,_Z17sort_pairs_kernelIiLj256ELj8EN10test_utils4lessELj10EEvPKT_PS2_T2_,comdat
	.protected	_Z17sort_pairs_kernelIiLj256ELj8EN10test_utils4lessELj10EEvPKT_PS2_T2_ ; -- Begin function _Z17sort_pairs_kernelIiLj256ELj8EN10test_utils4lessELj10EEvPKT_PS2_T2_
	.globl	_Z17sort_pairs_kernelIiLj256ELj8EN10test_utils4lessELj10EEvPKT_PS2_T2_
	.p2align	8
	.type	_Z17sort_pairs_kernelIiLj256ELj8EN10test_utils4lessELj10EEvPKT_PS2_T2_,@function
_Z17sort_pairs_kernelIiLj256ELj8EN10test_utils4lessELj10EEvPKT_PS2_T2_: ; @_Z17sort_pairs_kernelIiLj256ELj8EN10test_utils4lessELj10EEvPKT_PS2_T2_
; %bb.0:
	s_load_b128 s[44:47], s[0:1], 0x0
	s_lshl_b32 s50, ttmp9, 11
	s_mov_b32 s51, 0
	v_lshlrev_b32_e32 v1, 2, v0
	s_lshl_b64 s[48:49], s[50:51], 2
	v_lshlrev_b32_e32 v11, 3, v0
	s_delay_alu instid0(VALU_DEP_1)
	v_and_b32_e32 v2, 0x7f0, v11
	v_and_b32_e32 v3, 0x7e0, v11
	;; [unrolled: 1-line block ×5, first 2 shown]
	v_or_b32_e32 v12, 8, v2
	v_add_nc_u32_e32 v13, 16, v2
	v_or_b32_e32 v15, 16, v3
	v_add_nc_u32_e32 v16, 32, v3
	v_and_b32_e32 v5, 0x780, v11
	s_wait_kmcnt 0x0
	s_add_nc_u64 s[0:1], s[44:45], s[48:49]
	v_sub_nc_u32_e32 v61, v13, v12
	s_clause 0x7
	global_load_b32 v78, v1, s[0:1]
	global_load_b32 v79, v1, s[0:1] offset:1024
	global_load_b32 v73, v1, s[0:1] offset:2048
	;; [unrolled: 1-line block ×7, first 2 shown]
	v_or_b32_e32 v18, 32, v4
	v_add_nc_u32_e32 v19, 64, v4
	v_sub_nc_u32_e32 v47, v12, v2
	v_sub_nc_u32_e32 v62, v16, v15
	;; [unrolled: 1-line block ×3, first 2 shown]
	v_cmp_ge_i32_e64 s0, v54, v61
	v_and_b32_e32 v56, 56, v11
	v_and_b32_e32 v6, 0x700, v11
	v_or_b32_e32 v21, 64, v5
	v_add_nc_u32_e32 v22, 0x80, v5
	v_lshlrev_b32_e32 v40, 2, v54
	v_add_nc_u32_e32 v33, v12, v54
	v_sub_nc_u32_e32 v48, v15, v3
	v_sub_nc_u32_e32 v63, v19, v18
	v_min_i32_e32 v47, v54, v47
	v_sub_nc_u32_e32 v69, v55, v62
	v_cndmask_b32_e64 v54, 0, v68, s0
	v_cmp_ge_i32_e64 s0, v55, v62
	v_and_b32_e32 v57, 0x78, v11
	v_and_b32_e32 v7, 0x600, v11
	v_or_b32_e32 v24, 0x80, v6
	v_add_nc_u32_e32 v25, 0x100, v6
	v_lshlrev_b32_e32 v41, 2, v55
	v_add_nc_u32_e32 v34, v15, v55
	v_sub_nc_u32_e32 v49, v18, v4
	v_sub_nc_u32_e32 v64, v22, v21
	v_min_i32_e32 v48, v55, v48
	v_sub_nc_u32_e32 v76, v56, v63
	s_wait_alu 0xf1ff
	v_cndmask_b32_e64 v55, 0, v69, s0
	v_cmp_ge_i32_e64 s0, v56, v63
	v_and_b32_e32 v58, 0xf8, v11
	v_and_b32_e32 v8, 0x400, v11
	v_or_b32_e32 v27, 0x100, v7
	v_add_nc_u32_e32 v28, 0x200, v7
	v_lshlrev_b32_e32 v42, 2, v56
	v_add_nc_u32_e32 v35, v18, v56
	v_sub_nc_u32_e32 v50, v21, v5
	v_sub_nc_u32_e32 v65, v25, v24
	v_min_i32_e32 v49, v56, v49
	v_sub_nc_u32_e32 v77, v57, v64
	s_wait_alu 0xf1ff
	v_cndmask_b32_e64 v56, 0, v76, s0
	v_cmp_ge_i32_e64 s0, v57, v64
	v_and_b32_e32 v59, 0x1f8, v11
	v_or_b32_e32 v30, 0x200, v8
	v_add_nc_u32_e32 v31, 0x400, v8
	v_lshlrev_b32_e32 v43, 2, v57
	v_add_nc_u32_e32 v36, v21, v57
	v_sub_nc_u32_e32 v51, v24, v6
	v_sub_nc_u32_e32 v66, v28, v27
	v_min_i32_e32 v50, v57, v50
	v_sub_nc_u32_e32 v80, v58, v65
	s_wait_alu 0xf1ff
	v_cndmask_b32_e64 v57, 0, v77, s0
	v_cmp_ge_i32_e64 s0, v58, v65
	v_and_b32_e32 v60, 0x3f8, v11
	v_lshlrev_b32_e32 v44, 2, v58
	v_add_nc_u32_e32 v37, v24, v58
	v_sub_nc_u32_e32 v52, v27, v7
	v_sub_nc_u32_e32 v67, v31, v30
	v_min_i32_e32 v51, v58, v51
	v_sub_nc_u32_e32 v81, v59, v66
	s_wait_alu 0xf1ff
	v_cndmask_b32_e64 v58, 0, v80, s0
	v_cmp_ge_i32_e64 s0, v59, v66
	v_lshlrev_b32_e32 v45, 2, v59
	v_add_nc_u32_e32 v38, v27, v59
	v_sub_nc_u32_e32 v53, v30, v8
	v_min_i32_e32 v52, v59, v52
	v_sub_nc_u32_e32 v82, v60, v67
	s_wait_alu 0xf1ff
	v_cndmask_b32_e64 v59, 0, v81, s0
	v_cmp_ge_i32_e64 s0, v60, v67
	v_lshlrev_b32_e32 v1, 5, v0
	v_lshlrev_b32_e32 v46, 2, v60
	v_add_nc_u32_e32 v39, v30, v60
	v_min_i32_e32 v53, v60, v53
	s_wait_alu 0xf1ff
	v_cndmask_b32_e64 v60, 0, v82, s0
	v_subrev_nc_u32_e64 v9, 0x400, v11 clamp
	v_min_i32_e32 v10, 0x400, v11
	v_add_nc_u32_e32 v11, 0x400, v11
	v_lshlrev_b32_e32 v14, 2, v2
	v_lshlrev_b32_e32 v17, 2, v3
	;; [unrolled: 1-line block ×7, first 2 shown]
	v_lshl_add_u32 v40, v12, 2, v40
	v_lshl_add_u32 v41, v15, 2, v41
	;; [unrolled: 1-line block ×7, first 2 shown]
	v_cmp_lt_i32_e64 s0, v54, v47
	v_cmp_lt_i32_e64 s1, v55, v48
	;; [unrolled: 1-line block ×7, first 2 shown]
	v_add_nc_u32_e32 v61, 0x1000, v1
	v_cmp_lt_i32_e32 vcc_lo, v9, v10
	s_wait_loadcnt 0x7
	v_add_nc_u32_e32 v65, 1, v78
	s_wait_loadcnt 0x6
	v_add_nc_u32_e32 v68, 1, v79
	;; [unrolled: 2-line block ×8, first 2 shown]
	s_branch .LBB29_2
.LBB29_1:                               ;   in Loop: Header=BB29_2 Depth=1
	s_or_b32 exec_lo, exec_lo, s14
	v_cmp_le_i32_e64 s14, 0x400, v98
	s_wait_dscnt 0x0
	v_cmp_lt_i32_e64 s15, v101, v99
	v_cmp_gt_i32_e64 s16, 0x800, v96
	v_cndmask_b32_e64 v75, v70, v75, s7
	v_cndmask_b32_e64 v78, v78, v79, s8
	;; [unrolled: 1-line block ×3, first 2 shown]
	s_or_b32 s14, s14, s15
	v_cndmask_b32_e64 v86, v86, v87, s10
	s_wait_alu 0xfffe
	s_and_b32 s14, s16, s14
	v_cndmask_b32_e64 v91, v91, v92, s11
	v_cndmask_b32_e64 v94, v94, v95, s12
	s_wait_alu 0xfffe
	v_cndmask_b32_e64 v79, v98, v96, s14
	s_wait_loadcnt 0x0
	s_barrier_signal -1
	s_barrier_wait -1
	global_inv scope:SCOPE_SE
	ds_store_2addr_b32 v1, v62, v63 offset1:1
	ds_store_2addr_b32 v1, v64, v65 offset0:2 offset1:3
	ds_store_2addr_b32 v1, v66, v67 offset0:4 offset1:5
	;; [unrolled: 1-line block ×3, first 2 shown]
	v_lshlrev_b32_e32 v62, 2, v75
	v_lshlrev_b32_e32 v63, 2, v78
	;; [unrolled: 1-line block ×5, first 2 shown]
	s_wait_loadcnt_dscnt 0x0
	s_barrier_signal -1
	s_barrier_wait -1
	global_inv scope:SCOPE_SE
	v_lshlrev_b32_e32 v78, 2, v94
	v_lshlrev_b32_e32 v82, 2, v97
	;; [unrolled: 1-line block ×3, first 2 shown]
	ds_load_b32 v65, v62
	ds_load_b32 v68, v63
	;; [unrolled: 1-line block ×8, first 2 shown]
	v_cndmask_b32_e64 v70, v99, v101, s14
	v_cndmask_b32_e64 v78, v71, v72, s7
	v_cndmask_b32_e64 v79, v73, v74, s8
	v_cndmask_b32_e64 v73, v76, v77, s9
	v_cndmask_b32_e64 v75, v80, v81, s10
	v_cndmask_b32_e64 v74, v84, v85, s11
	v_cndmask_b32_e64 v72, v88, v89, s12
	v_cndmask_b32_e64 v71, v90, v93, s13
	s_add_co_i32 s51, s51, 1
	s_delay_alu instid0(SALU_CYCLE_1)
	s_cmp_eq_u32 s51, 10
	s_cbranch_scc1 .LBB29_258
.LBB29_2:                               ; =>This Loop Header: Depth=1
                                        ;     Child Loop BB29_4 Depth 2
                                        ;     Child Loop BB29_36 Depth 2
	;; [unrolled: 1-line block ×8, first 2 shown]
	v_cmp_lt_i32_e64 s7, v79, v78
	v_cmp_lt_i32_e64 s8, v75, v73
	;; [unrolled: 1-line block ×4, first 2 shown]
	s_wait_alu 0xf1ff
	v_cndmask_b32_e64 v76, v78, v79, s7
	v_cndmask_b32_e64 v77, v75, v73, s8
	;; [unrolled: 1-line block ×8, first 2 shown]
	v_cmp_lt_i32_e64 s11, v73, v78
	s_barrier_signal -1
	v_cmp_lt_i32_e64 s12, v72, v77
	s_barrier_wait -1
	v_cmp_lt_i32_e64 s13, v70, v75
	s_wait_alu 0xf1ff
	v_cndmask_b32_e64 v71, v73, v78, s11
	v_cndmask_b32_e64 v73, v78, v73, s11
	;; [unrolled: 1-line block ×6, first 2 shown]
	v_cmp_lt_i32_e64 s14, v73, v76
	global_inv scope:SCOPE_SE
	v_cmp_lt_i32_e64 s15, v72, v71
	v_cmp_lt_i32_e64 s17, v74, v77
	;; [unrolled: 1-line block ×3, first 2 shown]
	s_wait_alu 0xf1ff
	v_cndmask_b32_e64 v75, v76, v73, s14
	v_cndmask_b32_e64 v73, v73, v76, s14
	;; [unrolled: 1-line block ×8, first 2 shown]
	v_cmp_lt_i32_e64 s18, v71, v73
	s_delay_alu instid0(VALU_DEP_4) | instskip(NEXT) | instid1(VALU_DEP_3)
	v_cmp_lt_i32_e64 s19, v70, v76
	v_cmp_lt_i32_e64 s20, v74, v72
	s_wait_alu 0xf1ff
	s_delay_alu instid0(VALU_DEP_3)
	v_cndmask_b32_e64 v77, v71, v73, s18
	v_cndmask_b32_e64 v71, v73, v71, s18
	;; [unrolled: 1-line block ×6, first 2 shown]
	v_cmp_lt_i32_e64 s21, v71, v75
	s_delay_alu instid0(VALU_DEP_4) | instskip(NEXT) | instid1(VALU_DEP_4)
	v_cmp_lt_i32_e64 s22, v70, v77
	v_cmp_lt_i32_e64 s24, v78, v76
	s_delay_alu instid0(VALU_DEP_4)
	v_cmp_lt_i32_e64 s23, v72, v73
	s_wait_alu 0xf1ff
	v_cndmask_b32_e64 v74, v75, v71, s21
	v_cndmask_b32_e64 v71, v71, v75, s21
	;; [unrolled: 1-line block ×8, first 2 shown]
	v_cmp_lt_i32_e64 s25, v70, v71
	s_delay_alu instid0(VALU_DEP_4) | instskip(NEXT) | instid1(VALU_DEP_3)
	v_cmp_lt_i32_e64 s26, v72, v75
	v_cmp_lt_i32_e64 s27, v76, v77
	s_wait_alu 0xf1ff
	s_delay_alu instid0(VALU_DEP_3)
	v_cndmask_b32_e64 v78, v70, v71, s25
	v_cndmask_b32_e64 v70, v71, v70, s25
	;; [unrolled: 1-line block ×6, first 2 shown]
	v_cmp_lt_i32_e64 s28, v70, v74
	s_delay_alu instid0(VALU_DEP_4) | instskip(NEXT) | instid1(VALU_DEP_4)
	v_cmp_lt_i32_e64 s29, v72, v78
	v_cmp_lt_i32_e64 s34, v73, v75
	s_delay_alu instid0(VALU_DEP_4)
	v_cmp_lt_i32_e64 s31, v76, v71
	s_wait_alu 0xf1ff
	v_cndmask_b32_e64 v77, v74, v70, s28
	v_cndmask_b32_e64 v70, v70, v74, s28
	;; [unrolled: 1-line block ×8, first 2 shown]
	v_cmp_lt_i32_e64 s35, v72, v70
	s_delay_alu instid0(VALU_DEP_4) | instskip(NEXT) | instid1(VALU_DEP_3)
	v_cmp_lt_i32_e64 s30, v71, v74
	v_cmp_lt_i32_e64 s33, v73, v78
	s_wait_alu 0xf1ff
	s_delay_alu instid0(VALU_DEP_3)
	v_cndmask_b32_e64 v75, v72, v70, s35
	v_cndmask_b32_e64 v70, v70, v72, s35
	;; [unrolled: 1-line block ×6, first 2 shown]
	ds_store_2addr_b32 v1, v77, v70 offset1:1
	ds_store_2addr_b32 v1, v75, v71 offset0:2 offset1:3
	ds_store_2addr_b32 v1, v72, v73 offset0:4 offset1:5
	ds_store_2addr_b32 v1, v74, v76 offset0:6 offset1:7
	v_mov_b32_e32 v72, v54
	s_wait_loadcnt_dscnt 0x0
	s_barrier_signal -1
	s_barrier_wait -1
	global_inv scope:SCOPE_SE
	s_and_saveexec_b32 s37, s0
	s_cbranch_execz .LBB29_6
; %bb.3:                                ;   in Loop: Header=BB29_2 Depth=1
	v_mov_b32_e32 v72, v54
	v_mov_b32_e32 v70, v47
	s_mov_b32 s38, 0
.LBB29_4:                               ;   Parent Loop BB29_2 Depth=1
                                        ; =>  This Inner Loop Header: Depth=2
	s_delay_alu instid0(VALU_DEP_1) | instskip(NEXT) | instid1(VALU_DEP_1)
	v_sub_nc_u32_e32 v71, v70, v72
	v_lshrrev_b32_e32 v71, 1, v71
	s_delay_alu instid0(VALU_DEP_1) | instskip(NEXT) | instid1(VALU_DEP_1)
	v_add_nc_u32_e32 v71, v71, v72
	v_not_b32_e32 v73, v71
	v_lshl_add_u32 v74, v71, 2, v14
	v_add_nc_u32_e32 v75, 1, v71
	s_delay_alu instid0(VALU_DEP_3)
	v_lshl_add_u32 v73, v73, 2, v40
	ds_load_b32 v74, v74
	ds_load_b32 v73, v73
	s_wait_dscnt 0x0
	v_cmp_lt_i32_e64 s36, v73, v74
	s_wait_alu 0xf1ff
	s_delay_alu instid0(VALU_DEP_1) | instskip(SKIP_1) | instid1(VALU_DEP_1)
	v_cndmask_b32_e64 v70, v70, v71, s36
	v_cndmask_b32_e64 v72, v75, v72, s36
	v_cmp_ge_i32_e64 s36, v72, v70
	s_wait_alu 0xfffe
	s_or_b32 s38, s36, s38
	s_wait_alu 0xfffe
	s_and_not1_b32 exec_lo, exec_lo, s38
	s_cbranch_execnz .LBB29_4
; %bb.5:                                ;   in Loop: Header=BB29_2 Depth=1
	s_or_b32 exec_lo, exec_lo, s38
.LBB29_6:                               ;   in Loop: Header=BB29_2 Depth=1
	s_wait_alu 0xfffe
	s_or_b32 exec_lo, exec_lo, s37
	v_sub_nc_u32_e32 v76, v33, v72
	v_lshl_add_u32 v73, v72, 2, v14
	v_add_nc_u32_e32 v78, v72, v2
                                        ; implicit-def: $vgpr72
	s_delay_alu instid0(VALU_DEP_3) | instskip(SKIP_1) | instid1(VALU_DEP_3)
	v_lshlrev_b32_e32 v74, 2, v76
	v_cmp_gt_i32_e64 s38, v13, v76
	v_cmp_le_i32_e64 s36, v12, v78
	ds_load_b32 v70, v73
	ds_load_b32 v71, v74
	s_wait_dscnt 0x0
	v_cmp_lt_i32_e64 s37, v71, v70
	s_or_b32 s36, s36, s37
	s_wait_alu 0xfffe
	s_and_b32 s36, s38, s36
	s_wait_alu 0xfffe
	s_xor_b32 s37, s36, -1
	s_wait_alu 0xfffe
	s_and_saveexec_b32 s38, s37
	s_wait_alu 0xfffe
	s_xor_b32 s37, exec_lo, s38
; %bb.7:                                ;   in Loop: Header=BB29_2 Depth=1
	ds_load_b32 v72, v73 offset:4
                                        ; implicit-def: $vgpr74
; %bb.8:                                ;   in Loop: Header=BB29_2 Depth=1
	s_wait_alu 0xfffe
	s_or_saveexec_b32 s37, s37
	v_mov_b32_e32 v73, v71
	s_wait_alu 0xfffe
	s_xor_b32 exec_lo, exec_lo, s37
	s_cbranch_execz .LBB29_10
; %bb.9:                                ;   in Loop: Header=BB29_2 Depth=1
	ds_load_b32 v73, v74 offset:4
	s_wait_dscnt 0x1
	v_mov_b32_e32 v72, v70
.LBB29_10:                              ;   in Loop: Header=BB29_2 Depth=1
	s_or_b32 exec_lo, exec_lo, s37
	v_add_nc_u32_e32 v74, 1, v78
	v_add_nc_u32_e32 v75, 1, v76
	s_wait_dscnt 0x0
	v_cmp_lt_i32_e64 s38, v73, v72
	s_delay_alu instid0(VALU_DEP_3) | instskip(NEXT) | instid1(VALU_DEP_3)
	v_cndmask_b32_e64 v81, v74, v78, s36
	v_cndmask_b32_e64 v82, v76, v75, s36
                                        ; implicit-def: $vgpr74
	s_delay_alu instid0(VALU_DEP_2) | instskip(NEXT) | instid1(VALU_DEP_2)
	v_cmp_ge_i32_e64 s37, v81, v12
	v_cmp_lt_i32_e64 s39, v82, v13
	s_or_b32 s37, s37, s38
	s_wait_alu 0xfffe
	s_and_b32 s37, s39, s37
	s_wait_alu 0xfffe
	s_xor_b32 s38, s37, -1
	s_wait_alu 0xfffe
	s_and_saveexec_b32 s39, s38
	s_wait_alu 0xfffe
	s_xor_b32 s38, exec_lo, s39
; %bb.11:                               ;   in Loop: Header=BB29_2 Depth=1
	v_lshlrev_b32_e32 v74, 2, v81
	ds_load_b32 v74, v74 offset:4
; %bb.12:                               ;   in Loop: Header=BB29_2 Depth=1
	s_wait_alu 0xfffe
	s_or_saveexec_b32 s38, s38
	v_mov_b32_e32 v75, v73
	s_wait_alu 0xfffe
	s_xor_b32 exec_lo, exec_lo, s38
	s_cbranch_execz .LBB29_14
; %bb.13:                               ;   in Loop: Header=BB29_2 Depth=1
	s_wait_dscnt 0x0
	v_lshlrev_b32_e32 v74, 2, v82
	ds_load_b32 v75, v74 offset:4
	v_mov_b32_e32 v74, v72
.LBB29_14:                              ;   in Loop: Header=BB29_2 Depth=1
	s_or_b32 exec_lo, exec_lo, s38
	v_add_nc_u32_e32 v77, 1, v81
	v_add_nc_u32_e32 v79, 1, v82
	s_wait_dscnt 0x0
	v_cmp_lt_i32_e64 s39, v75, v74
	s_delay_alu instid0(VALU_DEP_3) | instskip(NEXT) | instid1(VALU_DEP_3)
	v_cndmask_b32_e64 v85, v77, v81, s37
	v_cndmask_b32_e64 v86, v82, v79, s37
                                        ; implicit-def: $vgpr77
	s_delay_alu instid0(VALU_DEP_2) | instskip(NEXT) | instid1(VALU_DEP_2)
	v_cmp_ge_i32_e64 s38, v85, v12
	v_cmp_lt_i32_e64 s40, v86, v13
	s_or_b32 s38, s38, s39
	s_wait_alu 0xfffe
	s_and_b32 s38, s40, s38
	s_wait_alu 0xfffe
	s_xor_b32 s39, s38, -1
	s_wait_alu 0xfffe
	s_and_saveexec_b32 s40, s39
	s_wait_alu 0xfffe
	s_xor_b32 s39, exec_lo, s40
; %bb.15:                               ;   in Loop: Header=BB29_2 Depth=1
	v_lshlrev_b32_e32 v77, 2, v85
	ds_load_b32 v77, v77 offset:4
; %bb.16:                               ;   in Loop: Header=BB29_2 Depth=1
	s_wait_alu 0xfffe
	s_or_saveexec_b32 s39, s39
	v_mov_b32_e32 v79, v75
	s_wait_alu 0xfffe
	s_xor_b32 exec_lo, exec_lo, s39
	s_cbranch_execz .LBB29_18
; %bb.17:                               ;   in Loop: Header=BB29_2 Depth=1
	s_wait_dscnt 0x0
	v_lshlrev_b32_e32 v77, 2, v86
	ds_load_b32 v79, v77 offset:4
	v_mov_b32_e32 v77, v74
.LBB29_18:                              ;   in Loop: Header=BB29_2 Depth=1
	s_or_b32 exec_lo, exec_lo, s39
	v_add_nc_u32_e32 v80, 1, v85
	v_add_nc_u32_e32 v83, 1, v86
	s_wait_dscnt 0x0
	v_cmp_lt_i32_e64 s40, v79, v77
	s_delay_alu instid0(VALU_DEP_3) | instskip(NEXT) | instid1(VALU_DEP_3)
	v_cndmask_b32_e64 v88, v80, v85, s38
	v_cndmask_b32_e64 v89, v86, v83, s38
                                        ; implicit-def: $vgpr80
	s_delay_alu instid0(VALU_DEP_2) | instskip(NEXT) | instid1(VALU_DEP_2)
	v_cmp_ge_i32_e64 s39, v88, v12
	v_cmp_lt_i32_e64 s41, v89, v13
	s_or_b32 s39, s39, s40
	s_wait_alu 0xfffe
	s_and_b32 s39, s41, s39
	s_wait_alu 0xfffe
	s_xor_b32 s40, s39, -1
	s_wait_alu 0xfffe
	s_and_saveexec_b32 s41, s40
	s_wait_alu 0xfffe
	s_xor_b32 s40, exec_lo, s41
; %bb.19:                               ;   in Loop: Header=BB29_2 Depth=1
	v_lshlrev_b32_e32 v80, 2, v88
	ds_load_b32 v80, v80 offset:4
; %bb.20:                               ;   in Loop: Header=BB29_2 Depth=1
	s_wait_alu 0xfffe
	s_or_saveexec_b32 s40, s40
	v_mov_b32_e32 v83, v79
	s_wait_alu 0xfffe
	s_xor_b32 exec_lo, exec_lo, s40
	s_cbranch_execz .LBB29_22
; %bb.21:                               ;   in Loop: Header=BB29_2 Depth=1
	s_wait_dscnt 0x0
	v_lshlrev_b32_e32 v80, 2, v89
	ds_load_b32 v83, v80 offset:4
	v_mov_b32_e32 v80, v77
.LBB29_22:                              ;   in Loop: Header=BB29_2 Depth=1
	s_or_b32 exec_lo, exec_lo, s40
	v_add_nc_u32_e32 v84, 1, v88
	v_add_nc_u32_e32 v87, 1, v89
	s_wait_dscnt 0x0
	v_cmp_lt_i32_e64 s41, v83, v80
	s_delay_alu instid0(VALU_DEP_3) | instskip(NEXT) | instid1(VALU_DEP_3)
	v_cndmask_b32_e64 v90, v84, v88, s39
	v_cndmask_b32_e64 v91, v89, v87, s39
                                        ; implicit-def: $vgpr84
	s_delay_alu instid0(VALU_DEP_2) | instskip(NEXT) | instid1(VALU_DEP_2)
	v_cmp_ge_i32_e64 s40, v90, v12
	v_cmp_lt_i32_e64 s42, v91, v13
	s_or_b32 s40, s40, s41
	s_wait_alu 0xfffe
	s_and_b32 s40, s42, s40
	s_wait_alu 0xfffe
	s_xor_b32 s41, s40, -1
	s_wait_alu 0xfffe
	s_and_saveexec_b32 s42, s41
	s_wait_alu 0xfffe
	s_xor_b32 s41, exec_lo, s42
; %bb.23:                               ;   in Loop: Header=BB29_2 Depth=1
	v_lshlrev_b32_e32 v84, 2, v90
	ds_load_b32 v84, v84 offset:4
; %bb.24:                               ;   in Loop: Header=BB29_2 Depth=1
	s_wait_alu 0xfffe
	s_or_saveexec_b32 s41, s41
	v_mov_b32_e32 v87, v83
	s_wait_alu 0xfffe
	s_xor_b32 exec_lo, exec_lo, s41
	s_cbranch_execz .LBB29_26
; %bb.25:                               ;   in Loop: Header=BB29_2 Depth=1
	s_wait_dscnt 0x0
	v_lshlrev_b32_e32 v84, 2, v91
	ds_load_b32 v87, v84 offset:4
	v_mov_b32_e32 v84, v80
.LBB29_26:                              ;   in Loop: Header=BB29_2 Depth=1
	s_or_b32 exec_lo, exec_lo, s41
	v_add_nc_u32_e32 v92, 1, v90
	v_add_nc_u32_e32 v93, 1, v91
	s_wait_dscnt 0x0
	v_cmp_lt_i32_e64 s42, v87, v84
                                        ; implicit-def: $vgpr96
	s_delay_alu instid0(VALU_DEP_3) | instskip(NEXT) | instid1(VALU_DEP_3)
	v_cndmask_b32_e64 v94, v92, v90, s40
	v_cndmask_b32_e64 v95, v91, v93, s40
	s_delay_alu instid0(VALU_DEP_2) | instskip(NEXT) | instid1(VALU_DEP_2)
	v_cmp_ge_i32_e64 s41, v94, v12
	v_cmp_lt_i32_e64 s43, v95, v13
	s_or_b32 s41, s41, s42
	s_wait_alu 0xfffe
	s_and_b32 s41, s43, s41
	s_wait_alu 0xfffe
	s_xor_b32 s42, s41, -1
	s_wait_alu 0xfffe
	s_and_saveexec_b32 s43, s42
	s_wait_alu 0xfffe
	s_xor_b32 s42, exec_lo, s43
; %bb.27:                               ;   in Loop: Header=BB29_2 Depth=1
	v_lshlrev_b32_e32 v92, 2, v94
	ds_load_b32 v96, v92 offset:4
; %bb.28:                               ;   in Loop: Header=BB29_2 Depth=1
	s_wait_alu 0xfffe
	s_or_saveexec_b32 s42, s42
	v_mov_b32_e32 v97, v87
	s_wait_alu 0xfffe
	s_xor_b32 exec_lo, exec_lo, s42
	s_cbranch_execz .LBB29_30
; %bb.29:                               ;   in Loop: Header=BB29_2 Depth=1
	v_lshlrev_b32_e32 v92, 2, v95
	s_wait_dscnt 0x0
	v_mov_b32_e32 v96, v84
	ds_load_b32 v97, v92 offset:4
.LBB29_30:                              ;   in Loop: Header=BB29_2 Depth=1
	s_or_b32 exec_lo, exec_lo, s42
	v_add_nc_u32_e32 v92, 1, v94
	v_add_nc_u32_e32 v93, 1, v95
	s_wait_dscnt 0x0
	v_cmp_lt_i32_e64 s43, v97, v96
	s_delay_alu instid0(VALU_DEP_3) | instskip(NEXT) | instid1(VALU_DEP_3)
	v_cndmask_b32_e64 v98, v92, v94, s41
	v_cndmask_b32_e64 v99, v95, v93, s41
                                        ; implicit-def: $vgpr92
	s_delay_alu instid0(VALU_DEP_2) | instskip(NEXT) | instid1(VALU_DEP_2)
	v_cmp_ge_i32_e64 s42, v98, v12
	v_cmp_lt_i32_e64 s44, v99, v13
	s_or_b32 s42, s42, s43
	s_wait_alu 0xfffe
	s_and_b32 s42, s44, s42
	s_wait_alu 0xfffe
	s_xor_b32 s43, s42, -1
	s_wait_alu 0xfffe
	s_and_saveexec_b32 s44, s43
	s_delay_alu instid0(SALU_CYCLE_1)
	s_xor_b32 s43, exec_lo, s44
; %bb.31:                               ;   in Loop: Header=BB29_2 Depth=1
	v_lshlrev_b32_e32 v92, 2, v98
	ds_load_b32 v92, v92 offset:4
; %bb.32:                               ;   in Loop: Header=BB29_2 Depth=1
	s_wait_alu 0xfffe
	s_or_saveexec_b32 s43, s43
	v_mov_b32_e32 v93, v97
	s_wait_alu 0xfffe
	s_xor_b32 exec_lo, exec_lo, s43
	s_cbranch_execz .LBB29_34
; %bb.33:                               ;   in Loop: Header=BB29_2 Depth=1
	s_wait_dscnt 0x0
	v_lshlrev_b32_e32 v92, 2, v99
	ds_load_b32 v93, v92 offset:4
	v_mov_b32_e32 v92, v96
.LBB29_34:                              ;   in Loop: Header=BB29_2 Depth=1
	s_or_b32 exec_lo, exec_lo, s43
	v_cndmask_b32_e64 v76, v78, v76, s36
	v_cndmask_b32_e64 v78, v65, v68, s7
	v_cndmask_b32_e64 v65, v68, v65, s7
	v_cndmask_b32_e64 v68, v69, v66, s8
	v_cndmask_b32_e64 v66, v66, v69, s8
	v_cndmask_b32_e64 v69, v64, v67, s9
	v_cndmask_b32_e64 v64, v67, v64, s9
	v_cndmask_b32_e64 v67, v63, v62, s10
	v_cndmask_b32_e64 v62, v62, v63, s10
	v_cndmask_b32_e64 v63, v66, v65, s11
	v_cndmask_b32_e64 v65, v65, v66, s11
	v_cndmask_b32_e64 v66, v64, v68, s12
	v_cndmask_b32_e64 v64, v68, v64, s12
	v_cndmask_b32_e64 v68, v62, v69, s13
	v_cndmask_b32_e64 v62, v69, v62, s13
	v_cndmask_b32_e64 v69, v78, v65, s14
	v_cndmask_b32_e64 v65, v65, v78, s14
	v_cndmask_b32_e64 v78, v64, v63, s15
	v_cndmask_b32_e64 v63, v63, v64, s15
	v_cndmask_b32_e64 v64, v62, v66, s16
	v_cndmask_b32_e64 v62, v66, v62, s16
	v_cndmask_b32_e64 v66, v67, v68, s17
	v_cndmask_b32_e64 v67, v68, v67, s17
	v_cndmask_b32_e64 v68, v63, v65, s18
	v_cndmask_b32_e64 v63, v65, v63, s18
	v_cndmask_b32_e64 v65, v62, v78, s19
	v_cndmask_b32_e64 v62, v78, v62, s19
	v_cndmask_b32_e64 v78, v67, v64, s20
	v_cndmask_b32_e64 v64, v64, v67, s20
	v_add_nc_u32_e32 v101, 1, v98
	v_cndmask_b32_e64 v67, v69, v63, s21
	v_cndmask_b32_e64 v63, v63, v69, s21
	;; [unrolled: 1-line block ×8, first 2 shown]
	v_add_nc_u32_e32 v100, 1, v99
	v_cndmask_b32_e64 v96, v96, v97, s42
	v_cndmask_b32_e64 v97, v98, v99, s42
	;; [unrolled: 1-line block ×14, first 2 shown]
	v_cmp_ge_i32_e64 s7, v98, v12
	s_wait_dscnt 0x0
	v_cmp_lt_i32_e64 s8, v93, v92
	v_cndmask_b32_e64 v78, v66, v63, s31
	v_cndmask_b32_e64 v63, v63, v66, s31
	v_cndmask_b32_e64 v66, v65, v69, s34
	v_cndmask_b32_e64 v65, v69, v65, s34
	v_cmp_lt_i32_e64 s9, v99, v13
	v_cndmask_b32_e64 v69, v64, v62, s35
	v_cndmask_b32_e64 v62, v62, v64, s35
	s_or_b32 s7, s7, s8
	v_cndmask_b32_e64 v81, v81, v82, s37
	v_cndmask_b32_e64 v64, v63, v67, s30
	;; [unrolled: 1-line block ×6, first 2 shown]
	s_wait_alu 0xfffe
	s_and_b32 s7, s9, s7
	v_cndmask_b32_e64 v88, v88, v89, s39
	v_cndmask_b32_e64 v94, v94, v95, s41
	;; [unrolled: 1-line block ×3, first 2 shown]
	s_wait_alu 0xfffe
	v_cndmask_b32_e64 v82, v98, v99, s7
	s_wait_loadcnt 0x0
	s_barrier_signal -1
	s_barrier_wait -1
	global_inv scope:SCOPE_SE
	ds_store_2addr_b32 v1, v68, v62 offset1:1
	ds_store_2addr_b32 v1, v69, v63 offset0:2 offset1:3
	ds_store_2addr_b32 v1, v64, v65 offset0:4 offset1:5
	;; [unrolled: 1-line block ×3, first 2 shown]
	v_lshlrev_b32_e32 v62, 2, v76
	v_lshlrev_b32_e32 v63, 2, v81
	;; [unrolled: 1-line block ×8, first 2 shown]
	s_wait_loadcnt_dscnt 0x0
	s_barrier_signal -1
	s_barrier_wait -1
	global_inv scope:SCOPE_SE
	ds_load_b32 v62, v62
	ds_load_b32 v63, v63
	;; [unrolled: 1-line block ×8, first 2 shown]
	v_cndmask_b32_e64 v72, v72, v73, s37
	v_cndmask_b32_e64 v70, v70, v71, s36
	;; [unrolled: 1-line block ×7, first 2 shown]
	s_wait_loadcnt_dscnt 0x0
	s_barrier_signal -1
	s_barrier_wait -1
	global_inv scope:SCOPE_SE
	ds_store_2addr_b32 v1, v70, v72 offset1:1
	ds_store_2addr_b32 v1, v74, v77 offset0:2 offset1:3
	ds_store_2addr_b32 v1, v80, v76 offset0:4 offset1:5
	;; [unrolled: 1-line block ×3, first 2 shown]
	v_mov_b32_e32 v72, v55
	s_wait_loadcnt_dscnt 0x0
	s_barrier_signal -1
	s_barrier_wait -1
	global_inv scope:SCOPE_SE
	s_and_saveexec_b32 s8, s1
	s_cbranch_execz .LBB29_38
; %bb.35:                               ;   in Loop: Header=BB29_2 Depth=1
	v_mov_b32_e32 v72, v55
	v_mov_b32_e32 v70, v48
	s_mov_b32 s9, 0
.LBB29_36:                              ;   Parent Loop BB29_2 Depth=1
                                        ; =>  This Inner Loop Header: Depth=2
	s_delay_alu instid0(VALU_DEP_1) | instskip(NEXT) | instid1(VALU_DEP_1)
	v_sub_nc_u32_e32 v71, v70, v72
	v_lshrrev_b32_e32 v71, 1, v71
	s_delay_alu instid0(VALU_DEP_1) | instskip(NEXT) | instid1(VALU_DEP_1)
	v_add_nc_u32_e32 v71, v71, v72
	v_not_b32_e32 v73, v71
	v_lshl_add_u32 v74, v71, 2, v17
	v_add_nc_u32_e32 v75, 1, v71
	s_delay_alu instid0(VALU_DEP_3)
	v_lshl_add_u32 v73, v73, 2, v41
	ds_load_b32 v74, v74
	ds_load_b32 v73, v73
	s_wait_dscnt 0x0
	v_cmp_lt_i32_e64 s7, v73, v74
	s_wait_alu 0xf1ff
	s_delay_alu instid0(VALU_DEP_1) | instskip(SKIP_1) | instid1(VALU_DEP_1)
	v_cndmask_b32_e64 v70, v70, v71, s7
	v_cndmask_b32_e64 v72, v75, v72, s7
	v_cmp_ge_i32_e64 s7, v72, v70
	s_wait_alu 0xfffe
	s_or_b32 s9, s7, s9
	s_wait_alu 0xfffe
	s_and_not1_b32 exec_lo, exec_lo, s9
	s_cbranch_execnz .LBB29_36
; %bb.37:                               ;   in Loop: Header=BB29_2 Depth=1
	s_or_b32 exec_lo, exec_lo, s9
.LBB29_38:                              ;   in Loop: Header=BB29_2 Depth=1
	s_wait_alu 0xfffe
	s_or_b32 exec_lo, exec_lo, s8
	v_sub_nc_u32_e32 v74, v34, v72
	v_lshl_add_u32 v73, v72, 2, v17
	v_add_nc_u32_e32 v75, v72, v3
                                        ; implicit-def: $vgpr72
	s_delay_alu instid0(VALU_DEP_3) | instskip(SKIP_1) | instid1(VALU_DEP_3)
	v_lshlrev_b32_e32 v76, 2, v74
	v_cmp_gt_i32_e64 s9, v16, v74
	v_cmp_le_i32_e64 s7, v15, v75
	ds_load_b32 v70, v73
	ds_load_b32 v71, v76
	s_wait_dscnt 0x0
	v_cmp_lt_i32_e64 s8, v71, v70
	s_or_b32 s7, s7, s8
	s_wait_alu 0xfffe
	s_and_b32 s7, s9, s7
	s_wait_alu 0xfffe
	s_xor_b32 s8, s7, -1
	s_wait_alu 0xfffe
	s_and_saveexec_b32 s9, s8
	s_wait_alu 0xfffe
	s_xor_b32 s8, exec_lo, s9
; %bb.39:                               ;   in Loop: Header=BB29_2 Depth=1
	ds_load_b32 v72, v73 offset:4
                                        ; implicit-def: $vgpr76
; %bb.40:                               ;   in Loop: Header=BB29_2 Depth=1
	s_wait_alu 0xfffe
	s_or_saveexec_b32 s8, s8
	v_mov_b32_e32 v73, v71
	s_wait_alu 0xfffe
	s_xor_b32 exec_lo, exec_lo, s8
	s_cbranch_execz .LBB29_42
; %bb.41:                               ;   in Loop: Header=BB29_2 Depth=1
	ds_load_b32 v73, v76 offset:4
	s_wait_dscnt 0x1
	v_mov_b32_e32 v72, v70
.LBB29_42:                              ;   in Loop: Header=BB29_2 Depth=1
	s_or_b32 exec_lo, exec_lo, s8
	v_add_nc_u32_e32 v76, 1, v75
	v_add_nc_u32_e32 v77, 1, v74
	s_wait_dscnt 0x0
	v_cmp_lt_i32_e64 s9, v73, v72
	s_delay_alu instid0(VALU_DEP_3) | instskip(NEXT) | instid1(VALU_DEP_3)
	v_cndmask_b32_e64 v78, v76, v75, s7
	v_cndmask_b32_e64 v79, v74, v77, s7
                                        ; implicit-def: $vgpr76
	s_delay_alu instid0(VALU_DEP_2) | instskip(NEXT) | instid1(VALU_DEP_2)
	v_cmp_ge_i32_e64 s8, v78, v15
	v_cmp_lt_i32_e64 s10, v79, v16
	s_or_b32 s8, s8, s9
	s_wait_alu 0xfffe
	s_and_b32 s8, s10, s8
	s_wait_alu 0xfffe
	s_xor_b32 s9, s8, -1
	s_wait_alu 0xfffe
	s_and_saveexec_b32 s10, s9
	s_wait_alu 0xfffe
	s_xor_b32 s9, exec_lo, s10
; %bb.43:                               ;   in Loop: Header=BB29_2 Depth=1
	v_lshlrev_b32_e32 v76, 2, v78
	ds_load_b32 v76, v76 offset:4
; %bb.44:                               ;   in Loop: Header=BB29_2 Depth=1
	s_wait_alu 0xfffe
	s_or_saveexec_b32 s9, s9
	v_mov_b32_e32 v77, v73
	s_wait_alu 0xfffe
	s_xor_b32 exec_lo, exec_lo, s9
	s_cbranch_execz .LBB29_46
; %bb.45:                               ;   in Loop: Header=BB29_2 Depth=1
	s_wait_dscnt 0x0
	v_lshlrev_b32_e32 v76, 2, v79
	ds_load_b32 v77, v76 offset:4
	v_mov_b32_e32 v76, v72
.LBB29_46:                              ;   in Loop: Header=BB29_2 Depth=1
	s_or_b32 exec_lo, exec_lo, s9
	v_add_nc_u32_e32 v80, 1, v78
	v_add_nc_u32_e32 v81, 1, v79
	s_wait_dscnt 0x0
	v_cmp_lt_i32_e64 s10, v77, v76
	s_delay_alu instid0(VALU_DEP_3) | instskip(NEXT) | instid1(VALU_DEP_3)
	v_cndmask_b32_e64 v82, v80, v78, s8
	v_cndmask_b32_e64 v83, v79, v81, s8
                                        ; implicit-def: $vgpr80
	s_delay_alu instid0(VALU_DEP_2) | instskip(NEXT) | instid1(VALU_DEP_2)
	v_cmp_ge_i32_e64 s9, v82, v15
	v_cmp_lt_i32_e64 s11, v83, v16
	s_or_b32 s9, s9, s10
	s_wait_alu 0xfffe
	s_and_b32 s9, s11, s9
	s_wait_alu 0xfffe
	s_xor_b32 s10, s9, -1
	s_wait_alu 0xfffe
	s_and_saveexec_b32 s11, s10
	s_wait_alu 0xfffe
	s_xor_b32 s10, exec_lo, s11
; %bb.47:                               ;   in Loop: Header=BB29_2 Depth=1
	v_lshlrev_b32_e32 v80, 2, v82
	ds_load_b32 v80, v80 offset:4
; %bb.48:                               ;   in Loop: Header=BB29_2 Depth=1
	s_wait_alu 0xfffe
	s_or_saveexec_b32 s10, s10
	v_mov_b32_e32 v81, v77
	s_wait_alu 0xfffe
	s_xor_b32 exec_lo, exec_lo, s10
	s_cbranch_execz .LBB29_50
; %bb.49:                               ;   in Loop: Header=BB29_2 Depth=1
	s_wait_dscnt 0x0
	v_lshlrev_b32_e32 v80, 2, v83
	ds_load_b32 v81, v80 offset:4
	v_mov_b32_e32 v80, v76
.LBB29_50:                              ;   in Loop: Header=BB29_2 Depth=1
	s_or_b32 exec_lo, exec_lo, s10
	v_add_nc_u32_e32 v84, 1, v82
	v_add_nc_u32_e32 v85, 1, v83
	s_wait_dscnt 0x0
	v_cmp_lt_i32_e64 s11, v81, v80
	s_delay_alu instid0(VALU_DEP_3) | instskip(NEXT) | instid1(VALU_DEP_3)
	v_cndmask_b32_e64 v87, v84, v82, s9
	v_cndmask_b32_e64 v88, v83, v85, s9
                                        ; implicit-def: $vgpr84
	s_delay_alu instid0(VALU_DEP_2) | instskip(NEXT) | instid1(VALU_DEP_2)
	v_cmp_ge_i32_e64 s10, v87, v15
	v_cmp_lt_i32_e64 s12, v88, v16
	s_or_b32 s10, s10, s11
	s_wait_alu 0xfffe
	s_and_b32 s10, s12, s10
	s_wait_alu 0xfffe
	s_xor_b32 s11, s10, -1
	s_wait_alu 0xfffe
	s_and_saveexec_b32 s12, s11
	s_wait_alu 0xfffe
	s_xor_b32 s11, exec_lo, s12
; %bb.51:                               ;   in Loop: Header=BB29_2 Depth=1
	v_lshlrev_b32_e32 v84, 2, v87
	ds_load_b32 v84, v84 offset:4
; %bb.52:                               ;   in Loop: Header=BB29_2 Depth=1
	s_wait_alu 0xfffe
	s_or_saveexec_b32 s11, s11
	v_mov_b32_e32 v85, v81
	s_wait_alu 0xfffe
	s_xor_b32 exec_lo, exec_lo, s11
	s_cbranch_execz .LBB29_54
; %bb.53:                               ;   in Loop: Header=BB29_2 Depth=1
	s_wait_dscnt 0x0
	v_lshlrev_b32_e32 v84, 2, v88
	ds_load_b32 v85, v84 offset:4
	v_mov_b32_e32 v84, v80
.LBB29_54:                              ;   in Loop: Header=BB29_2 Depth=1
	s_or_b32 exec_lo, exec_lo, s11
	v_add_nc_u32_e32 v86, 1, v87
	v_add_nc_u32_e32 v89, 1, v88
	s_wait_dscnt 0x0
	v_cmp_lt_i32_e64 s12, v85, v84
	s_delay_alu instid0(VALU_DEP_3) | instskip(NEXT) | instid1(VALU_DEP_3)
	v_cndmask_b32_e64 v90, v86, v87, s10
	v_cndmask_b32_e64 v91, v88, v89, s10
                                        ; implicit-def: $vgpr86
	s_delay_alu instid0(VALU_DEP_2) | instskip(NEXT) | instid1(VALU_DEP_2)
	v_cmp_ge_i32_e64 s11, v90, v15
	v_cmp_lt_i32_e64 s13, v91, v16
	s_or_b32 s11, s11, s12
	s_wait_alu 0xfffe
	s_and_b32 s11, s13, s11
	s_wait_alu 0xfffe
	s_xor_b32 s12, s11, -1
	s_wait_alu 0xfffe
	s_and_saveexec_b32 s13, s12
	s_wait_alu 0xfffe
	s_xor_b32 s12, exec_lo, s13
; %bb.55:                               ;   in Loop: Header=BB29_2 Depth=1
	v_lshlrev_b32_e32 v86, 2, v90
	ds_load_b32 v86, v86 offset:4
; %bb.56:                               ;   in Loop: Header=BB29_2 Depth=1
	s_wait_alu 0xfffe
	s_or_saveexec_b32 s12, s12
	v_mov_b32_e32 v89, v85
	s_wait_alu 0xfffe
	s_xor_b32 exec_lo, exec_lo, s12
	s_cbranch_execz .LBB29_58
; %bb.57:                               ;   in Loop: Header=BB29_2 Depth=1
	s_wait_dscnt 0x0
	v_lshlrev_b32_e32 v86, 2, v91
	ds_load_b32 v89, v86 offset:4
	v_mov_b32_e32 v86, v84
.LBB29_58:                              ;   in Loop: Header=BB29_2 Depth=1
	s_or_b32 exec_lo, exec_lo, s12
	v_add_nc_u32_e32 v92, 1, v90
	v_add_nc_u32_e32 v93, 1, v91
	s_wait_dscnt 0x0
	v_cmp_lt_i32_e64 s13, v89, v86
                                        ; implicit-def: $vgpr94
	s_delay_alu instid0(VALU_DEP_3) | instskip(NEXT) | instid1(VALU_DEP_3)
	v_cndmask_b32_e64 v92, v92, v90, s11
	v_cndmask_b32_e64 v93, v91, v93, s11
	s_delay_alu instid0(VALU_DEP_2) | instskip(NEXT) | instid1(VALU_DEP_2)
	v_cmp_ge_i32_e64 s12, v92, v15
	v_cmp_lt_i32_e64 s14, v93, v16
	s_or_b32 s12, s12, s13
	s_wait_alu 0xfffe
	s_and_b32 s12, s14, s12
	s_wait_alu 0xfffe
	s_xor_b32 s13, s12, -1
	s_wait_alu 0xfffe
	s_and_saveexec_b32 s14, s13
	s_wait_alu 0xfffe
	s_xor_b32 s13, exec_lo, s14
; %bb.59:                               ;   in Loop: Header=BB29_2 Depth=1
	v_lshlrev_b32_e32 v94, 2, v92
	ds_load_b32 v94, v94 offset:4
; %bb.60:                               ;   in Loop: Header=BB29_2 Depth=1
	s_wait_alu 0xfffe
	s_or_saveexec_b32 s13, s13
	v_mov_b32_e32 v96, v89
	s_wait_alu 0xfffe
	s_xor_b32 exec_lo, exec_lo, s13
	s_cbranch_execz .LBB29_62
; %bb.61:                               ;   in Loop: Header=BB29_2 Depth=1
	s_wait_dscnt 0x0
	v_lshlrev_b32_e32 v94, 2, v93
	ds_load_b32 v96, v94 offset:4
	v_mov_b32_e32 v94, v86
.LBB29_62:                              ;   in Loop: Header=BB29_2 Depth=1
	s_or_b32 exec_lo, exec_lo, s13
	v_add_nc_u32_e32 v95, 1, v92
	v_add_nc_u32_e32 v97, 1, v93
	s_wait_dscnt 0x0
	v_cmp_lt_i32_e64 s14, v96, v94
	s_delay_alu instid0(VALU_DEP_3) | instskip(NEXT) | instid1(VALU_DEP_3)
	v_cndmask_b32_e64 v98, v95, v92, s12
	v_cndmask_b32_e64 v97, v93, v97, s12
                                        ; implicit-def: $vgpr95
	s_delay_alu instid0(VALU_DEP_2) | instskip(NEXT) | instid1(VALU_DEP_2)
	v_cmp_ge_i32_e64 s13, v98, v15
	v_cmp_lt_i32_e64 s15, v97, v16
	s_or_b32 s13, s13, s14
	s_wait_alu 0xfffe
	s_and_b32 s13, s15, s13
	s_wait_alu 0xfffe
	s_xor_b32 s14, s13, -1
	s_wait_alu 0xfffe
	s_and_saveexec_b32 s15, s14
	s_wait_alu 0xfffe
	s_xor_b32 s14, exec_lo, s15
; %bb.63:                               ;   in Loop: Header=BB29_2 Depth=1
	v_lshlrev_b32_e32 v95, 2, v98
	ds_load_b32 v95, v95 offset:4
; %bb.64:                               ;   in Loop: Header=BB29_2 Depth=1
	s_wait_alu 0xfffe
	s_or_saveexec_b32 s14, s14
	v_mov_b32_e32 v99, v96
	s_wait_alu 0xfffe
	s_xor_b32 exec_lo, exec_lo, s14
	s_cbranch_execz .LBB29_66
; %bb.65:                               ;   in Loop: Header=BB29_2 Depth=1
	s_wait_dscnt 0x0
	v_lshlrev_b32_e32 v95, 2, v97
	ds_load_b32 v99, v95 offset:4
	v_mov_b32_e32 v95, v94
.LBB29_66:                              ;   in Loop: Header=BB29_2 Depth=1
	s_or_b32 exec_lo, exec_lo, s14
	v_add_nc_u32_e32 v100, 1, v98
	v_cndmask_b32_e64 v94, v94, v96, s13
	v_add_nc_u32_e32 v96, 1, v97
	v_cndmask_b32_e64 v92, v92, v93, s12
	v_cndmask_b32_e64 v90, v90, v91, s11
	;; [unrolled: 1-line block ×5, first 2 shown]
	s_wait_dscnt 0x0
	v_cmp_lt_i32_e64 s13, v99, v95
	v_cndmask_b32_e64 v74, v75, v74, s7
	v_cmp_ge_i32_e64 s14, v93, v15
	v_cndmask_b32_e64 v78, v78, v79, s8
	v_cmp_lt_i32_e64 s15, v91, v16
	v_cndmask_b32_e64 v82, v82, v83, s9
	v_cndmask_b32_e64 v87, v87, v88, s10
	s_or_b32 s13, s14, s13
	s_wait_loadcnt 0x0
	s_wait_alu 0xfffe
	s_and_b32 s13, s15, s13
	s_barrier_signal -1
	s_wait_alu 0xfffe
	v_cndmask_b32_e64 v79, v93, v91, s13
	s_barrier_wait -1
	global_inv scope:SCOPE_SE
	ds_store_2addr_b32 v1, v62, v63 offset1:1
	ds_store_2addr_b32 v1, v64, v65 offset0:2 offset1:3
	ds_store_2addr_b32 v1, v66, v67 offset0:4 offset1:5
	;; [unrolled: 1-line block ×3, first 2 shown]
	v_lshlrev_b32_e32 v62, 2, v74
	v_lshlrev_b32_e32 v63, 2, v78
	;; [unrolled: 1-line block ×8, first 2 shown]
	s_wait_loadcnt_dscnt 0x0
	s_barrier_signal -1
	s_barrier_wait -1
	global_inv scope:SCOPE_SE
	ds_load_b32 v62, v62
	ds_load_b32 v63, v63
	;; [unrolled: 1-line block ×8, first 2 shown]
	v_cndmask_b32_e64 v72, v72, v73, s8
	v_cndmask_b32_e64 v70, v70, v71, s7
	v_cndmask_b32_e64 v79, v80, v81, s10
	v_cndmask_b32_e64 v76, v76, v77, s9
	v_cndmask_b32_e64 v74, v86, v89, s12
	v_cndmask_b32_e64 v78, v84, v85, s11
	v_cndmask_b32_e64 v75, v95, v99, s13
	s_wait_loadcnt_dscnt 0x0
	s_barrier_signal -1
	s_barrier_wait -1
	global_inv scope:SCOPE_SE
	ds_store_2addr_b32 v1, v70, v72 offset1:1
	ds_store_2addr_b32 v1, v76, v79 offset0:2 offset1:3
	ds_store_2addr_b32 v1, v78, v74 offset0:4 offset1:5
	;; [unrolled: 1-line block ×3, first 2 shown]
	v_mov_b32_e32 v72, v56
	s_wait_loadcnt_dscnt 0x0
	s_barrier_signal -1
	s_barrier_wait -1
	global_inv scope:SCOPE_SE
	s_and_saveexec_b32 s8, s2
	s_cbranch_execz .LBB29_70
; %bb.67:                               ;   in Loop: Header=BB29_2 Depth=1
	v_mov_b32_e32 v72, v56
	v_mov_b32_e32 v70, v49
	s_mov_b32 s9, 0
.LBB29_68:                              ;   Parent Loop BB29_2 Depth=1
                                        ; =>  This Inner Loop Header: Depth=2
	s_delay_alu instid0(VALU_DEP_1) | instskip(NEXT) | instid1(VALU_DEP_1)
	v_sub_nc_u32_e32 v71, v70, v72
	v_lshrrev_b32_e32 v71, 1, v71
	s_delay_alu instid0(VALU_DEP_1) | instskip(NEXT) | instid1(VALU_DEP_1)
	v_add_nc_u32_e32 v71, v71, v72
	v_not_b32_e32 v73, v71
	v_lshl_add_u32 v74, v71, 2, v20
	v_add_nc_u32_e32 v75, 1, v71
	s_delay_alu instid0(VALU_DEP_3)
	v_lshl_add_u32 v73, v73, 2, v42
	ds_load_b32 v74, v74
	ds_load_b32 v73, v73
	s_wait_dscnt 0x0
	v_cmp_lt_i32_e64 s7, v73, v74
	s_wait_alu 0xf1ff
	s_delay_alu instid0(VALU_DEP_1) | instskip(SKIP_1) | instid1(VALU_DEP_1)
	v_cndmask_b32_e64 v70, v70, v71, s7
	v_cndmask_b32_e64 v72, v75, v72, s7
	v_cmp_ge_i32_e64 s7, v72, v70
	s_wait_alu 0xfffe
	s_or_b32 s9, s7, s9
	s_wait_alu 0xfffe
	s_and_not1_b32 exec_lo, exec_lo, s9
	s_cbranch_execnz .LBB29_68
; %bb.69:                               ;   in Loop: Header=BB29_2 Depth=1
	s_or_b32 exec_lo, exec_lo, s9
.LBB29_70:                              ;   in Loop: Header=BB29_2 Depth=1
	s_wait_alu 0xfffe
	s_or_b32 exec_lo, exec_lo, s8
	v_sub_nc_u32_e32 v74, v35, v72
	v_lshl_add_u32 v73, v72, 2, v20
	v_add_nc_u32_e32 v75, v72, v4
                                        ; implicit-def: $vgpr72
	s_delay_alu instid0(VALU_DEP_3) | instskip(SKIP_1) | instid1(VALU_DEP_3)
	v_lshlrev_b32_e32 v76, 2, v74
	v_cmp_gt_i32_e64 s9, v19, v74
	v_cmp_le_i32_e64 s7, v18, v75
	ds_load_b32 v70, v73
	ds_load_b32 v71, v76
	s_wait_dscnt 0x0
	v_cmp_lt_i32_e64 s8, v71, v70
	s_or_b32 s7, s7, s8
	s_wait_alu 0xfffe
	s_and_b32 s7, s9, s7
	s_wait_alu 0xfffe
	s_xor_b32 s8, s7, -1
	s_wait_alu 0xfffe
	s_and_saveexec_b32 s9, s8
	s_wait_alu 0xfffe
	s_xor_b32 s8, exec_lo, s9
; %bb.71:                               ;   in Loop: Header=BB29_2 Depth=1
	ds_load_b32 v72, v73 offset:4
                                        ; implicit-def: $vgpr76
; %bb.72:                               ;   in Loop: Header=BB29_2 Depth=1
	s_wait_alu 0xfffe
	s_or_saveexec_b32 s8, s8
	v_mov_b32_e32 v73, v71
	s_wait_alu 0xfffe
	s_xor_b32 exec_lo, exec_lo, s8
	s_cbranch_execz .LBB29_74
; %bb.73:                               ;   in Loop: Header=BB29_2 Depth=1
	ds_load_b32 v73, v76 offset:4
	s_wait_dscnt 0x1
	v_mov_b32_e32 v72, v70
.LBB29_74:                              ;   in Loop: Header=BB29_2 Depth=1
	s_or_b32 exec_lo, exec_lo, s8
	v_add_nc_u32_e32 v76, 1, v75
	v_add_nc_u32_e32 v77, 1, v74
	s_wait_dscnt 0x0
	v_cmp_lt_i32_e64 s9, v73, v72
	s_delay_alu instid0(VALU_DEP_3) | instskip(NEXT) | instid1(VALU_DEP_3)
	v_cndmask_b32_e64 v78, v76, v75, s7
	v_cndmask_b32_e64 v79, v74, v77, s7
                                        ; implicit-def: $vgpr76
	s_delay_alu instid0(VALU_DEP_2) | instskip(NEXT) | instid1(VALU_DEP_2)
	v_cmp_ge_i32_e64 s8, v78, v18
	v_cmp_lt_i32_e64 s10, v79, v19
	s_or_b32 s8, s8, s9
	s_wait_alu 0xfffe
	s_and_b32 s8, s10, s8
	s_wait_alu 0xfffe
	s_xor_b32 s9, s8, -1
	s_wait_alu 0xfffe
	s_and_saveexec_b32 s10, s9
	s_wait_alu 0xfffe
	s_xor_b32 s9, exec_lo, s10
; %bb.75:                               ;   in Loop: Header=BB29_2 Depth=1
	v_lshlrev_b32_e32 v76, 2, v78
	ds_load_b32 v76, v76 offset:4
; %bb.76:                               ;   in Loop: Header=BB29_2 Depth=1
	s_wait_alu 0xfffe
	s_or_saveexec_b32 s9, s9
	v_mov_b32_e32 v77, v73
	s_wait_alu 0xfffe
	s_xor_b32 exec_lo, exec_lo, s9
	s_cbranch_execz .LBB29_78
; %bb.77:                               ;   in Loop: Header=BB29_2 Depth=1
	s_wait_dscnt 0x0
	v_lshlrev_b32_e32 v76, 2, v79
	ds_load_b32 v77, v76 offset:4
	v_mov_b32_e32 v76, v72
.LBB29_78:                              ;   in Loop: Header=BB29_2 Depth=1
	s_or_b32 exec_lo, exec_lo, s9
	v_add_nc_u32_e32 v80, 1, v78
	v_add_nc_u32_e32 v81, 1, v79
	s_wait_dscnt 0x0
	v_cmp_lt_i32_e64 s10, v77, v76
	s_delay_alu instid0(VALU_DEP_3) | instskip(NEXT) | instid1(VALU_DEP_3)
	v_cndmask_b32_e64 v82, v80, v78, s8
	v_cndmask_b32_e64 v83, v79, v81, s8
                                        ; implicit-def: $vgpr80
	s_delay_alu instid0(VALU_DEP_2) | instskip(NEXT) | instid1(VALU_DEP_2)
	v_cmp_ge_i32_e64 s9, v82, v18
	v_cmp_lt_i32_e64 s11, v83, v19
	s_or_b32 s9, s9, s10
	s_wait_alu 0xfffe
	s_and_b32 s9, s11, s9
	s_wait_alu 0xfffe
	s_xor_b32 s10, s9, -1
	s_wait_alu 0xfffe
	s_and_saveexec_b32 s11, s10
	s_wait_alu 0xfffe
	s_xor_b32 s10, exec_lo, s11
; %bb.79:                               ;   in Loop: Header=BB29_2 Depth=1
	v_lshlrev_b32_e32 v80, 2, v82
	ds_load_b32 v80, v80 offset:4
; %bb.80:                               ;   in Loop: Header=BB29_2 Depth=1
	s_wait_alu 0xfffe
	s_or_saveexec_b32 s10, s10
	v_mov_b32_e32 v81, v77
	s_wait_alu 0xfffe
	s_xor_b32 exec_lo, exec_lo, s10
	s_cbranch_execz .LBB29_82
; %bb.81:                               ;   in Loop: Header=BB29_2 Depth=1
	s_wait_dscnt 0x0
	v_lshlrev_b32_e32 v80, 2, v83
	ds_load_b32 v81, v80 offset:4
	v_mov_b32_e32 v80, v76
.LBB29_82:                              ;   in Loop: Header=BB29_2 Depth=1
	s_or_b32 exec_lo, exec_lo, s10
	v_add_nc_u32_e32 v84, 1, v82
	v_add_nc_u32_e32 v85, 1, v83
	s_wait_dscnt 0x0
	v_cmp_lt_i32_e64 s11, v81, v80
	s_delay_alu instid0(VALU_DEP_3) | instskip(NEXT) | instid1(VALU_DEP_3)
	v_cndmask_b32_e64 v87, v84, v82, s9
	v_cndmask_b32_e64 v88, v83, v85, s9
                                        ; implicit-def: $vgpr84
	s_delay_alu instid0(VALU_DEP_2) | instskip(NEXT) | instid1(VALU_DEP_2)
	v_cmp_ge_i32_e64 s10, v87, v18
	v_cmp_lt_i32_e64 s12, v88, v19
	s_or_b32 s10, s10, s11
	s_wait_alu 0xfffe
	s_and_b32 s10, s12, s10
	s_wait_alu 0xfffe
	s_xor_b32 s11, s10, -1
	s_wait_alu 0xfffe
	s_and_saveexec_b32 s12, s11
	s_wait_alu 0xfffe
	s_xor_b32 s11, exec_lo, s12
; %bb.83:                               ;   in Loop: Header=BB29_2 Depth=1
	v_lshlrev_b32_e32 v84, 2, v87
	ds_load_b32 v84, v84 offset:4
; %bb.84:                               ;   in Loop: Header=BB29_2 Depth=1
	s_wait_alu 0xfffe
	s_or_saveexec_b32 s11, s11
	v_mov_b32_e32 v85, v81
	s_wait_alu 0xfffe
	s_xor_b32 exec_lo, exec_lo, s11
	s_cbranch_execz .LBB29_86
; %bb.85:                               ;   in Loop: Header=BB29_2 Depth=1
	s_wait_dscnt 0x0
	v_lshlrev_b32_e32 v84, 2, v88
	ds_load_b32 v85, v84 offset:4
	v_mov_b32_e32 v84, v80
.LBB29_86:                              ;   in Loop: Header=BB29_2 Depth=1
	s_or_b32 exec_lo, exec_lo, s11
	v_add_nc_u32_e32 v86, 1, v87
	v_add_nc_u32_e32 v89, 1, v88
	s_wait_dscnt 0x0
	v_cmp_lt_i32_e64 s12, v85, v84
	s_delay_alu instid0(VALU_DEP_3) | instskip(NEXT) | instid1(VALU_DEP_3)
	v_cndmask_b32_e64 v90, v86, v87, s10
	v_cndmask_b32_e64 v91, v88, v89, s10
                                        ; implicit-def: $vgpr86
	s_delay_alu instid0(VALU_DEP_2) | instskip(NEXT) | instid1(VALU_DEP_2)
	v_cmp_ge_i32_e64 s11, v90, v18
	v_cmp_lt_i32_e64 s13, v91, v19
	s_or_b32 s11, s11, s12
	s_wait_alu 0xfffe
	s_and_b32 s11, s13, s11
	s_wait_alu 0xfffe
	s_xor_b32 s12, s11, -1
	s_wait_alu 0xfffe
	s_and_saveexec_b32 s13, s12
	s_wait_alu 0xfffe
	s_xor_b32 s12, exec_lo, s13
; %bb.87:                               ;   in Loop: Header=BB29_2 Depth=1
	v_lshlrev_b32_e32 v86, 2, v90
	ds_load_b32 v86, v86 offset:4
; %bb.88:                               ;   in Loop: Header=BB29_2 Depth=1
	s_wait_alu 0xfffe
	s_or_saveexec_b32 s12, s12
	v_mov_b32_e32 v89, v85
	s_wait_alu 0xfffe
	s_xor_b32 exec_lo, exec_lo, s12
	s_cbranch_execz .LBB29_90
; %bb.89:                               ;   in Loop: Header=BB29_2 Depth=1
	s_wait_dscnt 0x0
	v_lshlrev_b32_e32 v86, 2, v91
	ds_load_b32 v89, v86 offset:4
	v_mov_b32_e32 v86, v84
.LBB29_90:                              ;   in Loop: Header=BB29_2 Depth=1
	s_or_b32 exec_lo, exec_lo, s12
	v_add_nc_u32_e32 v92, 1, v90
	v_add_nc_u32_e32 v93, 1, v91
	s_wait_dscnt 0x0
	v_cmp_lt_i32_e64 s13, v89, v86
                                        ; implicit-def: $vgpr94
	s_delay_alu instid0(VALU_DEP_3) | instskip(NEXT) | instid1(VALU_DEP_3)
	v_cndmask_b32_e64 v92, v92, v90, s11
	v_cndmask_b32_e64 v93, v91, v93, s11
	s_delay_alu instid0(VALU_DEP_2) | instskip(NEXT) | instid1(VALU_DEP_2)
	v_cmp_ge_i32_e64 s12, v92, v18
	v_cmp_lt_i32_e64 s14, v93, v19
	s_or_b32 s12, s12, s13
	s_wait_alu 0xfffe
	s_and_b32 s12, s14, s12
	s_wait_alu 0xfffe
	s_xor_b32 s13, s12, -1
	s_wait_alu 0xfffe
	s_and_saveexec_b32 s14, s13
	s_wait_alu 0xfffe
	s_xor_b32 s13, exec_lo, s14
; %bb.91:                               ;   in Loop: Header=BB29_2 Depth=1
	v_lshlrev_b32_e32 v94, 2, v92
	ds_load_b32 v94, v94 offset:4
; %bb.92:                               ;   in Loop: Header=BB29_2 Depth=1
	s_wait_alu 0xfffe
	s_or_saveexec_b32 s13, s13
	v_mov_b32_e32 v96, v89
	s_wait_alu 0xfffe
	s_xor_b32 exec_lo, exec_lo, s13
	s_cbranch_execz .LBB29_94
; %bb.93:                               ;   in Loop: Header=BB29_2 Depth=1
	s_wait_dscnt 0x0
	v_lshlrev_b32_e32 v94, 2, v93
	ds_load_b32 v96, v94 offset:4
	v_mov_b32_e32 v94, v86
.LBB29_94:                              ;   in Loop: Header=BB29_2 Depth=1
	s_or_b32 exec_lo, exec_lo, s13
	v_add_nc_u32_e32 v95, 1, v92
	v_add_nc_u32_e32 v97, 1, v93
	s_wait_dscnt 0x0
	v_cmp_lt_i32_e64 s14, v96, v94
	s_delay_alu instid0(VALU_DEP_3) | instskip(NEXT) | instid1(VALU_DEP_3)
	v_cndmask_b32_e64 v98, v95, v92, s12
	v_cndmask_b32_e64 v97, v93, v97, s12
                                        ; implicit-def: $vgpr95
	s_delay_alu instid0(VALU_DEP_2) | instskip(NEXT) | instid1(VALU_DEP_2)
	v_cmp_ge_i32_e64 s13, v98, v18
	v_cmp_lt_i32_e64 s15, v97, v19
	s_or_b32 s13, s13, s14
	s_wait_alu 0xfffe
	s_and_b32 s13, s15, s13
	s_wait_alu 0xfffe
	s_xor_b32 s14, s13, -1
	s_wait_alu 0xfffe
	s_and_saveexec_b32 s15, s14
	s_wait_alu 0xfffe
	s_xor_b32 s14, exec_lo, s15
; %bb.95:                               ;   in Loop: Header=BB29_2 Depth=1
	v_lshlrev_b32_e32 v95, 2, v98
	ds_load_b32 v95, v95 offset:4
; %bb.96:                               ;   in Loop: Header=BB29_2 Depth=1
	s_wait_alu 0xfffe
	s_or_saveexec_b32 s14, s14
	v_mov_b32_e32 v99, v96
	s_wait_alu 0xfffe
	s_xor_b32 exec_lo, exec_lo, s14
	s_cbranch_execz .LBB29_98
; %bb.97:                               ;   in Loop: Header=BB29_2 Depth=1
	s_wait_dscnt 0x0
	v_lshlrev_b32_e32 v95, 2, v97
	ds_load_b32 v99, v95 offset:4
	v_mov_b32_e32 v95, v94
.LBB29_98:                              ;   in Loop: Header=BB29_2 Depth=1
	s_or_b32 exec_lo, exec_lo, s14
	v_add_nc_u32_e32 v100, 1, v98
	v_cndmask_b32_e64 v94, v94, v96, s13
	v_add_nc_u32_e32 v96, 1, v97
	v_cndmask_b32_e64 v92, v92, v93, s12
	v_cndmask_b32_e64 v90, v90, v91, s11
	;; [unrolled: 1-line block ×5, first 2 shown]
	s_wait_dscnt 0x0
	v_cmp_lt_i32_e64 s13, v99, v95
	v_cndmask_b32_e64 v74, v75, v74, s7
	v_cmp_ge_i32_e64 s14, v93, v18
	v_cndmask_b32_e64 v78, v78, v79, s8
	v_cmp_lt_i32_e64 s15, v91, v19
	v_cndmask_b32_e64 v82, v82, v83, s9
	v_cndmask_b32_e64 v87, v87, v88, s10
	s_or_b32 s13, s14, s13
	s_wait_loadcnt 0x0
	s_wait_alu 0xfffe
	s_and_b32 s13, s15, s13
	s_barrier_signal -1
	s_wait_alu 0xfffe
	v_cndmask_b32_e64 v79, v93, v91, s13
	s_barrier_wait -1
	global_inv scope:SCOPE_SE
	ds_store_2addr_b32 v1, v62, v63 offset1:1
	ds_store_2addr_b32 v1, v64, v65 offset0:2 offset1:3
	ds_store_2addr_b32 v1, v66, v67 offset0:4 offset1:5
	;; [unrolled: 1-line block ×3, first 2 shown]
	v_lshlrev_b32_e32 v62, 2, v74
	v_lshlrev_b32_e32 v63, 2, v78
	;; [unrolled: 1-line block ×8, first 2 shown]
	s_wait_loadcnt_dscnt 0x0
	s_barrier_signal -1
	s_barrier_wait -1
	global_inv scope:SCOPE_SE
	ds_load_b32 v62, v62
	ds_load_b32 v63, v63
	;; [unrolled: 1-line block ×8, first 2 shown]
	v_cndmask_b32_e64 v72, v72, v73, s8
	v_cndmask_b32_e64 v70, v70, v71, s7
	;; [unrolled: 1-line block ×7, first 2 shown]
	s_wait_loadcnt_dscnt 0x0
	s_barrier_signal -1
	s_barrier_wait -1
	global_inv scope:SCOPE_SE
	ds_store_2addr_b32 v1, v70, v72 offset1:1
	ds_store_2addr_b32 v1, v76, v79 offset0:2 offset1:3
	ds_store_2addr_b32 v1, v78, v74 offset0:4 offset1:5
	;; [unrolled: 1-line block ×3, first 2 shown]
	v_mov_b32_e32 v72, v57
	s_wait_loadcnt_dscnt 0x0
	s_barrier_signal -1
	s_barrier_wait -1
	global_inv scope:SCOPE_SE
	s_and_saveexec_b32 s8, s3
	s_cbranch_execz .LBB29_102
; %bb.99:                               ;   in Loop: Header=BB29_2 Depth=1
	v_mov_b32_e32 v72, v57
	v_mov_b32_e32 v70, v50
	s_mov_b32 s9, 0
.LBB29_100:                             ;   Parent Loop BB29_2 Depth=1
                                        ; =>  This Inner Loop Header: Depth=2
	s_delay_alu instid0(VALU_DEP_1) | instskip(NEXT) | instid1(VALU_DEP_1)
	v_sub_nc_u32_e32 v71, v70, v72
	v_lshrrev_b32_e32 v71, 1, v71
	s_delay_alu instid0(VALU_DEP_1) | instskip(NEXT) | instid1(VALU_DEP_1)
	v_add_nc_u32_e32 v71, v71, v72
	v_not_b32_e32 v73, v71
	v_lshl_add_u32 v74, v71, 2, v23
	v_add_nc_u32_e32 v75, 1, v71
	s_delay_alu instid0(VALU_DEP_3)
	v_lshl_add_u32 v73, v73, 2, v43
	ds_load_b32 v74, v74
	ds_load_b32 v73, v73
	s_wait_dscnt 0x0
	v_cmp_lt_i32_e64 s7, v73, v74
	s_wait_alu 0xf1ff
	s_delay_alu instid0(VALU_DEP_1) | instskip(SKIP_1) | instid1(VALU_DEP_1)
	v_cndmask_b32_e64 v70, v70, v71, s7
	v_cndmask_b32_e64 v72, v75, v72, s7
	v_cmp_ge_i32_e64 s7, v72, v70
	s_wait_alu 0xfffe
	s_or_b32 s9, s7, s9
	s_wait_alu 0xfffe
	s_and_not1_b32 exec_lo, exec_lo, s9
	s_cbranch_execnz .LBB29_100
; %bb.101:                              ;   in Loop: Header=BB29_2 Depth=1
	s_or_b32 exec_lo, exec_lo, s9
.LBB29_102:                             ;   in Loop: Header=BB29_2 Depth=1
	s_wait_alu 0xfffe
	s_or_b32 exec_lo, exec_lo, s8
	v_sub_nc_u32_e32 v74, v36, v72
	v_lshl_add_u32 v73, v72, 2, v23
	v_add_nc_u32_e32 v75, v72, v5
                                        ; implicit-def: $vgpr72
	s_delay_alu instid0(VALU_DEP_3) | instskip(SKIP_1) | instid1(VALU_DEP_3)
	v_lshlrev_b32_e32 v76, 2, v74
	v_cmp_gt_i32_e64 s9, v22, v74
	v_cmp_le_i32_e64 s7, v21, v75
	ds_load_b32 v70, v73
	ds_load_b32 v71, v76
	s_wait_dscnt 0x0
	v_cmp_lt_i32_e64 s8, v71, v70
	s_or_b32 s7, s7, s8
	s_wait_alu 0xfffe
	s_and_b32 s7, s9, s7
	s_wait_alu 0xfffe
	s_xor_b32 s8, s7, -1
	s_wait_alu 0xfffe
	s_and_saveexec_b32 s9, s8
	s_wait_alu 0xfffe
	s_xor_b32 s8, exec_lo, s9
; %bb.103:                              ;   in Loop: Header=BB29_2 Depth=1
	ds_load_b32 v72, v73 offset:4
                                        ; implicit-def: $vgpr76
; %bb.104:                              ;   in Loop: Header=BB29_2 Depth=1
	s_wait_alu 0xfffe
	s_or_saveexec_b32 s8, s8
	v_mov_b32_e32 v73, v71
	s_wait_alu 0xfffe
	s_xor_b32 exec_lo, exec_lo, s8
	s_cbranch_execz .LBB29_106
; %bb.105:                              ;   in Loop: Header=BB29_2 Depth=1
	ds_load_b32 v73, v76 offset:4
	s_wait_dscnt 0x1
	v_mov_b32_e32 v72, v70
.LBB29_106:                             ;   in Loop: Header=BB29_2 Depth=1
	s_or_b32 exec_lo, exec_lo, s8
	v_add_nc_u32_e32 v76, 1, v75
	v_add_nc_u32_e32 v77, 1, v74
	s_wait_dscnt 0x0
	v_cmp_lt_i32_e64 s9, v73, v72
	s_delay_alu instid0(VALU_DEP_3) | instskip(NEXT) | instid1(VALU_DEP_3)
	v_cndmask_b32_e64 v78, v76, v75, s7
	v_cndmask_b32_e64 v79, v74, v77, s7
                                        ; implicit-def: $vgpr76
	s_delay_alu instid0(VALU_DEP_2) | instskip(NEXT) | instid1(VALU_DEP_2)
	v_cmp_ge_i32_e64 s8, v78, v21
	v_cmp_lt_i32_e64 s10, v79, v22
	s_or_b32 s8, s8, s9
	s_wait_alu 0xfffe
	s_and_b32 s8, s10, s8
	s_wait_alu 0xfffe
	s_xor_b32 s9, s8, -1
	s_wait_alu 0xfffe
	s_and_saveexec_b32 s10, s9
	s_wait_alu 0xfffe
	s_xor_b32 s9, exec_lo, s10
; %bb.107:                              ;   in Loop: Header=BB29_2 Depth=1
	v_lshlrev_b32_e32 v76, 2, v78
	ds_load_b32 v76, v76 offset:4
; %bb.108:                              ;   in Loop: Header=BB29_2 Depth=1
	s_wait_alu 0xfffe
	s_or_saveexec_b32 s9, s9
	v_mov_b32_e32 v77, v73
	s_wait_alu 0xfffe
	s_xor_b32 exec_lo, exec_lo, s9
	s_cbranch_execz .LBB29_110
; %bb.109:                              ;   in Loop: Header=BB29_2 Depth=1
	s_wait_dscnt 0x0
	v_lshlrev_b32_e32 v76, 2, v79
	ds_load_b32 v77, v76 offset:4
	v_mov_b32_e32 v76, v72
.LBB29_110:                             ;   in Loop: Header=BB29_2 Depth=1
	s_or_b32 exec_lo, exec_lo, s9
	v_add_nc_u32_e32 v80, 1, v78
	v_add_nc_u32_e32 v81, 1, v79
	s_wait_dscnt 0x0
	v_cmp_lt_i32_e64 s10, v77, v76
	s_delay_alu instid0(VALU_DEP_3) | instskip(NEXT) | instid1(VALU_DEP_3)
	v_cndmask_b32_e64 v82, v80, v78, s8
	v_cndmask_b32_e64 v83, v79, v81, s8
                                        ; implicit-def: $vgpr80
	s_delay_alu instid0(VALU_DEP_2) | instskip(NEXT) | instid1(VALU_DEP_2)
	v_cmp_ge_i32_e64 s9, v82, v21
	v_cmp_lt_i32_e64 s11, v83, v22
	s_or_b32 s9, s9, s10
	s_wait_alu 0xfffe
	s_and_b32 s9, s11, s9
	s_wait_alu 0xfffe
	s_xor_b32 s10, s9, -1
	s_wait_alu 0xfffe
	s_and_saveexec_b32 s11, s10
	s_wait_alu 0xfffe
	s_xor_b32 s10, exec_lo, s11
; %bb.111:                              ;   in Loop: Header=BB29_2 Depth=1
	v_lshlrev_b32_e32 v80, 2, v82
	ds_load_b32 v80, v80 offset:4
; %bb.112:                              ;   in Loop: Header=BB29_2 Depth=1
	s_wait_alu 0xfffe
	s_or_saveexec_b32 s10, s10
	v_mov_b32_e32 v81, v77
	s_wait_alu 0xfffe
	s_xor_b32 exec_lo, exec_lo, s10
	s_cbranch_execz .LBB29_114
; %bb.113:                              ;   in Loop: Header=BB29_2 Depth=1
	s_wait_dscnt 0x0
	v_lshlrev_b32_e32 v80, 2, v83
	ds_load_b32 v81, v80 offset:4
	v_mov_b32_e32 v80, v76
.LBB29_114:                             ;   in Loop: Header=BB29_2 Depth=1
	s_or_b32 exec_lo, exec_lo, s10
	v_add_nc_u32_e32 v84, 1, v82
	v_add_nc_u32_e32 v85, 1, v83
	s_wait_dscnt 0x0
	v_cmp_lt_i32_e64 s11, v81, v80
	s_delay_alu instid0(VALU_DEP_3) | instskip(NEXT) | instid1(VALU_DEP_3)
	v_cndmask_b32_e64 v87, v84, v82, s9
	v_cndmask_b32_e64 v88, v83, v85, s9
                                        ; implicit-def: $vgpr84
	s_delay_alu instid0(VALU_DEP_2) | instskip(NEXT) | instid1(VALU_DEP_2)
	v_cmp_ge_i32_e64 s10, v87, v21
	v_cmp_lt_i32_e64 s12, v88, v22
	s_or_b32 s10, s10, s11
	s_wait_alu 0xfffe
	s_and_b32 s10, s12, s10
	s_wait_alu 0xfffe
	s_xor_b32 s11, s10, -1
	s_wait_alu 0xfffe
	s_and_saveexec_b32 s12, s11
	s_wait_alu 0xfffe
	s_xor_b32 s11, exec_lo, s12
; %bb.115:                              ;   in Loop: Header=BB29_2 Depth=1
	v_lshlrev_b32_e32 v84, 2, v87
	ds_load_b32 v84, v84 offset:4
; %bb.116:                              ;   in Loop: Header=BB29_2 Depth=1
	s_wait_alu 0xfffe
	s_or_saveexec_b32 s11, s11
	v_mov_b32_e32 v85, v81
	s_wait_alu 0xfffe
	s_xor_b32 exec_lo, exec_lo, s11
	s_cbranch_execz .LBB29_118
; %bb.117:                              ;   in Loop: Header=BB29_2 Depth=1
	s_wait_dscnt 0x0
	v_lshlrev_b32_e32 v84, 2, v88
	ds_load_b32 v85, v84 offset:4
	v_mov_b32_e32 v84, v80
.LBB29_118:                             ;   in Loop: Header=BB29_2 Depth=1
	s_or_b32 exec_lo, exec_lo, s11
	v_add_nc_u32_e32 v86, 1, v87
	v_add_nc_u32_e32 v89, 1, v88
	s_wait_dscnt 0x0
	v_cmp_lt_i32_e64 s12, v85, v84
	s_delay_alu instid0(VALU_DEP_3) | instskip(NEXT) | instid1(VALU_DEP_3)
	v_cndmask_b32_e64 v90, v86, v87, s10
	v_cndmask_b32_e64 v91, v88, v89, s10
                                        ; implicit-def: $vgpr86
	s_delay_alu instid0(VALU_DEP_2) | instskip(NEXT) | instid1(VALU_DEP_2)
	v_cmp_ge_i32_e64 s11, v90, v21
	v_cmp_lt_i32_e64 s13, v91, v22
	s_or_b32 s11, s11, s12
	s_wait_alu 0xfffe
	s_and_b32 s11, s13, s11
	s_wait_alu 0xfffe
	s_xor_b32 s12, s11, -1
	s_wait_alu 0xfffe
	s_and_saveexec_b32 s13, s12
	s_wait_alu 0xfffe
	s_xor_b32 s12, exec_lo, s13
; %bb.119:                              ;   in Loop: Header=BB29_2 Depth=1
	v_lshlrev_b32_e32 v86, 2, v90
	ds_load_b32 v86, v86 offset:4
; %bb.120:                              ;   in Loop: Header=BB29_2 Depth=1
	s_wait_alu 0xfffe
	s_or_saveexec_b32 s12, s12
	v_mov_b32_e32 v89, v85
	s_wait_alu 0xfffe
	s_xor_b32 exec_lo, exec_lo, s12
	s_cbranch_execz .LBB29_122
; %bb.121:                              ;   in Loop: Header=BB29_2 Depth=1
	s_wait_dscnt 0x0
	v_lshlrev_b32_e32 v86, 2, v91
	ds_load_b32 v89, v86 offset:4
	v_mov_b32_e32 v86, v84
.LBB29_122:                             ;   in Loop: Header=BB29_2 Depth=1
	s_or_b32 exec_lo, exec_lo, s12
	v_add_nc_u32_e32 v92, 1, v90
	v_add_nc_u32_e32 v93, 1, v91
	s_wait_dscnt 0x0
	v_cmp_lt_i32_e64 s13, v89, v86
                                        ; implicit-def: $vgpr94
	s_delay_alu instid0(VALU_DEP_3) | instskip(NEXT) | instid1(VALU_DEP_3)
	v_cndmask_b32_e64 v92, v92, v90, s11
	v_cndmask_b32_e64 v93, v91, v93, s11
	s_delay_alu instid0(VALU_DEP_2) | instskip(NEXT) | instid1(VALU_DEP_2)
	v_cmp_ge_i32_e64 s12, v92, v21
	v_cmp_lt_i32_e64 s14, v93, v22
	s_or_b32 s12, s12, s13
	s_wait_alu 0xfffe
	s_and_b32 s12, s14, s12
	s_wait_alu 0xfffe
	s_xor_b32 s13, s12, -1
	s_wait_alu 0xfffe
	s_and_saveexec_b32 s14, s13
	s_wait_alu 0xfffe
	s_xor_b32 s13, exec_lo, s14
; %bb.123:                              ;   in Loop: Header=BB29_2 Depth=1
	v_lshlrev_b32_e32 v94, 2, v92
	ds_load_b32 v94, v94 offset:4
; %bb.124:                              ;   in Loop: Header=BB29_2 Depth=1
	s_wait_alu 0xfffe
	s_or_saveexec_b32 s13, s13
	v_mov_b32_e32 v96, v89
	s_wait_alu 0xfffe
	s_xor_b32 exec_lo, exec_lo, s13
	s_cbranch_execz .LBB29_126
; %bb.125:                              ;   in Loop: Header=BB29_2 Depth=1
	s_wait_dscnt 0x0
	v_lshlrev_b32_e32 v94, 2, v93
	ds_load_b32 v96, v94 offset:4
	v_mov_b32_e32 v94, v86
.LBB29_126:                             ;   in Loop: Header=BB29_2 Depth=1
	s_or_b32 exec_lo, exec_lo, s13
	v_add_nc_u32_e32 v95, 1, v92
	v_add_nc_u32_e32 v97, 1, v93
	s_wait_dscnt 0x0
	v_cmp_lt_i32_e64 s14, v96, v94
	s_delay_alu instid0(VALU_DEP_3) | instskip(NEXT) | instid1(VALU_DEP_3)
	v_cndmask_b32_e64 v98, v95, v92, s12
	v_cndmask_b32_e64 v97, v93, v97, s12
                                        ; implicit-def: $vgpr95
	s_delay_alu instid0(VALU_DEP_2) | instskip(NEXT) | instid1(VALU_DEP_2)
	v_cmp_ge_i32_e64 s13, v98, v21
	v_cmp_lt_i32_e64 s15, v97, v22
	s_or_b32 s13, s13, s14
	s_wait_alu 0xfffe
	s_and_b32 s13, s15, s13
	s_wait_alu 0xfffe
	s_xor_b32 s14, s13, -1
	s_wait_alu 0xfffe
	s_and_saveexec_b32 s15, s14
	s_wait_alu 0xfffe
	s_xor_b32 s14, exec_lo, s15
; %bb.127:                              ;   in Loop: Header=BB29_2 Depth=1
	v_lshlrev_b32_e32 v95, 2, v98
	ds_load_b32 v95, v95 offset:4
; %bb.128:                              ;   in Loop: Header=BB29_2 Depth=1
	s_wait_alu 0xfffe
	s_or_saveexec_b32 s14, s14
	v_mov_b32_e32 v99, v96
	s_wait_alu 0xfffe
	s_xor_b32 exec_lo, exec_lo, s14
	s_cbranch_execz .LBB29_130
; %bb.129:                              ;   in Loop: Header=BB29_2 Depth=1
	s_wait_dscnt 0x0
	v_lshlrev_b32_e32 v95, 2, v97
	ds_load_b32 v99, v95 offset:4
	v_mov_b32_e32 v95, v94
.LBB29_130:                             ;   in Loop: Header=BB29_2 Depth=1
	s_or_b32 exec_lo, exec_lo, s14
	v_add_nc_u32_e32 v100, 1, v98
	v_cndmask_b32_e64 v94, v94, v96, s13
	v_add_nc_u32_e32 v96, 1, v97
	v_cndmask_b32_e64 v92, v92, v93, s12
	v_cndmask_b32_e64 v90, v90, v91, s11
	;; [unrolled: 1-line block ×5, first 2 shown]
	s_wait_dscnt 0x0
	v_cmp_lt_i32_e64 s13, v99, v95
	v_cndmask_b32_e64 v74, v75, v74, s7
	v_cmp_ge_i32_e64 s14, v93, v21
	v_cndmask_b32_e64 v78, v78, v79, s8
	v_cmp_lt_i32_e64 s15, v91, v22
	v_cndmask_b32_e64 v82, v82, v83, s9
	v_cndmask_b32_e64 v87, v87, v88, s10
	s_or_b32 s13, s14, s13
	s_wait_loadcnt 0x0
	s_wait_alu 0xfffe
	s_and_b32 s13, s15, s13
	s_barrier_signal -1
	s_wait_alu 0xfffe
	v_cndmask_b32_e64 v79, v93, v91, s13
	s_barrier_wait -1
	global_inv scope:SCOPE_SE
	ds_store_2addr_b32 v1, v62, v63 offset1:1
	ds_store_2addr_b32 v1, v64, v65 offset0:2 offset1:3
	ds_store_2addr_b32 v1, v66, v67 offset0:4 offset1:5
	;; [unrolled: 1-line block ×3, first 2 shown]
	v_lshlrev_b32_e32 v62, 2, v74
	v_lshlrev_b32_e32 v63, 2, v78
	;; [unrolled: 1-line block ×8, first 2 shown]
	s_wait_loadcnt_dscnt 0x0
	s_barrier_signal -1
	s_barrier_wait -1
	global_inv scope:SCOPE_SE
	ds_load_b32 v62, v62
	ds_load_b32 v63, v63
	;; [unrolled: 1-line block ×8, first 2 shown]
	v_cndmask_b32_e64 v72, v72, v73, s8
	v_cndmask_b32_e64 v70, v70, v71, s7
	;; [unrolled: 1-line block ×7, first 2 shown]
	s_wait_loadcnt_dscnt 0x0
	s_barrier_signal -1
	s_barrier_wait -1
	global_inv scope:SCOPE_SE
	ds_store_2addr_b32 v1, v70, v72 offset1:1
	ds_store_2addr_b32 v1, v76, v79 offset0:2 offset1:3
	ds_store_2addr_b32 v1, v78, v74 offset0:4 offset1:5
	;; [unrolled: 1-line block ×3, first 2 shown]
	v_mov_b32_e32 v72, v58
	s_wait_loadcnt_dscnt 0x0
	s_barrier_signal -1
	s_barrier_wait -1
	global_inv scope:SCOPE_SE
	s_and_saveexec_b32 s8, s4
	s_cbranch_execz .LBB29_134
; %bb.131:                              ;   in Loop: Header=BB29_2 Depth=1
	v_mov_b32_e32 v72, v58
	v_mov_b32_e32 v70, v51
	s_mov_b32 s9, 0
.LBB29_132:                             ;   Parent Loop BB29_2 Depth=1
                                        ; =>  This Inner Loop Header: Depth=2
	s_delay_alu instid0(VALU_DEP_1) | instskip(NEXT) | instid1(VALU_DEP_1)
	v_sub_nc_u32_e32 v71, v70, v72
	v_lshrrev_b32_e32 v71, 1, v71
	s_delay_alu instid0(VALU_DEP_1) | instskip(NEXT) | instid1(VALU_DEP_1)
	v_add_nc_u32_e32 v71, v71, v72
	v_not_b32_e32 v73, v71
	v_lshl_add_u32 v74, v71, 2, v26
	v_add_nc_u32_e32 v75, 1, v71
	s_delay_alu instid0(VALU_DEP_3)
	v_lshl_add_u32 v73, v73, 2, v44
	ds_load_b32 v74, v74
	ds_load_b32 v73, v73
	s_wait_dscnt 0x0
	v_cmp_lt_i32_e64 s7, v73, v74
	s_wait_alu 0xf1ff
	s_delay_alu instid0(VALU_DEP_1) | instskip(SKIP_1) | instid1(VALU_DEP_1)
	v_cndmask_b32_e64 v70, v70, v71, s7
	v_cndmask_b32_e64 v72, v75, v72, s7
	v_cmp_ge_i32_e64 s7, v72, v70
	s_wait_alu 0xfffe
	s_or_b32 s9, s7, s9
	s_wait_alu 0xfffe
	s_and_not1_b32 exec_lo, exec_lo, s9
	s_cbranch_execnz .LBB29_132
; %bb.133:                              ;   in Loop: Header=BB29_2 Depth=1
	s_or_b32 exec_lo, exec_lo, s9
.LBB29_134:                             ;   in Loop: Header=BB29_2 Depth=1
	s_wait_alu 0xfffe
	s_or_b32 exec_lo, exec_lo, s8
	v_sub_nc_u32_e32 v74, v37, v72
	v_lshl_add_u32 v73, v72, 2, v26
	v_add_nc_u32_e32 v75, v72, v6
                                        ; implicit-def: $vgpr72
	s_delay_alu instid0(VALU_DEP_3) | instskip(SKIP_1) | instid1(VALU_DEP_3)
	v_lshlrev_b32_e32 v76, 2, v74
	v_cmp_gt_i32_e64 s9, v25, v74
	v_cmp_le_i32_e64 s7, v24, v75
	ds_load_b32 v70, v73
	ds_load_b32 v71, v76
	s_wait_dscnt 0x0
	v_cmp_lt_i32_e64 s8, v71, v70
	s_or_b32 s7, s7, s8
	s_wait_alu 0xfffe
	s_and_b32 s7, s9, s7
	s_wait_alu 0xfffe
	s_xor_b32 s8, s7, -1
	s_wait_alu 0xfffe
	s_and_saveexec_b32 s9, s8
	s_wait_alu 0xfffe
	s_xor_b32 s8, exec_lo, s9
; %bb.135:                              ;   in Loop: Header=BB29_2 Depth=1
	ds_load_b32 v72, v73 offset:4
                                        ; implicit-def: $vgpr76
; %bb.136:                              ;   in Loop: Header=BB29_2 Depth=1
	s_wait_alu 0xfffe
	s_or_saveexec_b32 s8, s8
	v_mov_b32_e32 v73, v71
	s_wait_alu 0xfffe
	s_xor_b32 exec_lo, exec_lo, s8
	s_cbranch_execz .LBB29_138
; %bb.137:                              ;   in Loop: Header=BB29_2 Depth=1
	ds_load_b32 v73, v76 offset:4
	s_wait_dscnt 0x1
	v_mov_b32_e32 v72, v70
.LBB29_138:                             ;   in Loop: Header=BB29_2 Depth=1
	s_or_b32 exec_lo, exec_lo, s8
	v_add_nc_u32_e32 v76, 1, v75
	v_add_nc_u32_e32 v77, 1, v74
	s_wait_dscnt 0x0
	v_cmp_lt_i32_e64 s9, v73, v72
	s_delay_alu instid0(VALU_DEP_3) | instskip(NEXT) | instid1(VALU_DEP_3)
	v_cndmask_b32_e64 v78, v76, v75, s7
	v_cndmask_b32_e64 v79, v74, v77, s7
                                        ; implicit-def: $vgpr76
	s_delay_alu instid0(VALU_DEP_2) | instskip(NEXT) | instid1(VALU_DEP_2)
	v_cmp_ge_i32_e64 s8, v78, v24
	v_cmp_lt_i32_e64 s10, v79, v25
	s_or_b32 s8, s8, s9
	s_wait_alu 0xfffe
	s_and_b32 s8, s10, s8
	s_wait_alu 0xfffe
	s_xor_b32 s9, s8, -1
	s_wait_alu 0xfffe
	s_and_saveexec_b32 s10, s9
	s_wait_alu 0xfffe
	s_xor_b32 s9, exec_lo, s10
; %bb.139:                              ;   in Loop: Header=BB29_2 Depth=1
	v_lshlrev_b32_e32 v76, 2, v78
	ds_load_b32 v76, v76 offset:4
; %bb.140:                              ;   in Loop: Header=BB29_2 Depth=1
	s_wait_alu 0xfffe
	s_or_saveexec_b32 s9, s9
	v_mov_b32_e32 v77, v73
	s_wait_alu 0xfffe
	s_xor_b32 exec_lo, exec_lo, s9
	s_cbranch_execz .LBB29_142
; %bb.141:                              ;   in Loop: Header=BB29_2 Depth=1
	s_wait_dscnt 0x0
	v_lshlrev_b32_e32 v76, 2, v79
	ds_load_b32 v77, v76 offset:4
	v_mov_b32_e32 v76, v72
.LBB29_142:                             ;   in Loop: Header=BB29_2 Depth=1
	s_or_b32 exec_lo, exec_lo, s9
	v_add_nc_u32_e32 v80, 1, v78
	v_add_nc_u32_e32 v81, 1, v79
	s_wait_dscnt 0x0
	v_cmp_lt_i32_e64 s10, v77, v76
	s_delay_alu instid0(VALU_DEP_3) | instskip(NEXT) | instid1(VALU_DEP_3)
	v_cndmask_b32_e64 v82, v80, v78, s8
	v_cndmask_b32_e64 v83, v79, v81, s8
                                        ; implicit-def: $vgpr80
	s_delay_alu instid0(VALU_DEP_2) | instskip(NEXT) | instid1(VALU_DEP_2)
	v_cmp_ge_i32_e64 s9, v82, v24
	v_cmp_lt_i32_e64 s11, v83, v25
	s_or_b32 s9, s9, s10
	s_wait_alu 0xfffe
	s_and_b32 s9, s11, s9
	s_wait_alu 0xfffe
	s_xor_b32 s10, s9, -1
	s_wait_alu 0xfffe
	s_and_saveexec_b32 s11, s10
	s_wait_alu 0xfffe
	s_xor_b32 s10, exec_lo, s11
; %bb.143:                              ;   in Loop: Header=BB29_2 Depth=1
	v_lshlrev_b32_e32 v80, 2, v82
	ds_load_b32 v80, v80 offset:4
; %bb.144:                              ;   in Loop: Header=BB29_2 Depth=1
	s_wait_alu 0xfffe
	s_or_saveexec_b32 s10, s10
	v_mov_b32_e32 v81, v77
	s_wait_alu 0xfffe
	s_xor_b32 exec_lo, exec_lo, s10
	s_cbranch_execz .LBB29_146
; %bb.145:                              ;   in Loop: Header=BB29_2 Depth=1
	s_wait_dscnt 0x0
	v_lshlrev_b32_e32 v80, 2, v83
	ds_load_b32 v81, v80 offset:4
	v_mov_b32_e32 v80, v76
.LBB29_146:                             ;   in Loop: Header=BB29_2 Depth=1
	s_or_b32 exec_lo, exec_lo, s10
	v_add_nc_u32_e32 v84, 1, v82
	v_add_nc_u32_e32 v85, 1, v83
	s_wait_dscnt 0x0
	v_cmp_lt_i32_e64 s11, v81, v80
	s_delay_alu instid0(VALU_DEP_3) | instskip(NEXT) | instid1(VALU_DEP_3)
	v_cndmask_b32_e64 v87, v84, v82, s9
	v_cndmask_b32_e64 v88, v83, v85, s9
                                        ; implicit-def: $vgpr84
	s_delay_alu instid0(VALU_DEP_2) | instskip(NEXT) | instid1(VALU_DEP_2)
	v_cmp_ge_i32_e64 s10, v87, v24
	v_cmp_lt_i32_e64 s12, v88, v25
	s_or_b32 s10, s10, s11
	s_wait_alu 0xfffe
	s_and_b32 s10, s12, s10
	s_wait_alu 0xfffe
	s_xor_b32 s11, s10, -1
	s_wait_alu 0xfffe
	s_and_saveexec_b32 s12, s11
	s_wait_alu 0xfffe
	s_xor_b32 s11, exec_lo, s12
; %bb.147:                              ;   in Loop: Header=BB29_2 Depth=1
	v_lshlrev_b32_e32 v84, 2, v87
	ds_load_b32 v84, v84 offset:4
; %bb.148:                              ;   in Loop: Header=BB29_2 Depth=1
	s_wait_alu 0xfffe
	s_or_saveexec_b32 s11, s11
	v_mov_b32_e32 v85, v81
	s_wait_alu 0xfffe
	s_xor_b32 exec_lo, exec_lo, s11
	s_cbranch_execz .LBB29_150
; %bb.149:                              ;   in Loop: Header=BB29_2 Depth=1
	s_wait_dscnt 0x0
	v_lshlrev_b32_e32 v84, 2, v88
	ds_load_b32 v85, v84 offset:4
	v_mov_b32_e32 v84, v80
.LBB29_150:                             ;   in Loop: Header=BB29_2 Depth=1
	s_or_b32 exec_lo, exec_lo, s11
	v_add_nc_u32_e32 v86, 1, v87
	v_add_nc_u32_e32 v89, 1, v88
	s_wait_dscnt 0x0
	v_cmp_lt_i32_e64 s12, v85, v84
	s_delay_alu instid0(VALU_DEP_3) | instskip(NEXT) | instid1(VALU_DEP_3)
	v_cndmask_b32_e64 v90, v86, v87, s10
	v_cndmask_b32_e64 v91, v88, v89, s10
                                        ; implicit-def: $vgpr86
	s_delay_alu instid0(VALU_DEP_2) | instskip(NEXT) | instid1(VALU_DEP_2)
	v_cmp_ge_i32_e64 s11, v90, v24
	v_cmp_lt_i32_e64 s13, v91, v25
	s_or_b32 s11, s11, s12
	s_wait_alu 0xfffe
	s_and_b32 s11, s13, s11
	s_wait_alu 0xfffe
	s_xor_b32 s12, s11, -1
	s_wait_alu 0xfffe
	s_and_saveexec_b32 s13, s12
	s_wait_alu 0xfffe
	s_xor_b32 s12, exec_lo, s13
; %bb.151:                              ;   in Loop: Header=BB29_2 Depth=1
	v_lshlrev_b32_e32 v86, 2, v90
	ds_load_b32 v86, v86 offset:4
; %bb.152:                              ;   in Loop: Header=BB29_2 Depth=1
	s_wait_alu 0xfffe
	s_or_saveexec_b32 s12, s12
	v_mov_b32_e32 v89, v85
	s_wait_alu 0xfffe
	s_xor_b32 exec_lo, exec_lo, s12
	s_cbranch_execz .LBB29_154
; %bb.153:                              ;   in Loop: Header=BB29_2 Depth=1
	s_wait_dscnt 0x0
	v_lshlrev_b32_e32 v86, 2, v91
	ds_load_b32 v89, v86 offset:4
	v_mov_b32_e32 v86, v84
.LBB29_154:                             ;   in Loop: Header=BB29_2 Depth=1
	s_or_b32 exec_lo, exec_lo, s12
	v_add_nc_u32_e32 v92, 1, v90
	v_add_nc_u32_e32 v93, 1, v91
	s_wait_dscnt 0x0
	v_cmp_lt_i32_e64 s13, v89, v86
                                        ; implicit-def: $vgpr94
	s_delay_alu instid0(VALU_DEP_3) | instskip(NEXT) | instid1(VALU_DEP_3)
	v_cndmask_b32_e64 v92, v92, v90, s11
	v_cndmask_b32_e64 v93, v91, v93, s11
	s_delay_alu instid0(VALU_DEP_2) | instskip(NEXT) | instid1(VALU_DEP_2)
	v_cmp_ge_i32_e64 s12, v92, v24
	v_cmp_lt_i32_e64 s14, v93, v25
	s_or_b32 s12, s12, s13
	s_wait_alu 0xfffe
	s_and_b32 s12, s14, s12
	s_wait_alu 0xfffe
	s_xor_b32 s13, s12, -1
	s_wait_alu 0xfffe
	s_and_saveexec_b32 s14, s13
	s_wait_alu 0xfffe
	s_xor_b32 s13, exec_lo, s14
; %bb.155:                              ;   in Loop: Header=BB29_2 Depth=1
	v_lshlrev_b32_e32 v94, 2, v92
	ds_load_b32 v94, v94 offset:4
; %bb.156:                              ;   in Loop: Header=BB29_2 Depth=1
	s_wait_alu 0xfffe
	s_or_saveexec_b32 s13, s13
	v_mov_b32_e32 v96, v89
	s_wait_alu 0xfffe
	s_xor_b32 exec_lo, exec_lo, s13
	s_cbranch_execz .LBB29_158
; %bb.157:                              ;   in Loop: Header=BB29_2 Depth=1
	s_wait_dscnt 0x0
	v_lshlrev_b32_e32 v94, 2, v93
	ds_load_b32 v96, v94 offset:4
	v_mov_b32_e32 v94, v86
.LBB29_158:                             ;   in Loop: Header=BB29_2 Depth=1
	s_or_b32 exec_lo, exec_lo, s13
	v_add_nc_u32_e32 v95, 1, v92
	v_add_nc_u32_e32 v97, 1, v93
	s_wait_dscnt 0x0
	v_cmp_lt_i32_e64 s14, v96, v94
	s_delay_alu instid0(VALU_DEP_3) | instskip(NEXT) | instid1(VALU_DEP_3)
	v_cndmask_b32_e64 v98, v95, v92, s12
	v_cndmask_b32_e64 v97, v93, v97, s12
                                        ; implicit-def: $vgpr95
	s_delay_alu instid0(VALU_DEP_2) | instskip(NEXT) | instid1(VALU_DEP_2)
	v_cmp_ge_i32_e64 s13, v98, v24
	v_cmp_lt_i32_e64 s15, v97, v25
	s_or_b32 s13, s13, s14
	s_wait_alu 0xfffe
	s_and_b32 s13, s15, s13
	s_wait_alu 0xfffe
	s_xor_b32 s14, s13, -1
	s_wait_alu 0xfffe
	s_and_saveexec_b32 s15, s14
	s_wait_alu 0xfffe
	s_xor_b32 s14, exec_lo, s15
; %bb.159:                              ;   in Loop: Header=BB29_2 Depth=1
	v_lshlrev_b32_e32 v95, 2, v98
	ds_load_b32 v95, v95 offset:4
; %bb.160:                              ;   in Loop: Header=BB29_2 Depth=1
	s_wait_alu 0xfffe
	s_or_saveexec_b32 s14, s14
	v_mov_b32_e32 v99, v96
	s_wait_alu 0xfffe
	s_xor_b32 exec_lo, exec_lo, s14
	s_cbranch_execz .LBB29_162
; %bb.161:                              ;   in Loop: Header=BB29_2 Depth=1
	s_wait_dscnt 0x0
	v_lshlrev_b32_e32 v95, 2, v97
	ds_load_b32 v99, v95 offset:4
	v_mov_b32_e32 v95, v94
.LBB29_162:                             ;   in Loop: Header=BB29_2 Depth=1
	s_or_b32 exec_lo, exec_lo, s14
	v_add_nc_u32_e32 v100, 1, v98
	v_cndmask_b32_e64 v94, v94, v96, s13
	v_add_nc_u32_e32 v96, 1, v97
	v_cndmask_b32_e64 v92, v92, v93, s12
	v_cndmask_b32_e64 v90, v90, v91, s11
	;; [unrolled: 1-line block ×5, first 2 shown]
	s_wait_dscnt 0x0
	v_cmp_lt_i32_e64 s13, v99, v95
	v_cndmask_b32_e64 v74, v75, v74, s7
	v_cmp_ge_i32_e64 s14, v93, v24
	v_cndmask_b32_e64 v78, v78, v79, s8
	v_cmp_lt_i32_e64 s15, v91, v25
	v_cndmask_b32_e64 v82, v82, v83, s9
	v_cndmask_b32_e64 v87, v87, v88, s10
	s_or_b32 s13, s14, s13
	s_wait_loadcnt 0x0
	s_wait_alu 0xfffe
	s_and_b32 s13, s15, s13
	s_barrier_signal -1
	s_wait_alu 0xfffe
	v_cndmask_b32_e64 v79, v93, v91, s13
	s_barrier_wait -1
	global_inv scope:SCOPE_SE
	ds_store_2addr_b32 v1, v62, v63 offset1:1
	ds_store_2addr_b32 v1, v64, v65 offset0:2 offset1:3
	ds_store_2addr_b32 v1, v66, v67 offset0:4 offset1:5
	;; [unrolled: 1-line block ×3, first 2 shown]
	v_lshlrev_b32_e32 v62, 2, v74
	v_lshlrev_b32_e32 v63, 2, v78
	;; [unrolled: 1-line block ×8, first 2 shown]
	s_wait_loadcnt_dscnt 0x0
	s_barrier_signal -1
	s_barrier_wait -1
	global_inv scope:SCOPE_SE
	ds_load_b32 v62, v62
	ds_load_b32 v63, v63
	;; [unrolled: 1-line block ×8, first 2 shown]
	v_cndmask_b32_e64 v72, v72, v73, s8
	v_cndmask_b32_e64 v70, v70, v71, s7
	;; [unrolled: 1-line block ×7, first 2 shown]
	s_wait_loadcnt_dscnt 0x0
	s_barrier_signal -1
	s_barrier_wait -1
	global_inv scope:SCOPE_SE
	ds_store_2addr_b32 v1, v70, v72 offset1:1
	ds_store_2addr_b32 v1, v76, v79 offset0:2 offset1:3
	ds_store_2addr_b32 v1, v78, v74 offset0:4 offset1:5
	;; [unrolled: 1-line block ×3, first 2 shown]
	v_mov_b32_e32 v72, v59
	s_wait_loadcnt_dscnt 0x0
	s_barrier_signal -1
	s_barrier_wait -1
	global_inv scope:SCOPE_SE
	s_and_saveexec_b32 s8, s5
	s_cbranch_execz .LBB29_166
; %bb.163:                              ;   in Loop: Header=BB29_2 Depth=1
	v_mov_b32_e32 v72, v59
	v_mov_b32_e32 v70, v52
	s_mov_b32 s9, 0
.LBB29_164:                             ;   Parent Loop BB29_2 Depth=1
                                        ; =>  This Inner Loop Header: Depth=2
	s_delay_alu instid0(VALU_DEP_1) | instskip(NEXT) | instid1(VALU_DEP_1)
	v_sub_nc_u32_e32 v71, v70, v72
	v_lshrrev_b32_e32 v71, 1, v71
	s_delay_alu instid0(VALU_DEP_1) | instskip(NEXT) | instid1(VALU_DEP_1)
	v_add_nc_u32_e32 v71, v71, v72
	v_not_b32_e32 v73, v71
	v_lshl_add_u32 v74, v71, 2, v29
	v_add_nc_u32_e32 v75, 1, v71
	s_delay_alu instid0(VALU_DEP_3)
	v_lshl_add_u32 v73, v73, 2, v45
	ds_load_b32 v74, v74
	ds_load_b32 v73, v73
	s_wait_dscnt 0x0
	v_cmp_lt_i32_e64 s7, v73, v74
	s_wait_alu 0xf1ff
	s_delay_alu instid0(VALU_DEP_1) | instskip(SKIP_1) | instid1(VALU_DEP_1)
	v_cndmask_b32_e64 v70, v70, v71, s7
	v_cndmask_b32_e64 v72, v75, v72, s7
	v_cmp_ge_i32_e64 s7, v72, v70
	s_wait_alu 0xfffe
	s_or_b32 s9, s7, s9
	s_wait_alu 0xfffe
	s_and_not1_b32 exec_lo, exec_lo, s9
	s_cbranch_execnz .LBB29_164
; %bb.165:                              ;   in Loop: Header=BB29_2 Depth=1
	s_or_b32 exec_lo, exec_lo, s9
.LBB29_166:                             ;   in Loop: Header=BB29_2 Depth=1
	s_wait_alu 0xfffe
	s_or_b32 exec_lo, exec_lo, s8
	v_sub_nc_u32_e32 v74, v38, v72
	v_lshl_add_u32 v73, v72, 2, v29
	v_add_nc_u32_e32 v75, v72, v7
                                        ; implicit-def: $vgpr72
	s_delay_alu instid0(VALU_DEP_3) | instskip(SKIP_1) | instid1(VALU_DEP_3)
	v_lshlrev_b32_e32 v76, 2, v74
	v_cmp_gt_i32_e64 s9, v28, v74
	v_cmp_le_i32_e64 s7, v27, v75
	ds_load_b32 v70, v73
	ds_load_b32 v71, v76
	s_wait_dscnt 0x0
	v_cmp_lt_i32_e64 s8, v71, v70
	s_or_b32 s7, s7, s8
	s_wait_alu 0xfffe
	s_and_b32 s7, s9, s7
	s_wait_alu 0xfffe
	s_xor_b32 s8, s7, -1
	s_wait_alu 0xfffe
	s_and_saveexec_b32 s9, s8
	s_wait_alu 0xfffe
	s_xor_b32 s8, exec_lo, s9
; %bb.167:                              ;   in Loop: Header=BB29_2 Depth=1
	ds_load_b32 v72, v73 offset:4
                                        ; implicit-def: $vgpr76
; %bb.168:                              ;   in Loop: Header=BB29_2 Depth=1
	s_wait_alu 0xfffe
	s_or_saveexec_b32 s8, s8
	v_mov_b32_e32 v73, v71
	s_wait_alu 0xfffe
	s_xor_b32 exec_lo, exec_lo, s8
	s_cbranch_execz .LBB29_170
; %bb.169:                              ;   in Loop: Header=BB29_2 Depth=1
	ds_load_b32 v73, v76 offset:4
	s_wait_dscnt 0x1
	v_mov_b32_e32 v72, v70
.LBB29_170:                             ;   in Loop: Header=BB29_2 Depth=1
	s_or_b32 exec_lo, exec_lo, s8
	v_add_nc_u32_e32 v76, 1, v75
	v_add_nc_u32_e32 v77, 1, v74
	s_wait_dscnt 0x0
	v_cmp_lt_i32_e64 s9, v73, v72
	s_delay_alu instid0(VALU_DEP_3) | instskip(NEXT) | instid1(VALU_DEP_3)
	v_cndmask_b32_e64 v78, v76, v75, s7
	v_cndmask_b32_e64 v79, v74, v77, s7
                                        ; implicit-def: $vgpr76
	s_delay_alu instid0(VALU_DEP_2) | instskip(NEXT) | instid1(VALU_DEP_2)
	v_cmp_ge_i32_e64 s8, v78, v27
	v_cmp_lt_i32_e64 s10, v79, v28
	s_or_b32 s8, s8, s9
	s_wait_alu 0xfffe
	s_and_b32 s8, s10, s8
	s_wait_alu 0xfffe
	s_xor_b32 s9, s8, -1
	s_wait_alu 0xfffe
	s_and_saveexec_b32 s10, s9
	s_wait_alu 0xfffe
	s_xor_b32 s9, exec_lo, s10
; %bb.171:                              ;   in Loop: Header=BB29_2 Depth=1
	v_lshlrev_b32_e32 v76, 2, v78
	ds_load_b32 v76, v76 offset:4
; %bb.172:                              ;   in Loop: Header=BB29_2 Depth=1
	s_wait_alu 0xfffe
	s_or_saveexec_b32 s9, s9
	v_mov_b32_e32 v77, v73
	s_wait_alu 0xfffe
	s_xor_b32 exec_lo, exec_lo, s9
	s_cbranch_execz .LBB29_174
; %bb.173:                              ;   in Loop: Header=BB29_2 Depth=1
	s_wait_dscnt 0x0
	v_lshlrev_b32_e32 v76, 2, v79
	ds_load_b32 v77, v76 offset:4
	v_mov_b32_e32 v76, v72
.LBB29_174:                             ;   in Loop: Header=BB29_2 Depth=1
	s_or_b32 exec_lo, exec_lo, s9
	v_add_nc_u32_e32 v80, 1, v78
	v_add_nc_u32_e32 v81, 1, v79
	s_wait_dscnt 0x0
	v_cmp_lt_i32_e64 s10, v77, v76
	s_delay_alu instid0(VALU_DEP_3) | instskip(NEXT) | instid1(VALU_DEP_3)
	v_cndmask_b32_e64 v82, v80, v78, s8
	v_cndmask_b32_e64 v83, v79, v81, s8
                                        ; implicit-def: $vgpr80
	s_delay_alu instid0(VALU_DEP_2) | instskip(NEXT) | instid1(VALU_DEP_2)
	v_cmp_ge_i32_e64 s9, v82, v27
	v_cmp_lt_i32_e64 s11, v83, v28
	s_or_b32 s9, s9, s10
	s_wait_alu 0xfffe
	s_and_b32 s9, s11, s9
	s_wait_alu 0xfffe
	s_xor_b32 s10, s9, -1
	s_wait_alu 0xfffe
	s_and_saveexec_b32 s11, s10
	s_wait_alu 0xfffe
	s_xor_b32 s10, exec_lo, s11
; %bb.175:                              ;   in Loop: Header=BB29_2 Depth=1
	v_lshlrev_b32_e32 v80, 2, v82
	ds_load_b32 v80, v80 offset:4
; %bb.176:                              ;   in Loop: Header=BB29_2 Depth=1
	s_wait_alu 0xfffe
	s_or_saveexec_b32 s10, s10
	v_mov_b32_e32 v81, v77
	s_wait_alu 0xfffe
	s_xor_b32 exec_lo, exec_lo, s10
	s_cbranch_execz .LBB29_178
; %bb.177:                              ;   in Loop: Header=BB29_2 Depth=1
	s_wait_dscnt 0x0
	v_lshlrev_b32_e32 v80, 2, v83
	ds_load_b32 v81, v80 offset:4
	v_mov_b32_e32 v80, v76
.LBB29_178:                             ;   in Loop: Header=BB29_2 Depth=1
	s_or_b32 exec_lo, exec_lo, s10
	v_add_nc_u32_e32 v84, 1, v82
	v_add_nc_u32_e32 v85, 1, v83
	s_wait_dscnt 0x0
	v_cmp_lt_i32_e64 s11, v81, v80
	s_delay_alu instid0(VALU_DEP_3) | instskip(NEXT) | instid1(VALU_DEP_3)
	v_cndmask_b32_e64 v87, v84, v82, s9
	v_cndmask_b32_e64 v88, v83, v85, s9
                                        ; implicit-def: $vgpr84
	s_delay_alu instid0(VALU_DEP_2) | instskip(NEXT) | instid1(VALU_DEP_2)
	v_cmp_ge_i32_e64 s10, v87, v27
	v_cmp_lt_i32_e64 s12, v88, v28
	s_or_b32 s10, s10, s11
	s_wait_alu 0xfffe
	s_and_b32 s10, s12, s10
	s_wait_alu 0xfffe
	s_xor_b32 s11, s10, -1
	s_wait_alu 0xfffe
	s_and_saveexec_b32 s12, s11
	s_wait_alu 0xfffe
	s_xor_b32 s11, exec_lo, s12
; %bb.179:                              ;   in Loop: Header=BB29_2 Depth=1
	v_lshlrev_b32_e32 v84, 2, v87
	ds_load_b32 v84, v84 offset:4
; %bb.180:                              ;   in Loop: Header=BB29_2 Depth=1
	s_wait_alu 0xfffe
	s_or_saveexec_b32 s11, s11
	v_mov_b32_e32 v85, v81
	s_wait_alu 0xfffe
	s_xor_b32 exec_lo, exec_lo, s11
	s_cbranch_execz .LBB29_182
; %bb.181:                              ;   in Loop: Header=BB29_2 Depth=1
	s_wait_dscnt 0x0
	v_lshlrev_b32_e32 v84, 2, v88
	ds_load_b32 v85, v84 offset:4
	v_mov_b32_e32 v84, v80
.LBB29_182:                             ;   in Loop: Header=BB29_2 Depth=1
	s_or_b32 exec_lo, exec_lo, s11
	v_add_nc_u32_e32 v86, 1, v87
	v_add_nc_u32_e32 v89, 1, v88
	s_wait_dscnt 0x0
	v_cmp_lt_i32_e64 s12, v85, v84
	s_delay_alu instid0(VALU_DEP_3) | instskip(NEXT) | instid1(VALU_DEP_3)
	v_cndmask_b32_e64 v90, v86, v87, s10
	v_cndmask_b32_e64 v91, v88, v89, s10
                                        ; implicit-def: $vgpr86
	s_delay_alu instid0(VALU_DEP_2) | instskip(NEXT) | instid1(VALU_DEP_2)
	v_cmp_ge_i32_e64 s11, v90, v27
	v_cmp_lt_i32_e64 s13, v91, v28
	s_or_b32 s11, s11, s12
	s_wait_alu 0xfffe
	s_and_b32 s11, s13, s11
	s_wait_alu 0xfffe
	s_xor_b32 s12, s11, -1
	s_wait_alu 0xfffe
	s_and_saveexec_b32 s13, s12
	s_wait_alu 0xfffe
	s_xor_b32 s12, exec_lo, s13
; %bb.183:                              ;   in Loop: Header=BB29_2 Depth=1
	v_lshlrev_b32_e32 v86, 2, v90
	ds_load_b32 v86, v86 offset:4
; %bb.184:                              ;   in Loop: Header=BB29_2 Depth=1
	s_wait_alu 0xfffe
	s_or_saveexec_b32 s12, s12
	v_mov_b32_e32 v89, v85
	s_wait_alu 0xfffe
	s_xor_b32 exec_lo, exec_lo, s12
	s_cbranch_execz .LBB29_186
; %bb.185:                              ;   in Loop: Header=BB29_2 Depth=1
	s_wait_dscnt 0x0
	v_lshlrev_b32_e32 v86, 2, v91
	ds_load_b32 v89, v86 offset:4
	v_mov_b32_e32 v86, v84
.LBB29_186:                             ;   in Loop: Header=BB29_2 Depth=1
	s_or_b32 exec_lo, exec_lo, s12
	v_add_nc_u32_e32 v92, 1, v90
	v_add_nc_u32_e32 v93, 1, v91
	s_wait_dscnt 0x0
	v_cmp_lt_i32_e64 s13, v89, v86
                                        ; implicit-def: $vgpr94
	s_delay_alu instid0(VALU_DEP_3) | instskip(NEXT) | instid1(VALU_DEP_3)
	v_cndmask_b32_e64 v92, v92, v90, s11
	v_cndmask_b32_e64 v93, v91, v93, s11
	s_delay_alu instid0(VALU_DEP_2) | instskip(NEXT) | instid1(VALU_DEP_2)
	v_cmp_ge_i32_e64 s12, v92, v27
	v_cmp_lt_i32_e64 s14, v93, v28
	s_or_b32 s12, s12, s13
	s_wait_alu 0xfffe
	s_and_b32 s12, s14, s12
	s_wait_alu 0xfffe
	s_xor_b32 s13, s12, -1
	s_wait_alu 0xfffe
	s_and_saveexec_b32 s14, s13
	s_wait_alu 0xfffe
	s_xor_b32 s13, exec_lo, s14
; %bb.187:                              ;   in Loop: Header=BB29_2 Depth=1
	v_lshlrev_b32_e32 v94, 2, v92
	ds_load_b32 v94, v94 offset:4
; %bb.188:                              ;   in Loop: Header=BB29_2 Depth=1
	s_wait_alu 0xfffe
	s_or_saveexec_b32 s13, s13
	v_mov_b32_e32 v96, v89
	s_wait_alu 0xfffe
	s_xor_b32 exec_lo, exec_lo, s13
	s_cbranch_execz .LBB29_190
; %bb.189:                              ;   in Loop: Header=BB29_2 Depth=1
	s_wait_dscnt 0x0
	v_lshlrev_b32_e32 v94, 2, v93
	ds_load_b32 v96, v94 offset:4
	v_mov_b32_e32 v94, v86
.LBB29_190:                             ;   in Loop: Header=BB29_2 Depth=1
	s_or_b32 exec_lo, exec_lo, s13
	v_add_nc_u32_e32 v95, 1, v92
	v_add_nc_u32_e32 v97, 1, v93
	s_wait_dscnt 0x0
	v_cmp_lt_i32_e64 s14, v96, v94
	s_delay_alu instid0(VALU_DEP_3) | instskip(NEXT) | instid1(VALU_DEP_3)
	v_cndmask_b32_e64 v98, v95, v92, s12
	v_cndmask_b32_e64 v97, v93, v97, s12
                                        ; implicit-def: $vgpr95
	s_delay_alu instid0(VALU_DEP_2) | instskip(NEXT) | instid1(VALU_DEP_2)
	v_cmp_ge_i32_e64 s13, v98, v27
	v_cmp_lt_i32_e64 s15, v97, v28
	s_or_b32 s13, s13, s14
	s_wait_alu 0xfffe
	s_and_b32 s13, s15, s13
	s_wait_alu 0xfffe
	s_xor_b32 s14, s13, -1
	s_wait_alu 0xfffe
	s_and_saveexec_b32 s15, s14
	s_wait_alu 0xfffe
	s_xor_b32 s14, exec_lo, s15
; %bb.191:                              ;   in Loop: Header=BB29_2 Depth=1
	v_lshlrev_b32_e32 v95, 2, v98
	ds_load_b32 v95, v95 offset:4
; %bb.192:                              ;   in Loop: Header=BB29_2 Depth=1
	s_wait_alu 0xfffe
	s_or_saveexec_b32 s14, s14
	v_mov_b32_e32 v99, v96
	s_wait_alu 0xfffe
	s_xor_b32 exec_lo, exec_lo, s14
	s_cbranch_execz .LBB29_194
; %bb.193:                              ;   in Loop: Header=BB29_2 Depth=1
	s_wait_dscnt 0x0
	v_lshlrev_b32_e32 v95, 2, v97
	ds_load_b32 v99, v95 offset:4
	v_mov_b32_e32 v95, v94
.LBB29_194:                             ;   in Loop: Header=BB29_2 Depth=1
	s_or_b32 exec_lo, exec_lo, s14
	v_add_nc_u32_e32 v100, 1, v98
	v_cndmask_b32_e64 v94, v94, v96, s13
	v_add_nc_u32_e32 v96, 1, v97
	v_cndmask_b32_e64 v92, v92, v93, s12
	v_cndmask_b32_e64 v90, v90, v91, s11
	;; [unrolled: 1-line block ×5, first 2 shown]
	s_wait_dscnt 0x0
	v_cmp_lt_i32_e64 s13, v99, v95
	v_cndmask_b32_e64 v74, v75, v74, s7
	v_cmp_ge_i32_e64 s14, v93, v27
	v_cndmask_b32_e64 v78, v78, v79, s8
	v_cmp_lt_i32_e64 s15, v91, v28
	v_cndmask_b32_e64 v82, v82, v83, s9
	v_cndmask_b32_e64 v87, v87, v88, s10
	s_or_b32 s13, s14, s13
	s_wait_loadcnt 0x0
	s_wait_alu 0xfffe
	s_and_b32 s13, s15, s13
	s_barrier_signal -1
	s_wait_alu 0xfffe
	v_cndmask_b32_e64 v79, v93, v91, s13
	s_barrier_wait -1
	global_inv scope:SCOPE_SE
	ds_store_2addr_b32 v1, v62, v63 offset1:1
	ds_store_2addr_b32 v1, v64, v65 offset0:2 offset1:3
	ds_store_2addr_b32 v1, v66, v67 offset0:4 offset1:5
	;; [unrolled: 1-line block ×3, first 2 shown]
	v_lshlrev_b32_e32 v62, 2, v74
	v_lshlrev_b32_e32 v63, 2, v78
	;; [unrolled: 1-line block ×8, first 2 shown]
	s_wait_loadcnt_dscnt 0x0
	s_barrier_signal -1
	s_barrier_wait -1
	global_inv scope:SCOPE_SE
	ds_load_b32 v62, v62
	ds_load_b32 v63, v63
	ds_load_b32 v64, v64
	ds_load_b32 v65, v65
	ds_load_b32 v66, v66
	ds_load_b32 v67, v67
	ds_load_b32 v68, v68
	ds_load_b32 v69, v69
	v_cndmask_b32_e64 v72, v72, v73, s8
	v_cndmask_b32_e64 v70, v70, v71, s7
	;; [unrolled: 1-line block ×7, first 2 shown]
	s_wait_loadcnt_dscnt 0x0
	s_barrier_signal -1
	s_barrier_wait -1
	global_inv scope:SCOPE_SE
	ds_store_2addr_b32 v1, v70, v72 offset1:1
	ds_store_2addr_b32 v1, v76, v79 offset0:2 offset1:3
	ds_store_2addr_b32 v1, v78, v74 offset0:4 offset1:5
	;; [unrolled: 1-line block ×3, first 2 shown]
	v_mov_b32_e32 v72, v60
	s_wait_loadcnt_dscnt 0x0
	s_barrier_signal -1
	s_barrier_wait -1
	global_inv scope:SCOPE_SE
	s_and_saveexec_b32 s8, s6
	s_cbranch_execz .LBB29_198
; %bb.195:                              ;   in Loop: Header=BB29_2 Depth=1
	v_mov_b32_e32 v72, v60
	v_mov_b32_e32 v70, v53
	s_mov_b32 s9, 0
.LBB29_196:                             ;   Parent Loop BB29_2 Depth=1
                                        ; =>  This Inner Loop Header: Depth=2
	s_delay_alu instid0(VALU_DEP_1) | instskip(NEXT) | instid1(VALU_DEP_1)
	v_sub_nc_u32_e32 v71, v70, v72
	v_lshrrev_b32_e32 v71, 1, v71
	s_delay_alu instid0(VALU_DEP_1) | instskip(NEXT) | instid1(VALU_DEP_1)
	v_add_nc_u32_e32 v71, v71, v72
	v_not_b32_e32 v73, v71
	v_lshl_add_u32 v74, v71, 2, v32
	v_add_nc_u32_e32 v75, 1, v71
	s_delay_alu instid0(VALU_DEP_3)
	v_lshl_add_u32 v73, v73, 2, v46
	ds_load_b32 v74, v74
	ds_load_b32 v73, v73
	s_wait_dscnt 0x0
	v_cmp_lt_i32_e64 s7, v73, v74
	s_wait_alu 0xf1ff
	s_delay_alu instid0(VALU_DEP_1) | instskip(SKIP_1) | instid1(VALU_DEP_1)
	v_cndmask_b32_e64 v70, v70, v71, s7
	v_cndmask_b32_e64 v72, v75, v72, s7
	v_cmp_ge_i32_e64 s7, v72, v70
	s_wait_alu 0xfffe
	s_or_b32 s9, s7, s9
	s_wait_alu 0xfffe
	s_and_not1_b32 exec_lo, exec_lo, s9
	s_cbranch_execnz .LBB29_196
; %bb.197:                              ;   in Loop: Header=BB29_2 Depth=1
	s_or_b32 exec_lo, exec_lo, s9
.LBB29_198:                             ;   in Loop: Header=BB29_2 Depth=1
	s_wait_alu 0xfffe
	s_or_b32 exec_lo, exec_lo, s8
	v_sub_nc_u32_e32 v74, v39, v72
	v_lshl_add_u32 v73, v72, 2, v32
	v_add_nc_u32_e32 v75, v72, v8
                                        ; implicit-def: $vgpr72
	s_delay_alu instid0(VALU_DEP_3) | instskip(SKIP_1) | instid1(VALU_DEP_3)
	v_lshlrev_b32_e32 v76, 2, v74
	v_cmp_gt_i32_e64 s9, v31, v74
	v_cmp_le_i32_e64 s7, v30, v75
	ds_load_b32 v70, v73
	ds_load_b32 v71, v76
	s_wait_dscnt 0x0
	v_cmp_lt_i32_e64 s8, v71, v70
	s_or_b32 s7, s7, s8
	s_wait_alu 0xfffe
	s_and_b32 s7, s9, s7
	s_wait_alu 0xfffe
	s_xor_b32 s8, s7, -1
	s_wait_alu 0xfffe
	s_and_saveexec_b32 s9, s8
	s_wait_alu 0xfffe
	s_xor_b32 s8, exec_lo, s9
; %bb.199:                              ;   in Loop: Header=BB29_2 Depth=1
	ds_load_b32 v72, v73 offset:4
                                        ; implicit-def: $vgpr76
; %bb.200:                              ;   in Loop: Header=BB29_2 Depth=1
	s_wait_alu 0xfffe
	s_or_saveexec_b32 s8, s8
	v_mov_b32_e32 v73, v71
	s_wait_alu 0xfffe
	s_xor_b32 exec_lo, exec_lo, s8
	s_cbranch_execz .LBB29_202
; %bb.201:                              ;   in Loop: Header=BB29_2 Depth=1
	ds_load_b32 v73, v76 offset:4
	s_wait_dscnt 0x1
	v_mov_b32_e32 v72, v70
.LBB29_202:                             ;   in Loop: Header=BB29_2 Depth=1
	s_or_b32 exec_lo, exec_lo, s8
	v_add_nc_u32_e32 v76, 1, v75
	v_add_nc_u32_e32 v77, 1, v74
	s_wait_dscnt 0x0
	v_cmp_lt_i32_e64 s9, v73, v72
	s_delay_alu instid0(VALU_DEP_3) | instskip(NEXT) | instid1(VALU_DEP_3)
	v_cndmask_b32_e64 v78, v76, v75, s7
	v_cndmask_b32_e64 v79, v74, v77, s7
                                        ; implicit-def: $vgpr76
	s_delay_alu instid0(VALU_DEP_2) | instskip(NEXT) | instid1(VALU_DEP_2)
	v_cmp_ge_i32_e64 s8, v78, v30
	v_cmp_lt_i32_e64 s10, v79, v31
	s_or_b32 s8, s8, s9
	s_wait_alu 0xfffe
	s_and_b32 s8, s10, s8
	s_wait_alu 0xfffe
	s_xor_b32 s9, s8, -1
	s_wait_alu 0xfffe
	s_and_saveexec_b32 s10, s9
	s_wait_alu 0xfffe
	s_xor_b32 s9, exec_lo, s10
; %bb.203:                              ;   in Loop: Header=BB29_2 Depth=1
	v_lshlrev_b32_e32 v76, 2, v78
	ds_load_b32 v76, v76 offset:4
; %bb.204:                              ;   in Loop: Header=BB29_2 Depth=1
	s_wait_alu 0xfffe
	s_or_saveexec_b32 s9, s9
	v_mov_b32_e32 v77, v73
	s_wait_alu 0xfffe
	s_xor_b32 exec_lo, exec_lo, s9
	s_cbranch_execz .LBB29_206
; %bb.205:                              ;   in Loop: Header=BB29_2 Depth=1
	s_wait_dscnt 0x0
	v_lshlrev_b32_e32 v76, 2, v79
	ds_load_b32 v77, v76 offset:4
	v_mov_b32_e32 v76, v72
.LBB29_206:                             ;   in Loop: Header=BB29_2 Depth=1
	s_or_b32 exec_lo, exec_lo, s9
	v_add_nc_u32_e32 v80, 1, v78
	v_add_nc_u32_e32 v81, 1, v79
	s_wait_dscnt 0x0
	v_cmp_lt_i32_e64 s10, v77, v76
	s_delay_alu instid0(VALU_DEP_3) | instskip(NEXT) | instid1(VALU_DEP_3)
	v_cndmask_b32_e64 v82, v80, v78, s8
	v_cndmask_b32_e64 v83, v79, v81, s8
                                        ; implicit-def: $vgpr80
	s_delay_alu instid0(VALU_DEP_2) | instskip(NEXT) | instid1(VALU_DEP_2)
	v_cmp_ge_i32_e64 s9, v82, v30
	v_cmp_lt_i32_e64 s11, v83, v31
	s_or_b32 s9, s9, s10
	s_wait_alu 0xfffe
	s_and_b32 s9, s11, s9
	s_wait_alu 0xfffe
	s_xor_b32 s10, s9, -1
	s_wait_alu 0xfffe
	s_and_saveexec_b32 s11, s10
	s_wait_alu 0xfffe
	s_xor_b32 s10, exec_lo, s11
; %bb.207:                              ;   in Loop: Header=BB29_2 Depth=1
	v_lshlrev_b32_e32 v80, 2, v82
	ds_load_b32 v80, v80 offset:4
; %bb.208:                              ;   in Loop: Header=BB29_2 Depth=1
	s_wait_alu 0xfffe
	s_or_saveexec_b32 s10, s10
	v_mov_b32_e32 v81, v77
	s_wait_alu 0xfffe
	s_xor_b32 exec_lo, exec_lo, s10
	s_cbranch_execz .LBB29_210
; %bb.209:                              ;   in Loop: Header=BB29_2 Depth=1
	s_wait_dscnt 0x0
	v_lshlrev_b32_e32 v80, 2, v83
	ds_load_b32 v81, v80 offset:4
	v_mov_b32_e32 v80, v76
.LBB29_210:                             ;   in Loop: Header=BB29_2 Depth=1
	s_or_b32 exec_lo, exec_lo, s10
	v_add_nc_u32_e32 v84, 1, v82
	v_add_nc_u32_e32 v85, 1, v83
	s_wait_dscnt 0x0
	v_cmp_lt_i32_e64 s11, v81, v80
	s_delay_alu instid0(VALU_DEP_3) | instskip(NEXT) | instid1(VALU_DEP_3)
	v_cndmask_b32_e64 v87, v84, v82, s9
	v_cndmask_b32_e64 v88, v83, v85, s9
                                        ; implicit-def: $vgpr84
	s_delay_alu instid0(VALU_DEP_2) | instskip(NEXT) | instid1(VALU_DEP_2)
	v_cmp_ge_i32_e64 s10, v87, v30
	v_cmp_lt_i32_e64 s12, v88, v31
	s_or_b32 s10, s10, s11
	s_wait_alu 0xfffe
	s_and_b32 s10, s12, s10
	s_wait_alu 0xfffe
	s_xor_b32 s11, s10, -1
	s_wait_alu 0xfffe
	s_and_saveexec_b32 s12, s11
	s_wait_alu 0xfffe
	s_xor_b32 s11, exec_lo, s12
; %bb.211:                              ;   in Loop: Header=BB29_2 Depth=1
	v_lshlrev_b32_e32 v84, 2, v87
	ds_load_b32 v84, v84 offset:4
; %bb.212:                              ;   in Loop: Header=BB29_2 Depth=1
	s_wait_alu 0xfffe
	s_or_saveexec_b32 s11, s11
	v_mov_b32_e32 v85, v81
	s_wait_alu 0xfffe
	s_xor_b32 exec_lo, exec_lo, s11
	s_cbranch_execz .LBB29_214
; %bb.213:                              ;   in Loop: Header=BB29_2 Depth=1
	s_wait_dscnt 0x0
	v_lshlrev_b32_e32 v84, 2, v88
	ds_load_b32 v85, v84 offset:4
	v_mov_b32_e32 v84, v80
.LBB29_214:                             ;   in Loop: Header=BB29_2 Depth=1
	s_or_b32 exec_lo, exec_lo, s11
	v_add_nc_u32_e32 v86, 1, v87
	v_add_nc_u32_e32 v89, 1, v88
	s_wait_dscnt 0x0
	v_cmp_lt_i32_e64 s12, v85, v84
	s_delay_alu instid0(VALU_DEP_3) | instskip(NEXT) | instid1(VALU_DEP_3)
	v_cndmask_b32_e64 v90, v86, v87, s10
	v_cndmask_b32_e64 v91, v88, v89, s10
                                        ; implicit-def: $vgpr86
	s_delay_alu instid0(VALU_DEP_2) | instskip(NEXT) | instid1(VALU_DEP_2)
	v_cmp_ge_i32_e64 s11, v90, v30
	v_cmp_lt_i32_e64 s13, v91, v31
	s_or_b32 s11, s11, s12
	s_wait_alu 0xfffe
	s_and_b32 s11, s13, s11
	s_wait_alu 0xfffe
	s_xor_b32 s12, s11, -1
	s_wait_alu 0xfffe
	s_and_saveexec_b32 s13, s12
	s_wait_alu 0xfffe
	s_xor_b32 s12, exec_lo, s13
; %bb.215:                              ;   in Loop: Header=BB29_2 Depth=1
	v_lshlrev_b32_e32 v86, 2, v90
	ds_load_b32 v86, v86 offset:4
; %bb.216:                              ;   in Loop: Header=BB29_2 Depth=1
	s_wait_alu 0xfffe
	s_or_saveexec_b32 s12, s12
	v_mov_b32_e32 v89, v85
	s_wait_alu 0xfffe
	s_xor_b32 exec_lo, exec_lo, s12
	s_cbranch_execz .LBB29_218
; %bb.217:                              ;   in Loop: Header=BB29_2 Depth=1
	s_wait_dscnt 0x0
	v_lshlrev_b32_e32 v86, 2, v91
	ds_load_b32 v89, v86 offset:4
	v_mov_b32_e32 v86, v84
.LBB29_218:                             ;   in Loop: Header=BB29_2 Depth=1
	s_or_b32 exec_lo, exec_lo, s12
	v_add_nc_u32_e32 v92, 1, v90
	v_add_nc_u32_e32 v93, 1, v91
	s_wait_dscnt 0x0
	v_cmp_lt_i32_e64 s13, v89, v86
                                        ; implicit-def: $vgpr94
	s_delay_alu instid0(VALU_DEP_3) | instskip(NEXT) | instid1(VALU_DEP_3)
	v_cndmask_b32_e64 v92, v92, v90, s11
	v_cndmask_b32_e64 v93, v91, v93, s11
	s_delay_alu instid0(VALU_DEP_2) | instskip(NEXT) | instid1(VALU_DEP_2)
	v_cmp_ge_i32_e64 s12, v92, v30
	v_cmp_lt_i32_e64 s14, v93, v31
	s_or_b32 s12, s12, s13
	s_wait_alu 0xfffe
	s_and_b32 s12, s14, s12
	s_wait_alu 0xfffe
	s_xor_b32 s13, s12, -1
	s_wait_alu 0xfffe
	s_and_saveexec_b32 s14, s13
	s_wait_alu 0xfffe
	s_xor_b32 s13, exec_lo, s14
; %bb.219:                              ;   in Loop: Header=BB29_2 Depth=1
	v_lshlrev_b32_e32 v94, 2, v92
	ds_load_b32 v94, v94 offset:4
; %bb.220:                              ;   in Loop: Header=BB29_2 Depth=1
	s_wait_alu 0xfffe
	s_or_saveexec_b32 s13, s13
	v_mov_b32_e32 v96, v89
	s_wait_alu 0xfffe
	s_xor_b32 exec_lo, exec_lo, s13
	s_cbranch_execz .LBB29_222
; %bb.221:                              ;   in Loop: Header=BB29_2 Depth=1
	s_wait_dscnt 0x0
	v_lshlrev_b32_e32 v94, 2, v93
	ds_load_b32 v96, v94 offset:4
	v_mov_b32_e32 v94, v86
.LBB29_222:                             ;   in Loop: Header=BB29_2 Depth=1
	s_or_b32 exec_lo, exec_lo, s13
	v_add_nc_u32_e32 v95, 1, v92
	v_add_nc_u32_e32 v97, 1, v93
	s_wait_dscnt 0x0
	v_cmp_lt_i32_e64 s14, v96, v94
	s_delay_alu instid0(VALU_DEP_3) | instskip(NEXT) | instid1(VALU_DEP_3)
	v_cndmask_b32_e64 v98, v95, v92, s12
	v_cndmask_b32_e64 v97, v93, v97, s12
                                        ; implicit-def: $vgpr95
	s_delay_alu instid0(VALU_DEP_2) | instskip(NEXT) | instid1(VALU_DEP_2)
	v_cmp_ge_i32_e64 s13, v98, v30
	v_cmp_lt_i32_e64 s15, v97, v31
	s_or_b32 s13, s13, s14
	s_wait_alu 0xfffe
	s_and_b32 s13, s15, s13
	s_wait_alu 0xfffe
	s_xor_b32 s14, s13, -1
	s_wait_alu 0xfffe
	s_and_saveexec_b32 s15, s14
	s_wait_alu 0xfffe
	s_xor_b32 s14, exec_lo, s15
; %bb.223:                              ;   in Loop: Header=BB29_2 Depth=1
	v_lshlrev_b32_e32 v95, 2, v98
	ds_load_b32 v95, v95 offset:4
; %bb.224:                              ;   in Loop: Header=BB29_2 Depth=1
	s_wait_alu 0xfffe
	s_or_saveexec_b32 s14, s14
	v_mov_b32_e32 v99, v96
	s_wait_alu 0xfffe
	s_xor_b32 exec_lo, exec_lo, s14
	s_cbranch_execz .LBB29_226
; %bb.225:                              ;   in Loop: Header=BB29_2 Depth=1
	s_wait_dscnt 0x0
	v_lshlrev_b32_e32 v95, 2, v97
	ds_load_b32 v99, v95 offset:4
	v_mov_b32_e32 v95, v94
.LBB29_226:                             ;   in Loop: Header=BB29_2 Depth=1
	s_or_b32 exec_lo, exec_lo, s14
	v_add_nc_u32_e32 v100, 1, v98
	v_cndmask_b32_e64 v94, v94, v96, s13
	v_add_nc_u32_e32 v96, 1, v97
	v_cndmask_b32_e64 v92, v92, v93, s12
	v_cndmask_b32_e64 v90, v90, v91, s11
	;; [unrolled: 1-line block ×5, first 2 shown]
	s_wait_dscnt 0x0
	v_cmp_lt_i32_e64 s13, v99, v95
	v_cndmask_b32_e64 v74, v75, v74, s7
	v_cmp_ge_i32_e64 s14, v93, v30
	v_cndmask_b32_e64 v78, v78, v79, s8
	v_cmp_lt_i32_e64 s15, v91, v31
	v_cndmask_b32_e64 v82, v82, v83, s9
	v_cndmask_b32_e64 v87, v87, v88, s10
	s_or_b32 s13, s14, s13
	s_wait_loadcnt 0x0
	s_wait_alu 0xfffe
	s_and_b32 s13, s15, s13
	s_barrier_signal -1
	s_wait_alu 0xfffe
	v_cndmask_b32_e64 v79, v93, v91, s13
	s_barrier_wait -1
	global_inv scope:SCOPE_SE
	ds_store_2addr_b32 v1, v62, v63 offset1:1
	ds_store_2addr_b32 v1, v64, v65 offset0:2 offset1:3
	ds_store_2addr_b32 v1, v66, v67 offset0:4 offset1:5
	;; [unrolled: 1-line block ×3, first 2 shown]
	v_lshlrev_b32_e32 v62, 2, v74
	v_lshlrev_b32_e32 v63, 2, v78
	;; [unrolled: 1-line block ×8, first 2 shown]
	s_wait_loadcnt_dscnt 0x0
	s_barrier_signal -1
	s_barrier_wait -1
	global_inv scope:SCOPE_SE
	ds_load_b32 v62, v62
	ds_load_b32 v63, v63
	;; [unrolled: 1-line block ×8, first 2 shown]
	v_cndmask_b32_e64 v72, v72, v73, s8
	v_cndmask_b32_e64 v70, v70, v71, s7
	;; [unrolled: 1-line block ×7, first 2 shown]
	s_wait_loadcnt_dscnt 0x0
	s_barrier_signal -1
	s_barrier_wait -1
	global_inv scope:SCOPE_SE
	ds_store_2addr_b32 v1, v70, v72 offset1:1
	ds_store_2addr_b32 v1, v76, v79 offset0:2 offset1:3
	ds_store_2addr_b32 v1, v78, v74 offset0:4 offset1:5
	;; [unrolled: 1-line block ×3, first 2 shown]
	v_mov_b32_e32 v70, v9
	s_wait_loadcnt_dscnt 0x0
	s_barrier_signal -1
	s_barrier_wait -1
	global_inv scope:SCOPE_SE
	s_and_saveexec_b32 s8, vcc_lo
	s_cbranch_execz .LBB29_230
; %bb.227:                              ;   in Loop: Header=BB29_2 Depth=1
	v_dual_mov_b32 v70, v9 :: v_dual_mov_b32 v71, v10
	s_mov_b32 s9, 0
.LBB29_228:                             ;   Parent Loop BB29_2 Depth=1
                                        ; =>  This Inner Loop Header: Depth=2
	s_delay_alu instid0(VALU_DEP_1) | instskip(NEXT) | instid1(VALU_DEP_1)
	v_sub_nc_u32_e32 v72, v71, v70
	v_lshrrev_b32_e32 v72, 1, v72
	s_delay_alu instid0(VALU_DEP_1) | instskip(NEXT) | instid1(VALU_DEP_1)
	v_add_nc_u32_e32 v72, v72, v70
	v_not_b32_e32 v73, v72
	v_lshlrev_b32_e32 v74, 2, v72
	v_add_nc_u32_e32 v75, 1, v72
	s_delay_alu instid0(VALU_DEP_3)
	v_lshl_add_u32 v73, v73, 2, v61
	ds_load_b32 v74, v74
	ds_load_b32 v73, v73
	s_wait_dscnt 0x0
	v_cmp_lt_i32_e64 s7, v73, v74
	s_wait_alu 0xf1ff
	s_delay_alu instid0(VALU_DEP_1) | instskip(SKIP_1) | instid1(VALU_DEP_1)
	v_cndmask_b32_e64 v71, v71, v72, s7
	v_cndmask_b32_e64 v70, v75, v70, s7
	v_cmp_ge_i32_e64 s7, v70, v71
	s_wait_alu 0xfffe
	s_or_b32 s9, s7, s9
	s_wait_alu 0xfffe
	s_and_not1_b32 exec_lo, exec_lo, s9
	s_cbranch_execnz .LBB29_228
; %bb.229:                              ;   in Loop: Header=BB29_2 Depth=1
	s_or_b32 exec_lo, exec_lo, s9
.LBB29_230:                             ;   in Loop: Header=BB29_2 Depth=1
	s_wait_alu 0xfffe
	s_or_b32 exec_lo, exec_lo, s8
	v_sub_nc_u32_e32 v75, v11, v70
	v_lshlrev_b32_e32 v74, 2, v70
	v_cmp_le_i32_e64 s7, 0x400, v70
                                        ; implicit-def: $vgpr73
	s_delay_alu instid0(VALU_DEP_3)
	v_lshlrev_b32_e32 v76, 2, v75
	v_cmp_gt_i32_e64 s9, 0x800, v75
	ds_load_b32 v71, v74
	ds_load_b32 v72, v76
	s_wait_dscnt 0x0
	v_cmp_lt_i32_e64 s8, v72, v71
	s_or_b32 s7, s7, s8
	s_wait_alu 0xfffe
	s_and_b32 s7, s9, s7
	s_wait_alu 0xfffe
	s_xor_b32 s8, s7, -1
	s_wait_alu 0xfffe
	s_and_saveexec_b32 s9, s8
	s_wait_alu 0xfffe
	s_xor_b32 s8, exec_lo, s9
; %bb.231:                              ;   in Loop: Header=BB29_2 Depth=1
	ds_load_b32 v73, v74 offset:4
                                        ; implicit-def: $vgpr76
; %bb.232:                              ;   in Loop: Header=BB29_2 Depth=1
	s_wait_alu 0xfffe
	s_or_saveexec_b32 s8, s8
	v_mov_b32_e32 v74, v72
	s_wait_alu 0xfffe
	s_xor_b32 exec_lo, exec_lo, s8
	s_cbranch_execz .LBB29_234
; %bb.233:                              ;   in Loop: Header=BB29_2 Depth=1
	ds_load_b32 v74, v76 offset:4
	s_wait_dscnt 0x1
	v_mov_b32_e32 v73, v71
.LBB29_234:                             ;   in Loop: Header=BB29_2 Depth=1
	s_or_b32 exec_lo, exec_lo, s8
	v_add_nc_u32_e32 v76, 1, v70
	v_add_nc_u32_e32 v77, 1, v75
	s_wait_dscnt 0x0
	v_cmp_lt_i32_e64 s9, v74, v73
	s_delay_alu instid0(VALU_DEP_3) | instskip(NEXT) | instid1(VALU_DEP_3)
	v_cndmask_b32_e64 v78, v76, v70, s7
	v_cndmask_b32_e64 v79, v75, v77, s7
                                        ; implicit-def: $vgpr76
	s_delay_alu instid0(VALU_DEP_2) | instskip(NEXT) | instid1(VALU_DEP_2)
	v_cmp_le_i32_e64 s8, 0x400, v78
	v_cmp_gt_i32_e64 s10, 0x800, v79
	s_or_b32 s8, s8, s9
	s_wait_alu 0xfffe
	s_and_b32 s8, s10, s8
	s_wait_alu 0xfffe
	s_xor_b32 s9, s8, -1
	s_wait_alu 0xfffe
	s_and_saveexec_b32 s10, s9
	s_wait_alu 0xfffe
	s_xor_b32 s9, exec_lo, s10
; %bb.235:                              ;   in Loop: Header=BB29_2 Depth=1
	v_lshlrev_b32_e32 v76, 2, v78
	ds_load_b32 v76, v76 offset:4
; %bb.236:                              ;   in Loop: Header=BB29_2 Depth=1
	s_wait_alu 0xfffe
	s_or_saveexec_b32 s9, s9
	v_mov_b32_e32 v77, v74
	s_wait_alu 0xfffe
	s_xor_b32 exec_lo, exec_lo, s9
	s_cbranch_execz .LBB29_238
; %bb.237:                              ;   in Loop: Header=BB29_2 Depth=1
	s_wait_dscnt 0x0
	v_lshlrev_b32_e32 v76, 2, v79
	ds_load_b32 v77, v76 offset:4
	v_mov_b32_e32 v76, v73
.LBB29_238:                             ;   in Loop: Header=BB29_2 Depth=1
	s_or_b32 exec_lo, exec_lo, s9
	v_add_nc_u32_e32 v80, 1, v78
	v_add_nc_u32_e32 v81, 1, v79
	s_wait_dscnt 0x0
	v_cmp_lt_i32_e64 s10, v77, v76
	s_delay_alu instid0(VALU_DEP_3) | instskip(NEXT) | instid1(VALU_DEP_3)
	v_cndmask_b32_e64 v82, v80, v78, s8
	v_cndmask_b32_e64 v83, v79, v81, s8
                                        ; implicit-def: $vgpr80
	s_delay_alu instid0(VALU_DEP_2) | instskip(NEXT) | instid1(VALU_DEP_2)
	v_cmp_le_i32_e64 s9, 0x400, v82
	v_cmp_gt_i32_e64 s11, 0x800, v83
	s_or_b32 s9, s9, s10
	s_wait_alu 0xfffe
	s_and_b32 s9, s11, s9
	s_wait_alu 0xfffe
	s_xor_b32 s10, s9, -1
	s_wait_alu 0xfffe
	s_and_saveexec_b32 s11, s10
	s_wait_alu 0xfffe
	s_xor_b32 s10, exec_lo, s11
; %bb.239:                              ;   in Loop: Header=BB29_2 Depth=1
	v_lshlrev_b32_e32 v80, 2, v82
	ds_load_b32 v80, v80 offset:4
; %bb.240:                              ;   in Loop: Header=BB29_2 Depth=1
	s_wait_alu 0xfffe
	s_or_saveexec_b32 s10, s10
	v_mov_b32_e32 v81, v77
	s_wait_alu 0xfffe
	s_xor_b32 exec_lo, exec_lo, s10
	s_cbranch_execz .LBB29_242
; %bb.241:                              ;   in Loop: Header=BB29_2 Depth=1
	s_wait_dscnt 0x0
	v_lshlrev_b32_e32 v80, 2, v83
	ds_load_b32 v81, v80 offset:4
	v_mov_b32_e32 v80, v76
.LBB29_242:                             ;   in Loop: Header=BB29_2 Depth=1
	s_or_b32 exec_lo, exec_lo, s10
	v_add_nc_u32_e32 v84, 1, v82
	v_add_nc_u32_e32 v85, 1, v83
	s_wait_dscnt 0x0
	v_cmp_lt_i32_e64 s11, v81, v80
	s_delay_alu instid0(VALU_DEP_3) | instskip(NEXT) | instid1(VALU_DEP_3)
	v_cndmask_b32_e64 v86, v84, v82, s9
	v_cndmask_b32_e64 v87, v83, v85, s9
                                        ; implicit-def: $vgpr84
	s_delay_alu instid0(VALU_DEP_2) | instskip(NEXT) | instid1(VALU_DEP_2)
	v_cmp_le_i32_e64 s10, 0x400, v86
	v_cmp_gt_i32_e64 s12, 0x800, v87
	s_or_b32 s10, s10, s11
	s_wait_alu 0xfffe
	s_and_b32 s10, s12, s10
	s_wait_alu 0xfffe
	s_xor_b32 s11, s10, -1
	s_wait_alu 0xfffe
	s_and_saveexec_b32 s12, s11
	s_wait_alu 0xfffe
	s_xor_b32 s11, exec_lo, s12
; %bb.243:                              ;   in Loop: Header=BB29_2 Depth=1
	v_lshlrev_b32_e32 v84, 2, v86
	ds_load_b32 v84, v84 offset:4
; %bb.244:                              ;   in Loop: Header=BB29_2 Depth=1
	s_wait_alu 0xfffe
	s_or_saveexec_b32 s11, s11
	v_mov_b32_e32 v85, v81
	s_wait_alu 0xfffe
	s_xor_b32 exec_lo, exec_lo, s11
	s_cbranch_execz .LBB29_246
; %bb.245:                              ;   in Loop: Header=BB29_2 Depth=1
	s_wait_dscnt 0x0
	v_lshlrev_b32_e32 v84, 2, v87
	ds_load_b32 v85, v84 offset:4
	v_mov_b32_e32 v84, v80
.LBB29_246:                             ;   in Loop: Header=BB29_2 Depth=1
	s_or_b32 exec_lo, exec_lo, s11
	v_add_nc_u32_e32 v88, 1, v86
	v_add_nc_u32_e32 v89, 1, v87
	s_wait_dscnt 0x0
	v_cmp_lt_i32_e64 s12, v85, v84
	s_delay_alu instid0(VALU_DEP_3) | instskip(NEXT) | instid1(VALU_DEP_3)
	v_cndmask_b32_e64 v91, v88, v86, s10
	v_cndmask_b32_e64 v92, v87, v89, s10
                                        ; implicit-def: $vgpr88
	s_delay_alu instid0(VALU_DEP_2) | instskip(NEXT) | instid1(VALU_DEP_2)
	v_cmp_le_i32_e64 s11, 0x400, v91
	v_cmp_gt_i32_e64 s13, 0x800, v92
	s_or_b32 s11, s11, s12
	s_wait_alu 0xfffe
	s_and_b32 s11, s13, s11
	s_wait_alu 0xfffe
	s_xor_b32 s12, s11, -1
	s_wait_alu 0xfffe
	s_and_saveexec_b32 s13, s12
	s_wait_alu 0xfffe
	s_xor_b32 s12, exec_lo, s13
; %bb.247:                              ;   in Loop: Header=BB29_2 Depth=1
	v_lshlrev_b32_e32 v88, 2, v91
	ds_load_b32 v88, v88 offset:4
; %bb.248:                              ;   in Loop: Header=BB29_2 Depth=1
	s_wait_alu 0xfffe
	s_or_saveexec_b32 s12, s12
	v_mov_b32_e32 v89, v85
	s_wait_alu 0xfffe
	s_xor_b32 exec_lo, exec_lo, s12
	s_cbranch_execz .LBB29_250
; %bb.249:                              ;   in Loop: Header=BB29_2 Depth=1
	s_wait_dscnt 0x0
	v_lshlrev_b32_e32 v88, 2, v92
	ds_load_b32 v89, v88 offset:4
	v_mov_b32_e32 v88, v84
.LBB29_250:                             ;   in Loop: Header=BB29_2 Depth=1
	s_or_b32 exec_lo, exec_lo, s12
	v_add_nc_u32_e32 v90, 1, v91
	v_add_nc_u32_e32 v93, 1, v92
	s_wait_dscnt 0x0
	v_cmp_lt_i32_e64 s13, v89, v88
	s_delay_alu instid0(VALU_DEP_3) | instskip(NEXT) | instid1(VALU_DEP_3)
	v_cndmask_b32_e64 v94, v90, v91, s11
	v_cndmask_b32_e64 v95, v92, v93, s11
                                        ; implicit-def: $vgpr90
	s_delay_alu instid0(VALU_DEP_2) | instskip(NEXT) | instid1(VALU_DEP_2)
	v_cmp_le_i32_e64 s12, 0x400, v94
	v_cmp_gt_i32_e64 s14, 0x800, v95
	s_or_b32 s12, s12, s13
	s_wait_alu 0xfffe
	s_and_b32 s12, s14, s12
	s_wait_alu 0xfffe
	s_xor_b32 s13, s12, -1
	s_wait_alu 0xfffe
	s_and_saveexec_b32 s14, s13
	s_wait_alu 0xfffe
	s_xor_b32 s13, exec_lo, s14
; %bb.251:                              ;   in Loop: Header=BB29_2 Depth=1
	v_lshlrev_b32_e32 v90, 2, v94
	ds_load_b32 v90, v90 offset:4
; %bb.252:                              ;   in Loop: Header=BB29_2 Depth=1
	s_wait_alu 0xfffe
	s_or_saveexec_b32 s13, s13
	v_mov_b32_e32 v93, v89
	s_wait_alu 0xfffe
	s_xor_b32 exec_lo, exec_lo, s13
	s_cbranch_execz .LBB29_254
; %bb.253:                              ;   in Loop: Header=BB29_2 Depth=1
	s_wait_dscnt 0x0
	v_lshlrev_b32_e32 v90, 2, v95
	ds_load_b32 v93, v90 offset:4
	v_mov_b32_e32 v90, v88
.LBB29_254:                             ;   in Loop: Header=BB29_2 Depth=1
	s_or_b32 exec_lo, exec_lo, s13
	v_add_nc_u32_e32 v96, 1, v94
	v_add_nc_u32_e32 v97, 1, v95
	s_wait_dscnt 0x0
	v_cmp_lt_i32_e64 s14, v93, v90
                                        ; implicit-def: $vgpr99
                                        ; implicit-def: $vgpr98
	s_delay_alu instid0(VALU_DEP_3) | instskip(NEXT) | instid1(VALU_DEP_3)
	v_cndmask_b32_e64 v100, v96, v94, s12
	v_cndmask_b32_e64 v96, v95, v97, s12
	s_delay_alu instid0(VALU_DEP_2) | instskip(NEXT) | instid1(VALU_DEP_2)
	v_cmp_le_i32_e64 s13, 0x400, v100
	v_cmp_gt_i32_e64 s15, 0x800, v96
	s_or_b32 s13, s13, s14
	s_wait_alu 0xfffe
	s_and_b32 s13, s15, s13
	s_wait_alu 0xfffe
	s_xor_b32 s14, s13, -1
	s_wait_alu 0xfffe
	s_and_saveexec_b32 s15, s14
	s_wait_alu 0xfffe
	s_xor_b32 s14, exec_lo, s15
; %bb.255:                              ;   in Loop: Header=BB29_2 Depth=1
	v_lshlrev_b32_e32 v97, 2, v100
	v_add_nc_u32_e32 v98, 1, v100
	ds_load_b32 v99, v97 offset:4
; %bb.256:                              ;   in Loop: Header=BB29_2 Depth=1
	s_wait_alu 0xfffe
	s_or_saveexec_b32 s14, s14
	v_mov_b32_e32 v97, v100
	v_mov_b32_e32 v101, v93
	s_wait_alu 0xfffe
	s_xor_b32 exec_lo, exec_lo, s14
	s_cbranch_execz .LBB29_1
; %bb.257:                              ;   in Loop: Header=BB29_2 Depth=1
	v_dual_mov_b32 v98, v100 :: v_dual_lshlrev_b32 v97, 2, v96
	s_wait_dscnt 0x0
	v_add_nc_u32_e32 v99, 1, v96
	ds_load_b32 v101, v97 offset:4
	v_dual_mov_b32 v97, v96 :: v_dual_mov_b32 v96, v99
	v_mov_b32_e32 v99, v90
	s_branch .LBB29_1
.LBB29_258:
	s_wait_dscnt 0x7
	v_add_nc_u32_e32 v1, v78, v65
	v_lshlrev_b32_e32 v0, 2, v0
	s_wait_dscnt 0x6
	v_add_nc_u32_e32 v2, v79, v68
	s_wait_dscnt 0x5
	v_add_nc_u32_e32 v3, v73, v66
	;; [unrolled: 2-line block ×3, first 2 shown]
	s_add_nc_u64 s[0:1], s[46:47], s[48:49]
	s_wait_dscnt 0x3
	v_add_nc_u32_e32 v5, v74, v67
	s_wait_dscnt 0x2
	v_add_nc_u32_e32 v6, v72, v64
	;; [unrolled: 2-line block ×4, first 2 shown]
	s_clause 0x7
	global_store_b32 v0, v1, s[0:1]
	global_store_b32 v0, v2, s[0:1] offset:1024
	global_store_b32 v0, v3, s[0:1] offset:2048
	;; [unrolled: 1-line block ×7, first 2 shown]
	s_nop 0
	s_sendmsg sendmsg(MSG_DEALLOC_VGPRS)
	s_endpgm
	.section	.rodata,"a",@progbits
	.p2align	6, 0x0
	.amdhsa_kernel _Z17sort_pairs_kernelIiLj256ELj8EN10test_utils4lessELj10EEvPKT_PS2_T2_
		.amdhsa_group_segment_fixed_size 8196
		.amdhsa_private_segment_fixed_size 0
		.amdhsa_kernarg_size 20
		.amdhsa_user_sgpr_count 2
		.amdhsa_user_sgpr_dispatch_ptr 0
		.amdhsa_user_sgpr_queue_ptr 0
		.amdhsa_user_sgpr_kernarg_segment_ptr 1
		.amdhsa_user_sgpr_dispatch_id 0
		.amdhsa_user_sgpr_private_segment_size 0
		.amdhsa_wavefront_size32 1
		.amdhsa_uses_dynamic_stack 0
		.amdhsa_enable_private_segment 0
		.amdhsa_system_sgpr_workgroup_id_x 1
		.amdhsa_system_sgpr_workgroup_id_y 0
		.amdhsa_system_sgpr_workgroup_id_z 0
		.amdhsa_system_sgpr_workgroup_info 0
		.amdhsa_system_vgpr_workitem_id 0
		.amdhsa_next_free_vgpr 102
		.amdhsa_next_free_sgpr 52
		.amdhsa_reserve_vcc 1
		.amdhsa_float_round_mode_32 0
		.amdhsa_float_round_mode_16_64 0
		.amdhsa_float_denorm_mode_32 3
		.amdhsa_float_denorm_mode_16_64 3
		.amdhsa_fp16_overflow 0
		.amdhsa_workgroup_processor_mode 1
		.amdhsa_memory_ordered 1
		.amdhsa_forward_progress 1
		.amdhsa_inst_pref_size 125
		.amdhsa_round_robin_scheduling 0
		.amdhsa_exception_fp_ieee_invalid_op 0
		.amdhsa_exception_fp_denorm_src 0
		.amdhsa_exception_fp_ieee_div_zero 0
		.amdhsa_exception_fp_ieee_overflow 0
		.amdhsa_exception_fp_ieee_underflow 0
		.amdhsa_exception_fp_ieee_inexact 0
		.amdhsa_exception_int_div_zero 0
	.end_amdhsa_kernel
	.section	.text._Z17sort_pairs_kernelIiLj256ELj8EN10test_utils4lessELj10EEvPKT_PS2_T2_,"axG",@progbits,_Z17sort_pairs_kernelIiLj256ELj8EN10test_utils4lessELj10EEvPKT_PS2_T2_,comdat
.Lfunc_end29:
	.size	_Z17sort_pairs_kernelIiLj256ELj8EN10test_utils4lessELj10EEvPKT_PS2_T2_, .Lfunc_end29-_Z17sort_pairs_kernelIiLj256ELj8EN10test_utils4lessELj10EEvPKT_PS2_T2_
                                        ; -- End function
	.set _Z17sort_pairs_kernelIiLj256ELj8EN10test_utils4lessELj10EEvPKT_PS2_T2_.num_vgpr, 102
	.set _Z17sort_pairs_kernelIiLj256ELj8EN10test_utils4lessELj10EEvPKT_PS2_T2_.num_agpr, 0
	.set _Z17sort_pairs_kernelIiLj256ELj8EN10test_utils4lessELj10EEvPKT_PS2_T2_.numbered_sgpr, 52
	.set _Z17sort_pairs_kernelIiLj256ELj8EN10test_utils4lessELj10EEvPKT_PS2_T2_.num_named_barrier, 0
	.set _Z17sort_pairs_kernelIiLj256ELj8EN10test_utils4lessELj10EEvPKT_PS2_T2_.private_seg_size, 0
	.set _Z17sort_pairs_kernelIiLj256ELj8EN10test_utils4lessELj10EEvPKT_PS2_T2_.uses_vcc, 1
	.set _Z17sort_pairs_kernelIiLj256ELj8EN10test_utils4lessELj10EEvPKT_PS2_T2_.uses_flat_scratch, 0
	.set _Z17sort_pairs_kernelIiLj256ELj8EN10test_utils4lessELj10EEvPKT_PS2_T2_.has_dyn_sized_stack, 0
	.set _Z17sort_pairs_kernelIiLj256ELj8EN10test_utils4lessELj10EEvPKT_PS2_T2_.has_recursion, 0
	.set _Z17sort_pairs_kernelIiLj256ELj8EN10test_utils4lessELj10EEvPKT_PS2_T2_.has_indirect_call, 0
	.section	.AMDGPU.csdata,"",@progbits
; Kernel info:
; codeLenInByte = 15980
; TotalNumSgprs: 54
; NumVgprs: 102
; ScratchSize: 0
; MemoryBound: 0
; FloatMode: 240
; IeeeMode: 1
; LDSByteSize: 8196 bytes/workgroup (compile time only)
; SGPRBlocks: 0
; VGPRBlocks: 12
; NumSGPRsForWavesPerEU: 54
; NumVGPRsForWavesPerEU: 102
; Occupancy: 12
; WaveLimiterHint : 1
; COMPUTE_PGM_RSRC2:SCRATCH_EN: 0
; COMPUTE_PGM_RSRC2:USER_SGPR: 2
; COMPUTE_PGM_RSRC2:TRAP_HANDLER: 0
; COMPUTE_PGM_RSRC2:TGID_X_EN: 1
; COMPUTE_PGM_RSRC2:TGID_Y_EN: 0
; COMPUTE_PGM_RSRC2:TGID_Z_EN: 0
; COMPUTE_PGM_RSRC2:TIDIG_COMP_CNT: 0
	.section	.text._Z16sort_keys_kernelIiLj512ELj1EN10test_utils4lessELj10EEvPKT_PS2_T2_,"axG",@progbits,_Z16sort_keys_kernelIiLj512ELj1EN10test_utils4lessELj10EEvPKT_PS2_T2_,comdat
	.protected	_Z16sort_keys_kernelIiLj512ELj1EN10test_utils4lessELj10EEvPKT_PS2_T2_ ; -- Begin function _Z16sort_keys_kernelIiLj512ELj1EN10test_utils4lessELj10EEvPKT_PS2_T2_
	.globl	_Z16sort_keys_kernelIiLj512ELj1EN10test_utils4lessELj10EEvPKT_PS2_T2_
	.p2align	8
	.type	_Z16sort_keys_kernelIiLj512ELj1EN10test_utils4lessELj10EEvPKT_PS2_T2_,@function
_Z16sort_keys_kernelIiLj512ELj1EN10test_utils4lessELj10EEvPKT_PS2_T2_: ; @_Z16sort_keys_kernelIiLj512ELj1EN10test_utils4lessELj10EEvPKT_PS2_T2_
; %bb.0:
	s_load_b128 s[12:15], s[0:1], 0x0
	s_lshl_b32 s10, ttmp9, 9
	s_mov_b32 s11, 0
	v_lshlrev_b32_e32 v1, 2, v0
	s_lshl_b64 s[16:17], s[10:11], 2
	v_and_b32_e32 v34, 0x1c0, v0
	v_and_b32_e32 v63, 63, v0
	v_and_b32_e32 v19, 0x1f8, v0
	v_and_b32_e32 v46, 0x180, v0
	v_and_b32_e32 v13, 0x1fc, v0
	v_or_b32_e32 v61, 32, v34
	v_add_nc_u32_e32 v27, 64, v34
	v_or_b32_e32 v55, 4, v19
	v_add_nc_u32_e32 v9, 8, v19
	v_and_b32_e32 v25, 0x1f0, v0
	v_and_b32_e32 v31, 0x1e0, v0
	v_sub_nc_u32_e32 v35, v27, v61
	v_and_b32_e32 v48, 0x100, v0
	v_or_b32_e32 v64, 64, v46
	v_or_b32_e32 v54, 2, v13
	s_wait_kmcnt 0x0
	s_add_nc_u64 s[0:1], s[12:13], s[16:17]
	v_sub_nc_u32_e32 v36, v63, v35
	global_load_b32 v62, v1, s[0:1]
	v_cmp_ge_i32_e64 s4, v63, v35
	v_add_nc_u32_e32 v4, 4, v13
	v_and_b32_e32 v56, 7, v0
	v_sub_nc_u32_e32 v16, v9, v55
	v_or_b32_e32 v57, 8, v25
	v_cndmask_b32_e64 v35, 0, v36, s4
	v_add_nc_u32_e32 v36, 0x80, v46
	v_add_nc_u32_e32 v15, 16, v25
	v_or_b32_e32 v59, 16, v31
	v_add_nc_u32_e32 v21, 32, v31
	v_or_b32_e32 v65, 0x80, v48
	v_add_nc_u32_e32 v38, 0x100, v48
	v_and_b32_e32 v66, 0x7f, v0
	v_sub_nc_u32_e32 v42, v36, v64
	v_and_b32_e32 v7, 0x1fe, v0
	v_and_b32_e32 v52, 1, v0
	;; [unrolled: 1-line block ×3, first 2 shown]
	v_sub_nc_u32_e32 v10, v4, v54
	v_sub_nc_u32_e32 v17, v56, v16
	;; [unrolled: 1-line block ×3, first 2 shown]
	v_cmp_ge_i32_e64 s1, v56, v16
	v_and_b32_e32 v58, 15, v0
	v_sub_nc_u32_e32 v22, v15, v57
	v_and_b32_e32 v60, 31, v0
	v_sub_nc_u32_e32 v28, v21, v59
	;; [unrolled: 2-line block ×3, first 2 shown]
	v_sub_nc_u32_e32 v43, v66, v42
	v_cmp_ge_i32_e64 s5, v66, v42
	v_or_b32_e32 v2, 1, v7
	v_add_nc_u32_e32 v5, -1, v52
	v_cmp_lt_i32_e32 vcc_lo, 0, v52
	v_sub_nc_u32_e32 v11, v53, v10
	v_sub_nc_u32_e32 v8, v54, v13
	v_cmp_ge_i32_e64 s0, v53, v10
	v_cndmask_b32_e64 v16, 0, v17, s1
	v_min_i32_e32 v17, v56, v14
	v_sub_nc_u32_e32 v23, v58, v22
	v_sub_nc_u32_e32 v20, v57, v25
	v_cmp_ge_i32_e64 s2, v58, v22
	v_add_nc_u32_e32 v24, v55, v56
	v_sub_nc_u32_e32 v29, v60, v28
	v_sub_nc_u32_e32 v26, v59, v31
	v_cmp_ge_i32_e64 s3, v60, v28
	v_sub_nc_u32_e32 v33, v61, v34
	v_sub_nc_u32_e32 v40, v64, v46
	;; [unrolled: 1-line block ×4, first 2 shown]
	s_wait_alu 0xf1ff
	v_cndmask_b32_e64 v42, 0, v43, s5
	v_cmp_ge_i32_e64 s5, v67, v44
	v_lshlrev_b32_e32 v56, 2, v56
	v_sub_nc_u32_e32 v3, v2, v7
	v_cndmask_b32_e32 v5, 0, v5, vcc_lo
	v_cndmask_b32_e64 v10, 0, v11, s0
	v_min_i32_e32 v11, v53, v8
	v_cndmask_b32_e64 v22, 0, v23, s2
	v_min_i32_e32 v23, v58, v20
	;; [unrolled: 2-line block ×3, first 2 shown]
	v_add_nc_u32_e32 v30, v57, v58
	v_add_nc_u32_e32 v32, v59, v60
	v_min_i32_e32 v37, v63, v33
	v_add_nc_u32_e32 v39, v61, v63
	v_min_i32_e32 v43, v66, v40
	s_wait_alu 0xf1ff
	v_cndmask_b32_e64 v44, 0, v45, s5
	v_min_i32_e32 v45, v67, v41
	v_add_nc_u32_e32 v47, v64, v66
	v_subrev_nc_u32_e64 v49, 0x100, v0 clamp
	v_min_i32_e32 v50, 0x100, v0
	v_lshlrev_b32_e32 v68, 2, v52
	v_lshlrev_b32_e32 v69, 2, v53
	v_lshl_add_u32 v55, v55, 2, v56
	v_lshlrev_b32_e32 v56, 2, v58
	v_lshlrev_b32_e32 v58, 2, v60
	;; [unrolled: 1-line block ×5, first 2 shown]
	v_min_i32_e32 v6, v52, v3
	v_lshlrev_b32_e32 v7, 2, v7
	v_add_nc_u32_e32 v12, v2, v52
	v_lshlrev_b32_e32 v13, 2, v13
	v_cmp_lt_i32_e64 s0, v10, v11
	v_add_nc_u32_e32 v18, v54, v53
	v_lshlrev_b32_e32 v19, 2, v19
	v_cmp_lt_i32_e64 s1, v16, v17
	v_lshlrev_b32_e32 v25, 2, v25
	v_cmp_lt_i32_e64 s2, v22, v23
	;; [unrolled: 2-line block ×6, first 2 shown]
	v_add_nc_u32_e32 v51, v65, v67
	v_cmp_lt_i32_e64 s7, v49, v50
	v_add_nc_u32_e32 v52, 0x100, v0
	v_lshl_add_u32 v53, v2, 2, v68
	v_lshl_add_u32 v54, v54, 2, v69
	v_lshl_add_u32 v56, v57, 2, v56
	v_lshl_add_u32 v57, v59, 2, v58
	v_lshl_add_u32 v58, v61, 2, v60
	v_lshl_add_u32 v59, v64, 2, v63
	v_lshl_add_u32 v60, v65, 2, v66
	v_add_nc_u32_e32 v61, 0x400, v1
	v_cmp_lt_i32_e32 vcc_lo, v5, v6
	s_branch .LBB30_2
.LBB30_1:                               ;   in Loop: Header=BB30_2 Depth=1
	s_wait_alu 0xfffe
	s_or_b32 exec_lo, exec_lo, s9
	v_sub_nc_u32_e32 v63, v52, v62
	v_lshlrev_b32_e32 v64, 2, v62
	v_cmp_le_i32_e64 s8, 0x100, v62
	s_add_co_i32 s11, s11, 1
	v_lshlrev_b32_e32 v65, 2, v63
	v_cmp_gt_i32_e64 s10, 0x200, v63
	ds_load_b32 v64, v64
	ds_load_b32 v65, v65
	s_wait_dscnt 0x0
	v_cmp_lt_i32_e64 s9, v65, v64
	s_or_b32 s8, s8, s9
	s_wait_alu 0xfffe
	s_and_b32 s8, s10, s8
	s_cmp_eq_u32 s11, 10
	s_wait_alu 0xfffe
	v_cndmask_b32_e64 v62, v64, v65, s8
	s_cbranch_scc1 .LBB30_38
.LBB30_2:                               ; =>This Loop Header: Depth=1
                                        ;     Child Loop BB30_4 Depth 2
                                        ;     Child Loop BB30_8 Depth 2
                                        ;     Child Loop BB30_12 Depth 2
                                        ;     Child Loop BB30_16 Depth 2
                                        ;     Child Loop BB30_20 Depth 2
                                        ;     Child Loop BB30_24 Depth 2
                                        ;     Child Loop BB30_28 Depth 2
                                        ;     Child Loop BB30_32 Depth 2
                                        ;     Child Loop BB30_36 Depth 2
	s_wait_loadcnt 0x0
	s_barrier_signal -1
	s_barrier_wait -1
	global_inv scope:SCOPE_SE
	ds_store_b32 v1, v62
	v_mov_b32_e32 v62, v5
	s_wait_loadcnt_dscnt 0x0
	s_barrier_signal -1
	s_barrier_wait -1
	global_inv scope:SCOPE_SE
	s_and_saveexec_b32 s9, vcc_lo
	s_cbranch_execz .LBB30_6
; %bb.3:                                ;   in Loop: Header=BB30_2 Depth=1
	v_dual_mov_b32 v62, v5 :: v_dual_mov_b32 v63, v6
	s_mov_b32 s10, 0
.LBB30_4:                               ;   Parent Loop BB30_2 Depth=1
                                        ; =>  This Inner Loop Header: Depth=2
	s_delay_alu instid0(VALU_DEP_1) | instskip(NEXT) | instid1(VALU_DEP_1)
	v_sub_nc_u32_e32 v64, v63, v62
	v_lshrrev_b32_e32 v64, 1, v64
	s_delay_alu instid0(VALU_DEP_1) | instskip(NEXT) | instid1(VALU_DEP_1)
	v_add_nc_u32_e32 v64, v64, v62
	v_not_b32_e32 v65, v64
	v_lshl_add_u32 v66, v64, 2, v7
	v_add_nc_u32_e32 v67, 1, v64
	s_delay_alu instid0(VALU_DEP_3)
	v_lshl_add_u32 v65, v65, 2, v53
	ds_load_b32 v66, v66
	ds_load_b32 v65, v65
	s_wait_dscnt 0x0
	v_cmp_lt_i32_e64 s8, v65, v66
	s_wait_alu 0xf1ff
	s_delay_alu instid0(VALU_DEP_1) | instskip(SKIP_1) | instid1(VALU_DEP_1)
	v_cndmask_b32_e64 v63, v63, v64, s8
	v_cndmask_b32_e64 v62, v67, v62, s8
	v_cmp_ge_i32_e64 s8, v62, v63
	s_or_b32 s10, s8, s10
	s_delay_alu instid0(SALU_CYCLE_1)
	s_and_not1_b32 exec_lo, exec_lo, s10
	s_cbranch_execnz .LBB30_4
; %bb.5:                                ;   in Loop: Header=BB30_2 Depth=1
	s_or_b32 exec_lo, exec_lo, s10
.LBB30_6:                               ;   in Loop: Header=BB30_2 Depth=1
	s_wait_alu 0xfffe
	s_or_b32 exec_lo, exec_lo, s9
	v_sub_nc_u32_e32 v63, v12, v62
	v_lshl_add_u32 v64, v62, 2, v7
	v_cmp_ge_i32_e64 s8, v62, v3
	s_delay_alu instid0(VALU_DEP_3)
	v_dual_mov_b32 v62, v10 :: v_dual_lshlrev_b32 v65, 2, v63
	v_cmp_ge_i32_e64 s10, v2, v63
	ds_load_b32 v64, v64
	ds_load_b32 v65, v65
	s_wait_loadcnt_dscnt 0x0
	s_barrier_signal -1
	s_barrier_wait -1
	global_inv scope:SCOPE_SE
	v_cmp_lt_i32_e64 s9, v65, v64
	s_or_b32 s8, s8, s9
	s_wait_alu 0xfffe
	s_and_b32 s8, s10, s8
	s_wait_alu 0xfffe
	v_cndmask_b32_e64 v63, v64, v65, s8
	ds_store_b32 v1, v63
	s_wait_loadcnt_dscnt 0x0
	s_barrier_signal -1
	s_barrier_wait -1
	global_inv scope:SCOPE_SE
	s_and_saveexec_b32 s9, s0
	s_cbranch_execz .LBB30_10
; %bb.7:                                ;   in Loop: Header=BB30_2 Depth=1
	v_dual_mov_b32 v62, v10 :: v_dual_mov_b32 v63, v11
	s_mov_b32 s10, 0
.LBB30_8:                               ;   Parent Loop BB30_2 Depth=1
                                        ; =>  This Inner Loop Header: Depth=2
	s_delay_alu instid0(VALU_DEP_1) | instskip(NEXT) | instid1(VALU_DEP_1)
	v_sub_nc_u32_e32 v64, v63, v62
	v_lshrrev_b32_e32 v64, 1, v64
	s_delay_alu instid0(VALU_DEP_1) | instskip(NEXT) | instid1(VALU_DEP_1)
	v_add_nc_u32_e32 v64, v64, v62
	v_not_b32_e32 v65, v64
	v_lshl_add_u32 v66, v64, 2, v13
	v_add_nc_u32_e32 v67, 1, v64
	s_delay_alu instid0(VALU_DEP_3)
	v_lshl_add_u32 v65, v65, 2, v54
	ds_load_b32 v66, v66
	ds_load_b32 v65, v65
	s_wait_dscnt 0x0
	v_cmp_lt_i32_e64 s8, v65, v66
	s_wait_alu 0xf1ff
	s_delay_alu instid0(VALU_DEP_1) | instskip(SKIP_1) | instid1(VALU_DEP_1)
	v_cndmask_b32_e64 v63, v63, v64, s8
	v_cndmask_b32_e64 v62, v67, v62, s8
	v_cmp_ge_i32_e64 s8, v62, v63
	s_or_b32 s10, s8, s10
	s_delay_alu instid0(SALU_CYCLE_1)
	s_and_not1_b32 exec_lo, exec_lo, s10
	s_cbranch_execnz .LBB30_8
; %bb.9:                                ;   in Loop: Header=BB30_2 Depth=1
	s_or_b32 exec_lo, exec_lo, s10
.LBB30_10:                              ;   in Loop: Header=BB30_2 Depth=1
	s_wait_alu 0xfffe
	s_or_b32 exec_lo, exec_lo, s9
	v_sub_nc_u32_e32 v63, v18, v62
	v_lshl_add_u32 v64, v62, 2, v13
	v_cmp_ge_i32_e64 s8, v62, v8
	s_delay_alu instid0(VALU_DEP_3)
	v_dual_mov_b32 v62, v16 :: v_dual_lshlrev_b32 v65, 2, v63
	v_cmp_gt_i32_e64 s10, v4, v63
	ds_load_b32 v64, v64
	ds_load_b32 v65, v65
	s_wait_loadcnt_dscnt 0x0
	s_barrier_signal -1
	s_barrier_wait -1
	global_inv scope:SCOPE_SE
	v_cmp_lt_i32_e64 s9, v65, v64
	s_or_b32 s8, s8, s9
	s_wait_alu 0xfffe
	s_and_b32 s8, s10, s8
	s_wait_alu 0xfffe
	v_cndmask_b32_e64 v63, v64, v65, s8
	ds_store_b32 v1, v63
	s_wait_loadcnt_dscnt 0x0
	s_barrier_signal -1
	s_barrier_wait -1
	global_inv scope:SCOPE_SE
	s_and_saveexec_b32 s9, s1
	s_cbranch_execz .LBB30_14
; %bb.11:                               ;   in Loop: Header=BB30_2 Depth=1
	v_dual_mov_b32 v62, v16 :: v_dual_mov_b32 v63, v17
	s_mov_b32 s10, 0
.LBB30_12:                              ;   Parent Loop BB30_2 Depth=1
                                        ; =>  This Inner Loop Header: Depth=2
	s_delay_alu instid0(VALU_DEP_1) | instskip(NEXT) | instid1(VALU_DEP_1)
	v_sub_nc_u32_e32 v64, v63, v62
	v_lshrrev_b32_e32 v64, 1, v64
	s_delay_alu instid0(VALU_DEP_1) | instskip(NEXT) | instid1(VALU_DEP_1)
	v_add_nc_u32_e32 v64, v64, v62
	v_not_b32_e32 v65, v64
	v_lshl_add_u32 v66, v64, 2, v19
	v_add_nc_u32_e32 v67, 1, v64
	s_delay_alu instid0(VALU_DEP_3)
	v_lshl_add_u32 v65, v65, 2, v55
	ds_load_b32 v66, v66
	ds_load_b32 v65, v65
	s_wait_dscnt 0x0
	v_cmp_lt_i32_e64 s8, v65, v66
	s_wait_alu 0xf1ff
	s_delay_alu instid0(VALU_DEP_1) | instskip(SKIP_1) | instid1(VALU_DEP_1)
	v_cndmask_b32_e64 v63, v63, v64, s8
	v_cndmask_b32_e64 v62, v67, v62, s8
	v_cmp_ge_i32_e64 s8, v62, v63
	s_or_b32 s10, s8, s10
	s_delay_alu instid0(SALU_CYCLE_1)
	s_and_not1_b32 exec_lo, exec_lo, s10
	s_cbranch_execnz .LBB30_12
; %bb.13:                               ;   in Loop: Header=BB30_2 Depth=1
	s_or_b32 exec_lo, exec_lo, s10
.LBB30_14:                              ;   in Loop: Header=BB30_2 Depth=1
	s_wait_alu 0xfffe
	s_or_b32 exec_lo, exec_lo, s9
	v_sub_nc_u32_e32 v63, v24, v62
	v_lshl_add_u32 v64, v62, 2, v19
	v_cmp_ge_i32_e64 s8, v62, v14
	s_delay_alu instid0(VALU_DEP_3)
	v_dual_mov_b32 v62, v22 :: v_dual_lshlrev_b32 v65, 2, v63
	v_cmp_gt_i32_e64 s10, v9, v63
	ds_load_b32 v64, v64
	ds_load_b32 v65, v65
	s_wait_loadcnt_dscnt 0x0
	s_barrier_signal -1
	s_barrier_wait -1
	global_inv scope:SCOPE_SE
	v_cmp_lt_i32_e64 s9, v65, v64
	s_or_b32 s8, s8, s9
	s_wait_alu 0xfffe
	s_and_b32 s8, s10, s8
	s_wait_alu 0xfffe
	v_cndmask_b32_e64 v63, v64, v65, s8
	ds_store_b32 v1, v63
	s_wait_loadcnt_dscnt 0x0
	s_barrier_signal -1
	s_barrier_wait -1
	global_inv scope:SCOPE_SE
	s_and_saveexec_b32 s9, s2
	s_cbranch_execz .LBB30_18
; %bb.15:                               ;   in Loop: Header=BB30_2 Depth=1
	v_dual_mov_b32 v62, v22 :: v_dual_mov_b32 v63, v23
	s_mov_b32 s10, 0
.LBB30_16:                              ;   Parent Loop BB30_2 Depth=1
                                        ; =>  This Inner Loop Header: Depth=2
	s_delay_alu instid0(VALU_DEP_1) | instskip(NEXT) | instid1(VALU_DEP_1)
	v_sub_nc_u32_e32 v64, v63, v62
	v_lshrrev_b32_e32 v64, 1, v64
	s_delay_alu instid0(VALU_DEP_1) | instskip(NEXT) | instid1(VALU_DEP_1)
	v_add_nc_u32_e32 v64, v64, v62
	v_not_b32_e32 v65, v64
	v_lshl_add_u32 v66, v64, 2, v25
	v_add_nc_u32_e32 v67, 1, v64
	s_delay_alu instid0(VALU_DEP_3)
	v_lshl_add_u32 v65, v65, 2, v56
	ds_load_b32 v66, v66
	ds_load_b32 v65, v65
	s_wait_dscnt 0x0
	v_cmp_lt_i32_e64 s8, v65, v66
	s_wait_alu 0xf1ff
	s_delay_alu instid0(VALU_DEP_1) | instskip(SKIP_1) | instid1(VALU_DEP_1)
	v_cndmask_b32_e64 v63, v63, v64, s8
	v_cndmask_b32_e64 v62, v67, v62, s8
	v_cmp_ge_i32_e64 s8, v62, v63
	s_or_b32 s10, s8, s10
	s_delay_alu instid0(SALU_CYCLE_1)
	s_and_not1_b32 exec_lo, exec_lo, s10
	s_cbranch_execnz .LBB30_16
; %bb.17:                               ;   in Loop: Header=BB30_2 Depth=1
	s_or_b32 exec_lo, exec_lo, s10
.LBB30_18:                              ;   in Loop: Header=BB30_2 Depth=1
	;; [unrolled: 58-line block ×6, first 2 shown]
	s_wait_alu 0xfffe
	s_or_b32 exec_lo, exec_lo, s9
	v_sub_nc_u32_e32 v63, v51, v62
	v_lshl_add_u32 v64, v62, 2, v48
	v_cmp_ge_i32_e64 s8, v62, v41
	s_delay_alu instid0(VALU_DEP_3)
	v_dual_mov_b32 v62, v49 :: v_dual_lshlrev_b32 v65, 2, v63
	v_cmp_gt_i32_e64 s10, v38, v63
	ds_load_b32 v64, v64
	ds_load_b32 v65, v65
	s_wait_loadcnt_dscnt 0x0
	s_barrier_signal -1
	s_barrier_wait -1
	global_inv scope:SCOPE_SE
	v_cmp_lt_i32_e64 s9, v65, v64
	s_or_b32 s8, s8, s9
	s_wait_alu 0xfffe
	s_and_b32 s8, s10, s8
	s_wait_alu 0xfffe
	v_cndmask_b32_e64 v63, v64, v65, s8
	ds_store_b32 v1, v63
	s_wait_loadcnt_dscnt 0x0
	s_barrier_signal -1
	s_barrier_wait -1
	global_inv scope:SCOPE_SE
	s_and_saveexec_b32 s9, s7
	s_cbranch_execz .LBB30_1
; %bb.35:                               ;   in Loop: Header=BB30_2 Depth=1
	v_dual_mov_b32 v62, v49 :: v_dual_mov_b32 v63, v50
	s_mov_b32 s10, 0
.LBB30_36:                              ;   Parent Loop BB30_2 Depth=1
                                        ; =>  This Inner Loop Header: Depth=2
	s_delay_alu instid0(VALU_DEP_1) | instskip(NEXT) | instid1(VALU_DEP_1)
	v_sub_nc_u32_e32 v64, v63, v62
	v_lshrrev_b32_e32 v64, 1, v64
	s_delay_alu instid0(VALU_DEP_1) | instskip(NEXT) | instid1(VALU_DEP_1)
	v_add_nc_u32_e32 v64, v64, v62
	v_not_b32_e32 v65, v64
	v_lshlrev_b32_e32 v66, 2, v64
	v_add_nc_u32_e32 v67, 1, v64
	s_delay_alu instid0(VALU_DEP_3)
	v_lshl_add_u32 v65, v65, 2, v61
	ds_load_b32 v66, v66
	ds_load_b32 v65, v65
	s_wait_dscnt 0x0
	v_cmp_lt_i32_e64 s8, v65, v66
	s_wait_alu 0xf1ff
	s_delay_alu instid0(VALU_DEP_1) | instskip(SKIP_1) | instid1(VALU_DEP_1)
	v_cndmask_b32_e64 v63, v63, v64, s8
	v_cndmask_b32_e64 v62, v67, v62, s8
	v_cmp_ge_i32_e64 s8, v62, v63
	s_or_b32 s10, s8, s10
	s_delay_alu instid0(SALU_CYCLE_1)
	s_and_not1_b32 exec_lo, exec_lo, s10
	s_cbranch_execnz .LBB30_36
; %bb.37:                               ;   in Loop: Header=BB30_2 Depth=1
	s_or_b32 exec_lo, exec_lo, s10
	s_branch .LBB30_1
.LBB30_38:
	v_lshlrev_b32_e32 v0, 2, v0
	s_add_nc_u64 s[0:1], s[14:15], s[16:17]
	global_store_b32 v0, v62, s[0:1]
	s_endpgm
	.section	.rodata,"a",@progbits
	.p2align	6, 0x0
	.amdhsa_kernel _Z16sort_keys_kernelIiLj512ELj1EN10test_utils4lessELj10EEvPKT_PS2_T2_
		.amdhsa_group_segment_fixed_size 2052
		.amdhsa_private_segment_fixed_size 0
		.amdhsa_kernarg_size 20
		.amdhsa_user_sgpr_count 2
		.amdhsa_user_sgpr_dispatch_ptr 0
		.amdhsa_user_sgpr_queue_ptr 0
		.amdhsa_user_sgpr_kernarg_segment_ptr 1
		.amdhsa_user_sgpr_dispatch_id 0
		.amdhsa_user_sgpr_private_segment_size 0
		.amdhsa_wavefront_size32 1
		.amdhsa_uses_dynamic_stack 0
		.amdhsa_enable_private_segment 0
		.amdhsa_system_sgpr_workgroup_id_x 1
		.amdhsa_system_sgpr_workgroup_id_y 0
		.amdhsa_system_sgpr_workgroup_id_z 0
		.amdhsa_system_sgpr_workgroup_info 0
		.amdhsa_system_vgpr_workitem_id 0
		.amdhsa_next_free_vgpr 70
		.amdhsa_next_free_sgpr 18
		.amdhsa_reserve_vcc 1
		.amdhsa_float_round_mode_32 0
		.amdhsa_float_round_mode_16_64 0
		.amdhsa_float_denorm_mode_32 3
		.amdhsa_float_denorm_mode_16_64 3
		.amdhsa_fp16_overflow 0
		.amdhsa_workgroup_processor_mode 1
		.amdhsa_memory_ordered 1
		.amdhsa_forward_progress 1
		.amdhsa_inst_pref_size 28
		.amdhsa_round_robin_scheduling 0
		.amdhsa_exception_fp_ieee_invalid_op 0
		.amdhsa_exception_fp_denorm_src 0
		.amdhsa_exception_fp_ieee_div_zero 0
		.amdhsa_exception_fp_ieee_overflow 0
		.amdhsa_exception_fp_ieee_underflow 0
		.amdhsa_exception_fp_ieee_inexact 0
		.amdhsa_exception_int_div_zero 0
	.end_amdhsa_kernel
	.section	.text._Z16sort_keys_kernelIiLj512ELj1EN10test_utils4lessELj10EEvPKT_PS2_T2_,"axG",@progbits,_Z16sort_keys_kernelIiLj512ELj1EN10test_utils4lessELj10EEvPKT_PS2_T2_,comdat
.Lfunc_end30:
	.size	_Z16sort_keys_kernelIiLj512ELj1EN10test_utils4lessELj10EEvPKT_PS2_T2_, .Lfunc_end30-_Z16sort_keys_kernelIiLj512ELj1EN10test_utils4lessELj10EEvPKT_PS2_T2_
                                        ; -- End function
	.set _Z16sort_keys_kernelIiLj512ELj1EN10test_utils4lessELj10EEvPKT_PS2_T2_.num_vgpr, 70
	.set _Z16sort_keys_kernelIiLj512ELj1EN10test_utils4lessELj10EEvPKT_PS2_T2_.num_agpr, 0
	.set _Z16sort_keys_kernelIiLj512ELj1EN10test_utils4lessELj10EEvPKT_PS2_T2_.numbered_sgpr, 18
	.set _Z16sort_keys_kernelIiLj512ELj1EN10test_utils4lessELj10EEvPKT_PS2_T2_.num_named_barrier, 0
	.set _Z16sort_keys_kernelIiLj512ELj1EN10test_utils4lessELj10EEvPKT_PS2_T2_.private_seg_size, 0
	.set _Z16sort_keys_kernelIiLj512ELj1EN10test_utils4lessELj10EEvPKT_PS2_T2_.uses_vcc, 1
	.set _Z16sort_keys_kernelIiLj512ELj1EN10test_utils4lessELj10EEvPKT_PS2_T2_.uses_flat_scratch, 0
	.set _Z16sort_keys_kernelIiLj512ELj1EN10test_utils4lessELj10EEvPKT_PS2_T2_.has_dyn_sized_stack, 0
	.set _Z16sort_keys_kernelIiLj512ELj1EN10test_utils4lessELj10EEvPKT_PS2_T2_.has_recursion, 0
	.set _Z16sort_keys_kernelIiLj512ELj1EN10test_utils4lessELj10EEvPKT_PS2_T2_.has_indirect_call, 0
	.section	.AMDGPU.csdata,"",@progbits
; Kernel info:
; codeLenInByte = 3480
; TotalNumSgprs: 20
; NumVgprs: 70
; ScratchSize: 0
; MemoryBound: 0
; FloatMode: 240
; IeeeMode: 1
; LDSByteSize: 2052 bytes/workgroup (compile time only)
; SGPRBlocks: 0
; VGPRBlocks: 8
; NumSGPRsForWavesPerEU: 20
; NumVGPRsForWavesPerEU: 70
; Occupancy: 16
; WaveLimiterHint : 0
; COMPUTE_PGM_RSRC2:SCRATCH_EN: 0
; COMPUTE_PGM_RSRC2:USER_SGPR: 2
; COMPUTE_PGM_RSRC2:TRAP_HANDLER: 0
; COMPUTE_PGM_RSRC2:TGID_X_EN: 1
; COMPUTE_PGM_RSRC2:TGID_Y_EN: 0
; COMPUTE_PGM_RSRC2:TGID_Z_EN: 0
; COMPUTE_PGM_RSRC2:TIDIG_COMP_CNT: 0
	.section	.text._Z17sort_pairs_kernelIiLj512ELj1EN10test_utils4lessELj10EEvPKT_PS2_T2_,"axG",@progbits,_Z17sort_pairs_kernelIiLj512ELj1EN10test_utils4lessELj10EEvPKT_PS2_T2_,comdat
	.protected	_Z17sort_pairs_kernelIiLj512ELj1EN10test_utils4lessELj10EEvPKT_PS2_T2_ ; -- Begin function _Z17sort_pairs_kernelIiLj512ELj1EN10test_utils4lessELj10EEvPKT_PS2_T2_
	.globl	_Z17sort_pairs_kernelIiLj512ELj1EN10test_utils4lessELj10EEvPKT_PS2_T2_
	.p2align	8
	.type	_Z17sort_pairs_kernelIiLj512ELj1EN10test_utils4lessELj10EEvPKT_PS2_T2_,@function
_Z17sort_pairs_kernelIiLj512ELj1EN10test_utils4lessELj10EEvPKT_PS2_T2_: ; @_Z17sort_pairs_kernelIiLj512ELj1EN10test_utils4lessELj10EEvPKT_PS2_T2_
; %bb.0:
	s_load_b128 s[12:15], s[0:1], 0x0
	s_lshl_b32 s10, ttmp9, 9
	s_mov_b32 s11, 0
	v_lshlrev_b32_e32 v1, 2, v0
	s_lshl_b64 s[16:17], s[10:11], 2
	v_and_b32_e32 v3, 0x1fc, v0
	v_and_b32_e32 v2, 0x1fe, v0
	;; [unrolled: 1-line block ×5, first 2 shown]
	v_or_b32_e32 v15, 2, v3
	v_add_nc_u32_e32 v16, 4, v3
	v_or_b32_e32 v13, 1, v2
	v_or_b32_e32 v18, 4, v4
	v_add_nc_u32_e32 v19, 8, v4
	v_and_b32_e32 v53, 1, v0
	v_sub_nc_u32_e32 v68, v16, v15
	v_and_b32_e32 v62, 7, v0
	v_and_b32_e32 v6, 0x1e0, v0
	v_or_b32_e32 v21, 8, v5
	s_wait_kmcnt 0x0
	s_add_nc_u64 s[0:1], s[12:13], s[16:17]
	v_add_nc_u32_e32 v22, 16, v5
	global_load_b32 v69, v1, s[0:1]
	v_sub_nc_u32_e32 v54, v13, v2
	v_sub_nc_u32_e32 v55, v15, v3
	;; [unrolled: 1-line block ×4, first 2 shown]
	v_cmp_ge_i32_e64 s1, v61, v68
	v_and_b32_e32 v63, 15, v0
	v_and_b32_e32 v7, 0x1c0, v0
	v_add_nc_u32_e32 v36, -1, v53
	v_or_b32_e32 v24, 16, v6
	v_add_nc_u32_e32 v25, 32, v6
	v_lshlrev_b32_e32 v45, 2, v53
	v_lshlrev_b32_e32 v46, 2, v61
	v_cmp_lt_i32_e64 s0, 0, v53
	v_add_nc_u32_e32 v37, v13, v53
	v_add_nc_u32_e32 v38, v15, v61
	v_sub_nc_u32_e32 v56, v18, v4
	v_sub_nc_u32_e32 v71, v22, v21
	v_min_i32_e32 v53, v53, v54
	v_min_i32_e32 v54, v61, v55
	v_sub_nc_u32_e32 v78, v62, v70
	v_cndmask_b32_e64 v61, 0, v77, s1
	v_cmp_ge_i32_e64 s1, v62, v70
	v_and_b32_e32 v64, 31, v0
	v_and_b32_e32 v8, 0x180, v0
	v_or_b32_e32 v27, 32, v7
	v_add_nc_u32_e32 v28, 64, v7
	v_lshlrev_b32_e32 v47, 2, v62
	v_add_nc_u32_e32 v39, v18, v62
	v_sub_nc_u32_e32 v57, v21, v5
	v_sub_nc_u32_e32 v72, v25, v24
	v_min_i32_e32 v55, v62, v56
	v_sub_nc_u32_e32 v79, v63, v71
	s_wait_alu 0xf1ff
	v_cndmask_b32_e64 v62, 0, v78, s1
	v_cmp_ge_i32_e64 s1, v63, v71
	v_and_b32_e32 v65, 63, v0
	v_and_b32_e32 v9, 0x100, v0
	v_or_b32_e32 v30, 64, v8
	v_add_nc_u32_e32 v31, 0x80, v8
	v_lshlrev_b32_e32 v48, 2, v63
	v_add_nc_u32_e32 v40, v21, v63
	v_sub_nc_u32_e32 v58, v24, v6
	v_sub_nc_u32_e32 v73, v28, v27
	v_min_i32_e32 v56, v63, v57
	v_sub_nc_u32_e32 v80, v64, v72
	s_wait_alu 0xf1ff
	v_cndmask_b32_e64 v63, 0, v79, s1
	v_cmp_ge_i32_e64 s1, v64, v72
	v_and_b32_e32 v66, 0x7f, v0
	v_or_b32_e32 v33, 0x80, v9
	v_add_nc_u32_e32 v34, 0x100, v9
	v_lshlrev_b32_e32 v49, 2, v64
	v_add_nc_u32_e32 v41, v24, v64
	v_sub_nc_u32_e32 v59, v27, v7
	v_sub_nc_u32_e32 v74, v31, v30
	v_min_i32_e32 v57, v64, v58
	v_sub_nc_u32_e32 v81, v65, v73
	s_wait_alu 0xf1ff
	v_cndmask_b32_e64 v64, 0, v80, s1
	v_cmp_ge_i32_e64 s1, v65, v73
	v_and_b32_e32 v67, 0xff, v0
	v_lshlrev_b32_e32 v50, 2, v65
	v_add_nc_u32_e32 v42, v27, v65
	v_sub_nc_u32_e32 v60, v30, v8
	v_sub_nc_u32_e32 v76, v34, v33
	v_min_i32_e32 v58, v65, v59
	v_sub_nc_u32_e32 v82, v66, v74
	s_wait_alu 0xf1ff
	v_cndmask_b32_e64 v65, 0, v81, s1
	v_cmp_ge_i32_e64 s1, v66, v74
	v_lshlrev_b32_e32 v51, 2, v66
	v_add_nc_u32_e32 v43, v30, v66
	v_sub_nc_u32_e32 v75, v33, v9
	v_min_i32_e32 v59, v66, v60
	v_sub_nc_u32_e32 v83, v67, v76
	s_wait_alu 0xf1ff
	v_cndmask_b32_e64 v66, 0, v82, s1
	v_cmp_ge_i32_e64 s1, v67, v76
	v_lshlrev_b32_e32 v52, 2, v67
	v_cndmask_b32_e64 v36, 0, v36, s0
	v_add_nc_u32_e32 v44, v33, v67
	v_min_i32_e32 v60, v67, v75
	s_wait_alu 0xf1ff
	v_cndmask_b32_e64 v67, 0, v83, s1
	v_subrev_nc_u32_e64 v10, 0x100, v0 clamp
	v_min_i32_e32 v11, 0x100, v0
	v_add_nc_u32_e32 v12, 0x100, v0
	v_lshlrev_b32_e32 v14, 2, v2
	v_lshlrev_b32_e32 v17, 2, v3
	;; [unrolled: 1-line block ×8, first 2 shown]
	v_lshl_add_u32 v45, v13, 2, v45
	v_lshl_add_u32 v46, v15, 2, v46
	;; [unrolled: 1-line block ×8, first 2 shown]
	v_cmp_lt_i32_e64 s0, v36, v53
	v_cmp_lt_i32_e64 s1, v61, v54
	;; [unrolled: 1-line block ×8, first 2 shown]
	v_add_nc_u32_e32 v68, 0x400, v1
	v_cmp_lt_i32_e32 vcc_lo, v10, v11
	s_wait_loadcnt 0x0
	v_add_nc_u32_e32 v70, 1, v69
	s_branch .LBB31_2
.LBB31_1:                               ;   in Loop: Header=BB31_2 Depth=1
	s_wait_alu 0xfffe
	s_or_b32 exec_lo, exec_lo, s9
	v_sub_nc_u32_e32 v72, v12, v71
	v_lshlrev_b32_e32 v69, 2, v71
	v_cmp_le_i32_e64 s8, 0x100, v71
	s_add_co_i32 s11, s11, 1
	v_lshlrev_b32_e32 v73, 2, v72
	v_cmp_gt_i32_e64 s10, 0x200, v72
	ds_load_b32 v69, v69
	ds_load_b32 v73, v73
	s_wait_loadcnt_dscnt 0x0
	s_barrier_signal -1
	s_barrier_wait -1
	global_inv scope:SCOPE_SE
	ds_store_b32 v1, v70
	s_wait_loadcnt_dscnt 0x0
	s_barrier_signal -1
	s_barrier_wait -1
	global_inv scope:SCOPE_SE
	v_cmp_lt_i32_e64 s9, v73, v69
	s_or_b32 s8, s8, s9
	s_wait_alu 0xfffe
	s_and_b32 s8, s10, s8
	s_cmp_eq_u32 s11, 10
	s_wait_alu 0xfffe
	v_cndmask_b32_e64 v71, v71, v72, s8
	v_cndmask_b32_e64 v69, v69, v73, s8
	s_delay_alu instid0(VALU_DEP_2)
	v_lshlrev_b32_e32 v70, 2, v71
	ds_load_b32 v70, v70
	s_cbranch_scc1 .LBB31_38
.LBB31_2:                               ; =>This Loop Header: Depth=1
                                        ;     Child Loop BB31_4 Depth 2
                                        ;     Child Loop BB31_8 Depth 2
	;; [unrolled: 1-line block ×9, first 2 shown]
	s_barrier_signal -1
	s_barrier_wait -1
	global_inv scope:SCOPE_SE
	ds_store_b32 v1, v69
	v_mov_b32_e32 v69, v36
	s_wait_loadcnt_dscnt 0x0
	s_barrier_signal -1
	s_barrier_wait -1
	global_inv scope:SCOPE_SE
	s_and_saveexec_b32 s9, s0
	s_cbranch_execz .LBB31_6
; %bb.3:                                ;   in Loop: Header=BB31_2 Depth=1
	v_mov_b32_e32 v69, v36
	v_mov_b32_e32 v71, v53
	s_mov_b32 s10, 0
.LBB31_4:                               ;   Parent Loop BB31_2 Depth=1
                                        ; =>  This Inner Loop Header: Depth=2
	s_delay_alu instid0(VALU_DEP_1) | instskip(NEXT) | instid1(VALU_DEP_1)
	v_sub_nc_u32_e32 v72, v71, v69
	v_lshrrev_b32_e32 v72, 1, v72
	s_delay_alu instid0(VALU_DEP_1) | instskip(NEXT) | instid1(VALU_DEP_1)
	v_add_nc_u32_e32 v72, v72, v69
	v_not_b32_e32 v73, v72
	v_lshl_add_u32 v74, v72, 2, v14
	v_add_nc_u32_e32 v75, 1, v72
	s_delay_alu instid0(VALU_DEP_3)
	v_lshl_add_u32 v73, v73, 2, v45
	ds_load_b32 v74, v74
	ds_load_b32 v73, v73
	s_wait_dscnt 0x0
	v_cmp_lt_i32_e64 s8, v73, v74
	s_wait_alu 0xf1ff
	s_delay_alu instid0(VALU_DEP_1) | instskip(SKIP_1) | instid1(VALU_DEP_1)
	v_cndmask_b32_e64 v71, v71, v72, s8
	v_cndmask_b32_e64 v69, v75, v69, s8
	v_cmp_ge_i32_e64 s8, v69, v71
	s_or_b32 s10, s8, s10
	s_delay_alu instid0(SALU_CYCLE_1)
	s_and_not1_b32 exec_lo, exec_lo, s10
	s_cbranch_execnz .LBB31_4
; %bb.5:                                ;   in Loop: Header=BB31_2 Depth=1
	s_or_b32 exec_lo, exec_lo, s10
.LBB31_6:                               ;   in Loop: Header=BB31_2 Depth=1
	s_wait_alu 0xfffe
	s_or_b32 exec_lo, exec_lo, s9
	v_sub_nc_u32_e32 v71, v37, v69
	v_lshl_add_u32 v72, v69, 2, v14
	v_add_nc_u32_e32 v69, v69, v2
	s_delay_alu instid0(VALU_DEP_3) | instskip(SKIP_1) | instid1(VALU_DEP_3)
	v_lshlrev_b32_e32 v73, 2, v71
	v_cmp_ge_i32_e64 s10, v13, v71
	v_cmp_le_i32_e64 s8, v13, v69
	ds_load_b32 v72, v72
	ds_load_b32 v73, v73
	s_wait_loadcnt_dscnt 0x0
	s_barrier_signal -1
	s_barrier_wait -1
	global_inv scope:SCOPE_SE
	ds_store_b32 v1, v70
	s_wait_loadcnt_dscnt 0x0
	s_barrier_signal -1
	s_barrier_wait -1
	global_inv scope:SCOPE_SE
	v_mov_b32_e32 v70, v61
	v_cmp_lt_i32_e64 s9, v73, v72
	s_or_b32 s8, s8, s9
	s_wait_alu 0xfffe
	s_and_b32 s8, s10, s8
	s_wait_alu 0xfffe
	v_cndmask_b32_e64 v69, v69, v71, s8
	v_cndmask_b32_e64 v72, v72, v73, s8
	s_delay_alu instid0(VALU_DEP_2)
	v_lshlrev_b32_e32 v69, 2, v69
	ds_load_b32 v69, v69
	s_wait_loadcnt_dscnt 0x0
	s_barrier_signal -1
	s_barrier_wait -1
	global_inv scope:SCOPE_SE
	ds_store_b32 v1, v72
	s_wait_loadcnt_dscnt 0x0
	s_barrier_signal -1
	s_barrier_wait -1
	global_inv scope:SCOPE_SE
	s_and_saveexec_b32 s9, s1
	s_cbranch_execz .LBB31_10
; %bb.7:                                ;   in Loop: Header=BB31_2 Depth=1
	v_dual_mov_b32 v70, v61 :: v_dual_mov_b32 v71, v54
	s_mov_b32 s10, 0
.LBB31_8:                               ;   Parent Loop BB31_2 Depth=1
                                        ; =>  This Inner Loop Header: Depth=2
	s_delay_alu instid0(VALU_DEP_1) | instskip(NEXT) | instid1(VALU_DEP_1)
	v_sub_nc_u32_e32 v72, v71, v70
	v_lshrrev_b32_e32 v72, 1, v72
	s_delay_alu instid0(VALU_DEP_1) | instskip(NEXT) | instid1(VALU_DEP_1)
	v_add_nc_u32_e32 v72, v72, v70
	v_not_b32_e32 v73, v72
	v_lshl_add_u32 v74, v72, 2, v17
	v_add_nc_u32_e32 v75, 1, v72
	s_delay_alu instid0(VALU_DEP_3)
	v_lshl_add_u32 v73, v73, 2, v46
	ds_load_b32 v74, v74
	ds_load_b32 v73, v73
	s_wait_dscnt 0x0
	v_cmp_lt_i32_e64 s8, v73, v74
	s_wait_alu 0xf1ff
	s_delay_alu instid0(VALU_DEP_1) | instskip(SKIP_1) | instid1(VALU_DEP_1)
	v_cndmask_b32_e64 v71, v71, v72, s8
	v_cndmask_b32_e64 v70, v75, v70, s8
	v_cmp_ge_i32_e64 s8, v70, v71
	s_or_b32 s10, s8, s10
	s_delay_alu instid0(SALU_CYCLE_1)
	s_and_not1_b32 exec_lo, exec_lo, s10
	s_cbranch_execnz .LBB31_8
; %bb.9:                                ;   in Loop: Header=BB31_2 Depth=1
	s_or_b32 exec_lo, exec_lo, s10
.LBB31_10:                              ;   in Loop: Header=BB31_2 Depth=1
	s_wait_alu 0xfffe
	s_or_b32 exec_lo, exec_lo, s9
	v_sub_nc_u32_e32 v71, v38, v70
	v_lshl_add_u32 v72, v70, 2, v17
	v_add_nc_u32_e32 v70, v70, v3
	s_delay_alu instid0(VALU_DEP_3) | instskip(SKIP_1) | instid1(VALU_DEP_3)
	v_lshlrev_b32_e32 v73, 2, v71
	v_cmp_gt_i32_e64 s10, v16, v71
	v_cmp_le_i32_e64 s8, v15, v70
	ds_load_b32 v72, v72
	ds_load_b32 v73, v73
	s_wait_loadcnt_dscnt 0x0
	s_barrier_signal -1
	s_barrier_wait -1
	global_inv scope:SCOPE_SE
	ds_store_b32 v1, v69
	s_wait_loadcnt_dscnt 0x0
	s_barrier_signal -1
	s_barrier_wait -1
	global_inv scope:SCOPE_SE
	v_cmp_lt_i32_e64 s9, v73, v72
	s_or_b32 s8, s8, s9
	s_wait_alu 0xfffe
	s_and_b32 s8, s10, s8
	s_wait_alu 0xfffe
	v_cndmask_b32_e64 v70, v70, v71, s8
	v_cndmask_b32_e64 v72, v72, v73, s8
	s_delay_alu instid0(VALU_DEP_2)
	v_dual_mov_b32 v70, v62 :: v_dual_lshlrev_b32 v69, 2, v70
	ds_load_b32 v69, v69
	s_wait_loadcnt_dscnt 0x0
	s_barrier_signal -1
	s_barrier_wait -1
	global_inv scope:SCOPE_SE
	ds_store_b32 v1, v72
	s_wait_loadcnt_dscnt 0x0
	s_barrier_signal -1
	s_barrier_wait -1
	global_inv scope:SCOPE_SE
	s_and_saveexec_b32 s9, s2
	s_cbranch_execz .LBB31_14
; %bb.11:                               ;   in Loop: Header=BB31_2 Depth=1
	v_dual_mov_b32 v70, v62 :: v_dual_mov_b32 v71, v55
	s_mov_b32 s10, 0
.LBB31_12:                              ;   Parent Loop BB31_2 Depth=1
                                        ; =>  This Inner Loop Header: Depth=2
	s_delay_alu instid0(VALU_DEP_1) | instskip(NEXT) | instid1(VALU_DEP_1)
	v_sub_nc_u32_e32 v72, v71, v70
	v_lshrrev_b32_e32 v72, 1, v72
	s_delay_alu instid0(VALU_DEP_1) | instskip(NEXT) | instid1(VALU_DEP_1)
	v_add_nc_u32_e32 v72, v72, v70
	v_not_b32_e32 v73, v72
	v_lshl_add_u32 v74, v72, 2, v20
	v_add_nc_u32_e32 v75, 1, v72
	s_delay_alu instid0(VALU_DEP_3)
	v_lshl_add_u32 v73, v73, 2, v47
	ds_load_b32 v74, v74
	ds_load_b32 v73, v73
	s_wait_dscnt 0x0
	v_cmp_lt_i32_e64 s8, v73, v74
	s_wait_alu 0xf1ff
	s_delay_alu instid0(VALU_DEP_1) | instskip(SKIP_1) | instid1(VALU_DEP_1)
	v_cndmask_b32_e64 v71, v71, v72, s8
	v_cndmask_b32_e64 v70, v75, v70, s8
	v_cmp_ge_i32_e64 s8, v70, v71
	s_or_b32 s10, s8, s10
	s_delay_alu instid0(SALU_CYCLE_1)
	s_and_not1_b32 exec_lo, exec_lo, s10
	s_cbranch_execnz .LBB31_12
; %bb.13:                               ;   in Loop: Header=BB31_2 Depth=1
	s_or_b32 exec_lo, exec_lo, s10
.LBB31_14:                              ;   in Loop: Header=BB31_2 Depth=1
	s_wait_alu 0xfffe
	s_or_b32 exec_lo, exec_lo, s9
	v_sub_nc_u32_e32 v71, v39, v70
	v_lshl_add_u32 v72, v70, 2, v20
	v_add_nc_u32_e32 v70, v70, v4
	s_delay_alu instid0(VALU_DEP_3) | instskip(SKIP_1) | instid1(VALU_DEP_3)
	v_lshlrev_b32_e32 v73, 2, v71
	v_cmp_gt_i32_e64 s10, v19, v71
	v_cmp_le_i32_e64 s8, v18, v70
	ds_load_b32 v72, v72
	ds_load_b32 v73, v73
	s_wait_loadcnt_dscnt 0x0
	s_barrier_signal -1
	s_barrier_wait -1
	global_inv scope:SCOPE_SE
	ds_store_b32 v1, v69
	s_wait_loadcnt_dscnt 0x0
	s_barrier_signal -1
	s_barrier_wait -1
	global_inv scope:SCOPE_SE
	v_cmp_lt_i32_e64 s9, v73, v72
	s_or_b32 s8, s8, s9
	s_wait_alu 0xfffe
	s_and_b32 s8, s10, s8
	s_wait_alu 0xfffe
	v_cndmask_b32_e64 v70, v70, v71, s8
	v_cndmask_b32_e64 v72, v72, v73, s8
	s_delay_alu instid0(VALU_DEP_2)
	v_dual_mov_b32 v70, v63 :: v_dual_lshlrev_b32 v69, 2, v70
	ds_load_b32 v69, v69
	s_wait_loadcnt_dscnt 0x0
	s_barrier_signal -1
	s_barrier_wait -1
	global_inv scope:SCOPE_SE
	ds_store_b32 v1, v72
	s_wait_loadcnt_dscnt 0x0
	s_barrier_signal -1
	s_barrier_wait -1
	global_inv scope:SCOPE_SE
	s_and_saveexec_b32 s9, s3
	s_cbranch_execz .LBB31_18
; %bb.15:                               ;   in Loop: Header=BB31_2 Depth=1
	v_dual_mov_b32 v70, v63 :: v_dual_mov_b32 v71, v56
	s_mov_b32 s10, 0
.LBB31_16:                              ;   Parent Loop BB31_2 Depth=1
                                        ; =>  This Inner Loop Header: Depth=2
	s_delay_alu instid0(VALU_DEP_1) | instskip(NEXT) | instid1(VALU_DEP_1)
	v_sub_nc_u32_e32 v72, v71, v70
	v_lshrrev_b32_e32 v72, 1, v72
	s_delay_alu instid0(VALU_DEP_1) | instskip(NEXT) | instid1(VALU_DEP_1)
	v_add_nc_u32_e32 v72, v72, v70
	v_not_b32_e32 v73, v72
	v_lshl_add_u32 v74, v72, 2, v23
	v_add_nc_u32_e32 v75, 1, v72
	s_delay_alu instid0(VALU_DEP_3)
	v_lshl_add_u32 v73, v73, 2, v48
	ds_load_b32 v74, v74
	ds_load_b32 v73, v73
	s_wait_dscnt 0x0
	v_cmp_lt_i32_e64 s8, v73, v74
	s_wait_alu 0xf1ff
	s_delay_alu instid0(VALU_DEP_1) | instskip(SKIP_1) | instid1(VALU_DEP_1)
	v_cndmask_b32_e64 v71, v71, v72, s8
	v_cndmask_b32_e64 v70, v75, v70, s8
	v_cmp_ge_i32_e64 s8, v70, v71
	s_or_b32 s10, s8, s10
	s_delay_alu instid0(SALU_CYCLE_1)
	s_and_not1_b32 exec_lo, exec_lo, s10
	s_cbranch_execnz .LBB31_16
; %bb.17:                               ;   in Loop: Header=BB31_2 Depth=1
	s_or_b32 exec_lo, exec_lo, s10
.LBB31_18:                              ;   in Loop: Header=BB31_2 Depth=1
	s_wait_alu 0xfffe
	s_or_b32 exec_lo, exec_lo, s9
	v_sub_nc_u32_e32 v71, v40, v70
	v_lshl_add_u32 v72, v70, 2, v23
	v_add_nc_u32_e32 v70, v70, v5
	s_delay_alu instid0(VALU_DEP_3) | instskip(SKIP_1) | instid1(VALU_DEP_3)
	v_lshlrev_b32_e32 v73, 2, v71
	v_cmp_gt_i32_e64 s10, v22, v71
	v_cmp_le_i32_e64 s8, v21, v70
	ds_load_b32 v72, v72
	ds_load_b32 v73, v73
	s_wait_loadcnt_dscnt 0x0
	s_barrier_signal -1
	s_barrier_wait -1
	global_inv scope:SCOPE_SE
	ds_store_b32 v1, v69
	s_wait_loadcnt_dscnt 0x0
	s_barrier_signal -1
	s_barrier_wait -1
	global_inv scope:SCOPE_SE
	v_cmp_lt_i32_e64 s9, v73, v72
	s_or_b32 s8, s8, s9
	s_wait_alu 0xfffe
	s_and_b32 s8, s10, s8
	s_wait_alu 0xfffe
	v_cndmask_b32_e64 v70, v70, v71, s8
	v_cndmask_b32_e64 v72, v72, v73, s8
	s_delay_alu instid0(VALU_DEP_2)
	v_dual_mov_b32 v70, v64 :: v_dual_lshlrev_b32 v69, 2, v70
	ds_load_b32 v69, v69
	s_wait_loadcnt_dscnt 0x0
	s_barrier_signal -1
	s_barrier_wait -1
	global_inv scope:SCOPE_SE
	ds_store_b32 v1, v72
	s_wait_loadcnt_dscnt 0x0
	s_barrier_signal -1
	s_barrier_wait -1
	global_inv scope:SCOPE_SE
	s_and_saveexec_b32 s9, s4
	s_cbranch_execz .LBB31_22
; %bb.19:                               ;   in Loop: Header=BB31_2 Depth=1
	v_dual_mov_b32 v70, v64 :: v_dual_mov_b32 v71, v57
	s_mov_b32 s10, 0
.LBB31_20:                              ;   Parent Loop BB31_2 Depth=1
                                        ; =>  This Inner Loop Header: Depth=2
	s_delay_alu instid0(VALU_DEP_1) | instskip(NEXT) | instid1(VALU_DEP_1)
	v_sub_nc_u32_e32 v72, v71, v70
	v_lshrrev_b32_e32 v72, 1, v72
	s_delay_alu instid0(VALU_DEP_1) | instskip(NEXT) | instid1(VALU_DEP_1)
	v_add_nc_u32_e32 v72, v72, v70
	v_not_b32_e32 v73, v72
	v_lshl_add_u32 v74, v72, 2, v26
	v_add_nc_u32_e32 v75, 1, v72
	s_delay_alu instid0(VALU_DEP_3)
	v_lshl_add_u32 v73, v73, 2, v49
	ds_load_b32 v74, v74
	ds_load_b32 v73, v73
	s_wait_dscnt 0x0
	v_cmp_lt_i32_e64 s8, v73, v74
	s_wait_alu 0xf1ff
	s_delay_alu instid0(VALU_DEP_1) | instskip(SKIP_1) | instid1(VALU_DEP_1)
	v_cndmask_b32_e64 v71, v71, v72, s8
	v_cndmask_b32_e64 v70, v75, v70, s8
	v_cmp_ge_i32_e64 s8, v70, v71
	s_or_b32 s10, s8, s10
	s_delay_alu instid0(SALU_CYCLE_1)
	s_and_not1_b32 exec_lo, exec_lo, s10
	s_cbranch_execnz .LBB31_20
; %bb.21:                               ;   in Loop: Header=BB31_2 Depth=1
	s_or_b32 exec_lo, exec_lo, s10
.LBB31_22:                              ;   in Loop: Header=BB31_2 Depth=1
	s_wait_alu 0xfffe
	s_or_b32 exec_lo, exec_lo, s9
	v_sub_nc_u32_e32 v71, v41, v70
	v_lshl_add_u32 v72, v70, 2, v26
	v_add_nc_u32_e32 v70, v70, v6
	s_delay_alu instid0(VALU_DEP_3) | instskip(SKIP_1) | instid1(VALU_DEP_3)
	v_lshlrev_b32_e32 v73, 2, v71
	v_cmp_gt_i32_e64 s10, v25, v71
	v_cmp_le_i32_e64 s8, v24, v70
	ds_load_b32 v72, v72
	ds_load_b32 v73, v73
	s_wait_loadcnt_dscnt 0x0
	s_barrier_signal -1
	s_barrier_wait -1
	global_inv scope:SCOPE_SE
	ds_store_b32 v1, v69
	s_wait_loadcnt_dscnt 0x0
	s_barrier_signal -1
	s_barrier_wait -1
	global_inv scope:SCOPE_SE
	v_cmp_lt_i32_e64 s9, v73, v72
	s_or_b32 s8, s8, s9
	s_wait_alu 0xfffe
	s_and_b32 s8, s10, s8
	s_wait_alu 0xfffe
	v_cndmask_b32_e64 v70, v70, v71, s8
	v_cndmask_b32_e64 v72, v72, v73, s8
	s_delay_alu instid0(VALU_DEP_2)
	v_dual_mov_b32 v70, v65 :: v_dual_lshlrev_b32 v69, 2, v70
	ds_load_b32 v69, v69
	s_wait_loadcnt_dscnt 0x0
	s_barrier_signal -1
	s_barrier_wait -1
	global_inv scope:SCOPE_SE
	ds_store_b32 v1, v72
	s_wait_loadcnt_dscnt 0x0
	s_barrier_signal -1
	s_barrier_wait -1
	global_inv scope:SCOPE_SE
	s_and_saveexec_b32 s9, s5
	s_cbranch_execz .LBB31_26
; %bb.23:                               ;   in Loop: Header=BB31_2 Depth=1
	v_dual_mov_b32 v70, v65 :: v_dual_mov_b32 v71, v58
	s_mov_b32 s10, 0
.LBB31_24:                              ;   Parent Loop BB31_2 Depth=1
                                        ; =>  This Inner Loop Header: Depth=2
	s_delay_alu instid0(VALU_DEP_1) | instskip(NEXT) | instid1(VALU_DEP_1)
	v_sub_nc_u32_e32 v72, v71, v70
	v_lshrrev_b32_e32 v72, 1, v72
	s_delay_alu instid0(VALU_DEP_1) | instskip(NEXT) | instid1(VALU_DEP_1)
	v_add_nc_u32_e32 v72, v72, v70
	v_not_b32_e32 v73, v72
	v_lshl_add_u32 v74, v72, 2, v29
	v_add_nc_u32_e32 v75, 1, v72
	s_delay_alu instid0(VALU_DEP_3)
	v_lshl_add_u32 v73, v73, 2, v50
	ds_load_b32 v74, v74
	ds_load_b32 v73, v73
	s_wait_dscnt 0x0
	v_cmp_lt_i32_e64 s8, v73, v74
	s_wait_alu 0xf1ff
	s_delay_alu instid0(VALU_DEP_1) | instskip(SKIP_1) | instid1(VALU_DEP_1)
	v_cndmask_b32_e64 v71, v71, v72, s8
	v_cndmask_b32_e64 v70, v75, v70, s8
	v_cmp_ge_i32_e64 s8, v70, v71
	s_or_b32 s10, s8, s10
	s_delay_alu instid0(SALU_CYCLE_1)
	s_and_not1_b32 exec_lo, exec_lo, s10
	s_cbranch_execnz .LBB31_24
; %bb.25:                               ;   in Loop: Header=BB31_2 Depth=1
	s_or_b32 exec_lo, exec_lo, s10
.LBB31_26:                              ;   in Loop: Header=BB31_2 Depth=1
	s_wait_alu 0xfffe
	s_or_b32 exec_lo, exec_lo, s9
	v_sub_nc_u32_e32 v71, v42, v70
	v_lshl_add_u32 v72, v70, 2, v29
	v_add_nc_u32_e32 v70, v70, v7
	s_delay_alu instid0(VALU_DEP_3) | instskip(SKIP_1) | instid1(VALU_DEP_3)
	v_lshlrev_b32_e32 v73, 2, v71
	v_cmp_gt_i32_e64 s10, v28, v71
	v_cmp_le_i32_e64 s8, v27, v70
	ds_load_b32 v72, v72
	ds_load_b32 v73, v73
	s_wait_loadcnt_dscnt 0x0
	s_barrier_signal -1
	s_barrier_wait -1
	global_inv scope:SCOPE_SE
	ds_store_b32 v1, v69
	s_wait_loadcnt_dscnt 0x0
	s_barrier_signal -1
	s_barrier_wait -1
	global_inv scope:SCOPE_SE
	v_cmp_lt_i32_e64 s9, v73, v72
	s_or_b32 s8, s8, s9
	s_wait_alu 0xfffe
	s_and_b32 s8, s10, s8
	s_wait_alu 0xfffe
	v_cndmask_b32_e64 v70, v70, v71, s8
	v_cndmask_b32_e64 v72, v72, v73, s8
	s_delay_alu instid0(VALU_DEP_2)
	v_dual_mov_b32 v70, v66 :: v_dual_lshlrev_b32 v69, 2, v70
	ds_load_b32 v69, v69
	s_wait_loadcnt_dscnt 0x0
	s_barrier_signal -1
	s_barrier_wait -1
	global_inv scope:SCOPE_SE
	ds_store_b32 v1, v72
	s_wait_loadcnt_dscnt 0x0
	s_barrier_signal -1
	s_barrier_wait -1
	global_inv scope:SCOPE_SE
	s_and_saveexec_b32 s9, s6
	s_cbranch_execz .LBB31_30
; %bb.27:                               ;   in Loop: Header=BB31_2 Depth=1
	v_dual_mov_b32 v70, v66 :: v_dual_mov_b32 v71, v59
	s_mov_b32 s10, 0
.LBB31_28:                              ;   Parent Loop BB31_2 Depth=1
                                        ; =>  This Inner Loop Header: Depth=2
	s_delay_alu instid0(VALU_DEP_1) | instskip(NEXT) | instid1(VALU_DEP_1)
	v_sub_nc_u32_e32 v72, v71, v70
	v_lshrrev_b32_e32 v72, 1, v72
	s_delay_alu instid0(VALU_DEP_1) | instskip(NEXT) | instid1(VALU_DEP_1)
	v_add_nc_u32_e32 v72, v72, v70
	v_not_b32_e32 v73, v72
	v_lshl_add_u32 v74, v72, 2, v32
	v_add_nc_u32_e32 v75, 1, v72
	s_delay_alu instid0(VALU_DEP_3)
	v_lshl_add_u32 v73, v73, 2, v51
	ds_load_b32 v74, v74
	ds_load_b32 v73, v73
	s_wait_dscnt 0x0
	v_cmp_lt_i32_e64 s8, v73, v74
	s_wait_alu 0xf1ff
	s_delay_alu instid0(VALU_DEP_1) | instskip(SKIP_1) | instid1(VALU_DEP_1)
	v_cndmask_b32_e64 v71, v71, v72, s8
	v_cndmask_b32_e64 v70, v75, v70, s8
	v_cmp_ge_i32_e64 s8, v70, v71
	s_or_b32 s10, s8, s10
	s_delay_alu instid0(SALU_CYCLE_1)
	s_and_not1_b32 exec_lo, exec_lo, s10
	s_cbranch_execnz .LBB31_28
; %bb.29:                               ;   in Loop: Header=BB31_2 Depth=1
	s_or_b32 exec_lo, exec_lo, s10
.LBB31_30:                              ;   in Loop: Header=BB31_2 Depth=1
	s_wait_alu 0xfffe
	s_or_b32 exec_lo, exec_lo, s9
	v_sub_nc_u32_e32 v71, v43, v70
	v_lshl_add_u32 v72, v70, 2, v32
	v_add_nc_u32_e32 v70, v70, v8
	s_delay_alu instid0(VALU_DEP_3) | instskip(SKIP_1) | instid1(VALU_DEP_3)
	v_lshlrev_b32_e32 v73, 2, v71
	v_cmp_gt_i32_e64 s10, v31, v71
	v_cmp_le_i32_e64 s8, v30, v70
	ds_load_b32 v72, v72
	ds_load_b32 v73, v73
	s_wait_loadcnt_dscnt 0x0
	s_barrier_signal -1
	s_barrier_wait -1
	global_inv scope:SCOPE_SE
	ds_store_b32 v1, v69
	s_wait_loadcnt_dscnt 0x0
	s_barrier_signal -1
	s_barrier_wait -1
	global_inv scope:SCOPE_SE
	v_cmp_lt_i32_e64 s9, v73, v72
	s_or_b32 s8, s8, s9
	s_wait_alu 0xfffe
	s_and_b32 s8, s10, s8
	s_wait_alu 0xfffe
	v_cndmask_b32_e64 v70, v70, v71, s8
	v_cndmask_b32_e64 v72, v72, v73, s8
	s_delay_alu instid0(VALU_DEP_2)
	v_dual_mov_b32 v70, v67 :: v_dual_lshlrev_b32 v69, 2, v70
	ds_load_b32 v69, v69
	s_wait_loadcnt_dscnt 0x0
	s_barrier_signal -1
	s_barrier_wait -1
	global_inv scope:SCOPE_SE
	ds_store_b32 v1, v72
	s_wait_loadcnt_dscnt 0x0
	s_barrier_signal -1
	s_barrier_wait -1
	global_inv scope:SCOPE_SE
	s_and_saveexec_b32 s9, s7
	s_cbranch_execz .LBB31_34
; %bb.31:                               ;   in Loop: Header=BB31_2 Depth=1
	v_dual_mov_b32 v70, v67 :: v_dual_mov_b32 v71, v60
	s_mov_b32 s10, 0
.LBB31_32:                              ;   Parent Loop BB31_2 Depth=1
                                        ; =>  This Inner Loop Header: Depth=2
	s_delay_alu instid0(VALU_DEP_1) | instskip(NEXT) | instid1(VALU_DEP_1)
	v_sub_nc_u32_e32 v72, v71, v70
	v_lshrrev_b32_e32 v72, 1, v72
	s_delay_alu instid0(VALU_DEP_1) | instskip(NEXT) | instid1(VALU_DEP_1)
	v_add_nc_u32_e32 v72, v72, v70
	v_not_b32_e32 v73, v72
	v_lshl_add_u32 v74, v72, 2, v35
	v_add_nc_u32_e32 v75, 1, v72
	s_delay_alu instid0(VALU_DEP_3)
	v_lshl_add_u32 v73, v73, 2, v52
	ds_load_b32 v74, v74
	ds_load_b32 v73, v73
	s_wait_dscnt 0x0
	v_cmp_lt_i32_e64 s8, v73, v74
	s_wait_alu 0xf1ff
	s_delay_alu instid0(VALU_DEP_1) | instskip(SKIP_1) | instid1(VALU_DEP_1)
	v_cndmask_b32_e64 v71, v71, v72, s8
	v_cndmask_b32_e64 v70, v75, v70, s8
	v_cmp_ge_i32_e64 s8, v70, v71
	s_or_b32 s10, s8, s10
	s_delay_alu instid0(SALU_CYCLE_1)
	s_and_not1_b32 exec_lo, exec_lo, s10
	s_cbranch_execnz .LBB31_32
; %bb.33:                               ;   in Loop: Header=BB31_2 Depth=1
	s_or_b32 exec_lo, exec_lo, s10
.LBB31_34:                              ;   in Loop: Header=BB31_2 Depth=1
	s_wait_alu 0xfffe
	s_or_b32 exec_lo, exec_lo, s9
	v_sub_nc_u32_e32 v71, v44, v70
	v_lshl_add_u32 v72, v70, 2, v35
	v_add_nc_u32_e32 v70, v70, v9
	s_delay_alu instid0(VALU_DEP_3) | instskip(SKIP_1) | instid1(VALU_DEP_3)
	v_lshlrev_b32_e32 v73, 2, v71
	v_cmp_gt_i32_e64 s10, v34, v71
	v_cmp_le_i32_e64 s8, v33, v70
	ds_load_b32 v72, v72
	ds_load_b32 v73, v73
	s_wait_loadcnt_dscnt 0x0
	s_barrier_signal -1
	s_barrier_wait -1
	global_inv scope:SCOPE_SE
	ds_store_b32 v1, v69
	s_wait_loadcnt_dscnt 0x0
	s_barrier_signal -1
	s_barrier_wait -1
	global_inv scope:SCOPE_SE
	v_cmp_lt_i32_e64 s9, v73, v72
	s_or_b32 s8, s8, s9
	s_wait_alu 0xfffe
	s_and_b32 s8, s10, s8
	s_wait_alu 0xfffe
	v_cndmask_b32_e64 v70, v70, v71, s8
	v_cndmask_b32_e64 v72, v72, v73, s8
	v_mov_b32_e32 v71, v10
	s_delay_alu instid0(VALU_DEP_3)
	v_lshlrev_b32_e32 v69, 2, v70
	ds_load_b32 v70, v69
	s_wait_loadcnt_dscnt 0x0
	s_barrier_signal -1
	s_barrier_wait -1
	global_inv scope:SCOPE_SE
	ds_store_b32 v1, v72
	s_wait_loadcnt_dscnt 0x0
	s_barrier_signal -1
	s_barrier_wait -1
	global_inv scope:SCOPE_SE
	s_and_saveexec_b32 s9, vcc_lo
	s_cbranch_execz .LBB31_1
; %bb.35:                               ;   in Loop: Header=BB31_2 Depth=1
	v_mov_b32_e32 v71, v10
	v_mov_b32_e32 v69, v11
	s_mov_b32 s10, 0
.LBB31_36:                              ;   Parent Loop BB31_2 Depth=1
                                        ; =>  This Inner Loop Header: Depth=2
	s_delay_alu instid0(VALU_DEP_1) | instskip(NEXT) | instid1(VALU_DEP_1)
	v_sub_nc_u32_e32 v72, v69, v71
	v_lshrrev_b32_e32 v72, 1, v72
	s_delay_alu instid0(VALU_DEP_1) | instskip(NEXT) | instid1(VALU_DEP_1)
	v_add_nc_u32_e32 v72, v72, v71
	v_not_b32_e32 v73, v72
	v_lshlrev_b32_e32 v74, 2, v72
	v_add_nc_u32_e32 v75, 1, v72
	s_delay_alu instid0(VALU_DEP_3)
	v_lshl_add_u32 v73, v73, 2, v68
	ds_load_b32 v74, v74
	ds_load_b32 v73, v73
	s_wait_dscnt 0x0
	v_cmp_lt_i32_e64 s8, v73, v74
	s_wait_alu 0xf1ff
	s_delay_alu instid0(VALU_DEP_1) | instskip(SKIP_1) | instid1(VALU_DEP_1)
	v_cndmask_b32_e64 v69, v69, v72, s8
	v_cndmask_b32_e64 v71, v75, v71, s8
	v_cmp_ge_i32_e64 s8, v71, v69
	s_or_b32 s10, s8, s10
	s_delay_alu instid0(SALU_CYCLE_1)
	s_and_not1_b32 exec_lo, exec_lo, s10
	s_cbranch_execnz .LBB31_36
; %bb.37:                               ;   in Loop: Header=BB31_2 Depth=1
	s_or_b32 exec_lo, exec_lo, s10
	s_branch .LBB31_1
.LBB31_38:
	s_wait_dscnt 0x0
	v_add_nc_u32_e32 v1, v69, v70
	v_lshlrev_b32_e32 v0, 2, v0
	s_add_nc_u64 s[0:1], s[14:15], s[16:17]
	global_store_b32 v0, v1, s[0:1]
	s_endpgm
	.section	.rodata,"a",@progbits
	.p2align	6, 0x0
	.amdhsa_kernel _Z17sort_pairs_kernelIiLj512ELj1EN10test_utils4lessELj10EEvPKT_PS2_T2_
		.amdhsa_group_segment_fixed_size 2052
		.amdhsa_private_segment_fixed_size 0
		.amdhsa_kernarg_size 20
		.amdhsa_user_sgpr_count 2
		.amdhsa_user_sgpr_dispatch_ptr 0
		.amdhsa_user_sgpr_queue_ptr 0
		.amdhsa_user_sgpr_kernarg_segment_ptr 1
		.amdhsa_user_sgpr_dispatch_id 0
		.amdhsa_user_sgpr_private_segment_size 0
		.amdhsa_wavefront_size32 1
		.amdhsa_uses_dynamic_stack 0
		.amdhsa_enable_private_segment 0
		.amdhsa_system_sgpr_workgroup_id_x 1
		.amdhsa_system_sgpr_workgroup_id_y 0
		.amdhsa_system_sgpr_workgroup_id_z 0
		.amdhsa_system_sgpr_workgroup_info 0
		.amdhsa_system_vgpr_workitem_id 0
		.amdhsa_next_free_vgpr 84
		.amdhsa_next_free_sgpr 18
		.amdhsa_reserve_vcc 1
		.amdhsa_float_round_mode_32 0
		.amdhsa_float_round_mode_16_64 0
		.amdhsa_float_denorm_mode_32 3
		.amdhsa_float_denorm_mode_16_64 3
		.amdhsa_fp16_overflow 0
		.amdhsa_workgroup_processor_mode 1
		.amdhsa_memory_ordered 1
		.amdhsa_forward_progress 1
		.amdhsa_inst_pref_size 34
		.amdhsa_round_robin_scheduling 0
		.amdhsa_exception_fp_ieee_invalid_op 0
		.amdhsa_exception_fp_denorm_src 0
		.amdhsa_exception_fp_ieee_div_zero 0
		.amdhsa_exception_fp_ieee_overflow 0
		.amdhsa_exception_fp_ieee_underflow 0
		.amdhsa_exception_fp_ieee_inexact 0
		.amdhsa_exception_int_div_zero 0
	.end_amdhsa_kernel
	.section	.text._Z17sort_pairs_kernelIiLj512ELj1EN10test_utils4lessELj10EEvPKT_PS2_T2_,"axG",@progbits,_Z17sort_pairs_kernelIiLj512ELj1EN10test_utils4lessELj10EEvPKT_PS2_T2_,comdat
.Lfunc_end31:
	.size	_Z17sort_pairs_kernelIiLj512ELj1EN10test_utils4lessELj10EEvPKT_PS2_T2_, .Lfunc_end31-_Z17sort_pairs_kernelIiLj512ELj1EN10test_utils4lessELj10EEvPKT_PS2_T2_
                                        ; -- End function
	.set _Z17sort_pairs_kernelIiLj512ELj1EN10test_utils4lessELj10EEvPKT_PS2_T2_.num_vgpr, 84
	.set _Z17sort_pairs_kernelIiLj512ELj1EN10test_utils4lessELj10EEvPKT_PS2_T2_.num_agpr, 0
	.set _Z17sort_pairs_kernelIiLj512ELj1EN10test_utils4lessELj10EEvPKT_PS2_T2_.numbered_sgpr, 18
	.set _Z17sort_pairs_kernelIiLj512ELj1EN10test_utils4lessELj10EEvPKT_PS2_T2_.num_named_barrier, 0
	.set _Z17sort_pairs_kernelIiLj512ELj1EN10test_utils4lessELj10EEvPKT_PS2_T2_.private_seg_size, 0
	.set _Z17sort_pairs_kernelIiLj512ELj1EN10test_utils4lessELj10EEvPKT_PS2_T2_.uses_vcc, 1
	.set _Z17sort_pairs_kernelIiLj512ELj1EN10test_utils4lessELj10EEvPKT_PS2_T2_.uses_flat_scratch, 0
	.set _Z17sort_pairs_kernelIiLj512ELj1EN10test_utils4lessELj10EEvPKT_PS2_T2_.has_dyn_sized_stack, 0
	.set _Z17sort_pairs_kernelIiLj512ELj1EN10test_utils4lessELj10EEvPKT_PS2_T2_.has_recursion, 0
	.set _Z17sort_pairs_kernelIiLj512ELj1EN10test_utils4lessELj10EEvPKT_PS2_T2_.has_indirect_call, 0
	.section	.AMDGPU.csdata,"",@progbits
; Kernel info:
; codeLenInByte = 4264
; TotalNumSgprs: 20
; NumVgprs: 84
; ScratchSize: 0
; MemoryBound: 0
; FloatMode: 240
; IeeeMode: 1
; LDSByteSize: 2052 bytes/workgroup (compile time only)
; SGPRBlocks: 0
; VGPRBlocks: 10
; NumSGPRsForWavesPerEU: 20
; NumVGPRsForWavesPerEU: 84
; Occupancy: 16
; WaveLimiterHint : 0
; COMPUTE_PGM_RSRC2:SCRATCH_EN: 0
; COMPUTE_PGM_RSRC2:USER_SGPR: 2
; COMPUTE_PGM_RSRC2:TRAP_HANDLER: 0
; COMPUTE_PGM_RSRC2:TGID_X_EN: 1
; COMPUTE_PGM_RSRC2:TGID_Y_EN: 0
; COMPUTE_PGM_RSRC2:TGID_Z_EN: 0
; COMPUTE_PGM_RSRC2:TIDIG_COMP_CNT: 0
	.section	.text._Z16sort_keys_kernelIiLj512ELj2EN10test_utils4lessELj10EEvPKT_PS2_T2_,"axG",@progbits,_Z16sort_keys_kernelIiLj512ELj2EN10test_utils4lessELj10EEvPKT_PS2_T2_,comdat
	.protected	_Z16sort_keys_kernelIiLj512ELj2EN10test_utils4lessELj10EEvPKT_PS2_T2_ ; -- Begin function _Z16sort_keys_kernelIiLj512ELj2EN10test_utils4lessELj10EEvPKT_PS2_T2_
	.globl	_Z16sort_keys_kernelIiLj512ELj2EN10test_utils4lessELj10EEvPKT_PS2_T2_
	.p2align	8
	.type	_Z16sort_keys_kernelIiLj512ELj2EN10test_utils4lessELj10EEvPKT_PS2_T2_,@function
_Z16sort_keys_kernelIiLj512ELj2EN10test_utils4lessELj10EEvPKT_PS2_T2_: ; @_Z16sort_keys_kernelIiLj512ELj2EN10test_utils4lessELj10EEvPKT_PS2_T2_
; %bb.0:
	s_load_b128 s[12:15], s[0:1], 0x0
	s_lshl_b32 s16, ttmp9, 10
	s_mov_b32 s17, 0
	v_lshlrev_b32_e32 v1, 2, v0
	s_lshl_b64 s[18:19], s[16:17], 2
	v_lshlrev_b32_e32 v60, 1, v0
	s_delay_alu instid0(VALU_DEP_1)
	v_and_b32_e32 v31, 0x380, v60
	v_and_b32_e32 v66, 0x7e, v60
	;; [unrolled: 1-line block ×5, first 2 shown]
	v_or_b32_e32 v33, 64, v31
	v_add_nc_u32_e32 v34, 0x80, v31
	v_and_b32_e32 v17, 0x3e0, v60
	v_and_b32_e32 v24, 0x3c0, v60
	;; [unrolled: 1-line block ×3, first 2 shown]
	s_wait_kmcnt 0x0
	s_add_nc_u64 s[0:1], s[12:13], s[18:19]
	v_sub_nc_u32_e32 v43, v34, v33
	s_clause 0x1
	global_load_b32 v70, v1, s[0:1]
	global_load_b32 v71, v1, s[0:1] offset:2048
	v_and_b32_e32 v1, 0x3fc, v60
	v_add_nc_u32_e32 v45, 0x100, v40
	v_or_b32_e32 v5, 4, v4
	v_sub_nc_u32_e32 v44, v66, v43
	v_cmp_ge_i32_e64 s4, v66, v43
	v_or_b32_e32 v2, 2, v1
	v_add_nc_u32_e32 v3, 4, v1
	v_add_nc_u32_e32 v6, 8, v4
	v_or_b32_e32 v12, 8, v10
	v_cndmask_b32_e64 v43, 0, v44, s4
	v_or_b32_e32 v44, 0x80, v40
	v_add_nc_u32_e32 v13, 16, v10
	v_or_b32_e32 v19, 16, v17
	v_add_nc_u32_e32 v20, 32, v17
	;; [unrolled: 2-line block ×4, first 2 shown]
	v_and_b32_e32 v67, 0xfe, v60
	v_sub_nc_u32_e32 v50, v45, v44
	v_and_b32_e32 v61, 2, v60
	v_sub_nc_u32_e32 v7, v3, v2
	;; [unrolled: 2-line block ×7, first 2 shown]
	v_sub_nc_u32_e32 v51, v67, v50
	v_cmp_ge_i32_e64 s5, v67, v50
	v_sub_nc_u32_e32 v8, v61, v7
	v_sub_nc_u32_e32 v9, v2, v1
	v_cmp_ge_i32_e32 vcc_lo, v61, v7
	v_sub_nc_u32_e32 v15, v62, v14
	v_sub_nc_u32_e32 v16, v5, v4
	v_cmp_ge_i32_e64 s0, v62, v14
	v_sub_nc_u32_e32 v22, v63, v21
	v_sub_nc_u32_e32 v23, v12, v10
	v_cmp_ge_i32_e64 s1, v63, v21
	;; [unrolled: 3-line block ×4, first 2 shown]
	v_sub_nc_u32_e32 v46, v33, v31
	v_sub_nc_u32_e32 v53, v44, v40
	;; [unrolled: 1-line block ×4, first 2 shown]
	s_wait_alu 0xf1ff
	v_cndmask_b32_e64 v50, 0, v51, s5
	v_cmp_ge_i32_e64 s5, v68, v52
	v_cndmask_b32_e32 v7, 0, v8, vcc_lo
	v_min_i32_e32 v8, v61, v9
	v_lshlrev_b32_e32 v9, 3, v0
	v_cndmask_b32_e64 v14, 0, v15, s0
	v_min_i32_e32 v15, v62, v16
	v_add_nc_u32_e32 v16, v2, v61
	v_cndmask_b32_e64 v21, 0, v22, s1
	v_min_i32_e32 v22, v63, v23
	v_add_nc_u32_e32 v23, v5, v62
	;; [unrolled: 3-line block ×4, first 2 shown]
	v_add_nc_u32_e32 v39, v26, v65
	v_min_i32_e32 v46, v66, v46
	v_add_nc_u32_e32 v49, v33, v66
	v_min_i32_e32 v51, v67, v53
	s_wait_alu 0xf1ff
	v_cndmask_b32_e64 v52, 0, v55, s5
	v_min_i32_e32 v53, v68, v54
	v_add_nc_u32_e32 v55, v44, v67
	v_subrev_nc_u32_e64 v57, 0x200, v60 clamp
	v_min_i32_e32 v58, 0x200, v60
	v_add_nc_u32_e32 v59, v47, v68
	v_lshlrev_b32_e32 v61, 2, v61
	v_lshlrev_b32_e32 v62, 2, v62
	;; [unrolled: 1-line block ×10, first 2 shown]
	v_cmp_lt_i32_e64 s0, v14, v15
	v_lshlrev_b32_e32 v25, 2, v10
	v_cmp_lt_i32_e64 s1, v21, v22
	v_lshlrev_b32_e32 v32, 2, v17
	;; [unrolled: 2-line block ×6, first 2 shown]
	v_cmp_lt_i32_e64 s6, v52, v53
	v_cmp_lt_i32_e64 s7, v57, v58
	v_add_nc_u32_e32 v60, 0x200, v60
	v_lshl_add_u32 v61, v2, 2, v61
	v_lshl_add_u32 v62, v5, 2, v62
	;; [unrolled: 1-line block ×8, first 2 shown]
	v_add_nc_u32_e32 v69, 0x800, v9
	v_cmp_lt_i32_e32 vcc_lo, v7, v8
	s_branch .LBB32_2
.LBB32_1:                               ;   in Loop: Header=BB32_2 Depth=1
	s_or_b32 exec_lo, exec_lo, s9
	v_cmp_le_i32_e64 s9, 0x200, v70
	s_wait_dscnt 0x0
	v_cmp_lt_i32_e64 s10, v76, v74
	v_cmp_gt_i32_e64 s11, 0x400, v71
	v_cndmask_b32_e64 v70, v72, v73, s8
	s_add_co_i32 s17, s17, 1
	s_or_b32 s9, s9, s10
	s_wait_alu 0xfffe
	s_and_b32 s8, s11, s9
	s_cmp_eq_u32 s17, 10
	s_wait_alu 0xfffe
	v_cndmask_b32_e64 v71, v74, v76, s8
	s_cbranch_scc1 .LBB32_74
.LBB32_2:                               ; =>This Loop Header: Depth=1
                                        ;     Child Loop BB32_4 Depth 2
                                        ;     Child Loop BB32_12 Depth 2
	;; [unrolled: 1-line block ×9, first 2 shown]
	s_wait_loadcnt 0x0
	s_delay_alu instid0(VALU_DEP_1)
	v_cmp_lt_i32_e64 s8, v71, v70
	s_barrier_signal -1
	s_barrier_wait -1
	global_inv scope:SCOPE_SE
	s_wait_alu 0xf1ff
	v_cndmask_b32_e64 v72, v71, v70, s8
	v_cndmask_b32_e64 v71, v70, v71, s8
	v_mov_b32_e32 v70, v7
	ds_store_2addr_b32 v9, v71, v72 offset1:1
	s_wait_loadcnt_dscnt 0x0
	s_barrier_signal -1
	s_barrier_wait -1
	global_inv scope:SCOPE_SE
	s_and_saveexec_b32 s9, vcc_lo
	s_cbranch_execz .LBB32_6
; %bb.3:                                ;   in Loop: Header=BB32_2 Depth=1
	v_dual_mov_b32 v70, v7 :: v_dual_mov_b32 v71, v8
	s_mov_b32 s10, 0
.LBB32_4:                               ;   Parent Loop BB32_2 Depth=1
                                        ; =>  This Inner Loop Header: Depth=2
	s_delay_alu instid0(VALU_DEP_1) | instskip(NEXT) | instid1(VALU_DEP_1)
	v_sub_nc_u32_e32 v72, v71, v70
	v_lshrrev_b32_e32 v72, 1, v72
	s_delay_alu instid0(VALU_DEP_1) | instskip(NEXT) | instid1(VALU_DEP_1)
	v_add_nc_u32_e32 v72, v72, v70
	v_not_b32_e32 v73, v72
	v_lshl_add_u32 v74, v72, 2, v11
	v_add_nc_u32_e32 v75, 1, v72
	s_delay_alu instid0(VALU_DEP_3)
	v_lshl_add_u32 v73, v73, 2, v61
	ds_load_b32 v74, v74
	ds_load_b32 v73, v73
	s_wait_dscnt 0x0
	v_cmp_lt_i32_e64 s8, v73, v74
	s_wait_alu 0xf1ff
	s_delay_alu instid0(VALU_DEP_1) | instskip(SKIP_1) | instid1(VALU_DEP_1)
	v_cndmask_b32_e64 v71, v71, v72, s8
	v_cndmask_b32_e64 v70, v75, v70, s8
	v_cmp_ge_i32_e64 s8, v70, v71
	s_or_b32 s10, s8, s10
	s_delay_alu instid0(SALU_CYCLE_1)
	s_and_not1_b32 exec_lo, exec_lo, s10
	s_cbranch_execnz .LBB32_4
; %bb.5:                                ;   in Loop: Header=BB32_2 Depth=1
	s_or_b32 exec_lo, exec_lo, s10
.LBB32_6:                               ;   in Loop: Header=BB32_2 Depth=1
	s_wait_alu 0xfffe
	s_or_b32 exec_lo, exec_lo, s9
	v_sub_nc_u32_e32 v73, v16, v70
	v_lshl_add_u32 v76, v70, 2, v11
	v_add_nc_u32_e32 v74, v70, v1
                                        ; implicit-def: $vgpr70
	s_delay_alu instid0(VALU_DEP_3) | instskip(SKIP_1) | instid1(VALU_DEP_3)
	v_lshlrev_b32_e32 v75, 2, v73
	v_cmp_gt_i32_e64 s10, v3, v73
	v_cmp_le_i32_e64 s8, v2, v74
	ds_load_b32 v71, v76
	ds_load_b32 v72, v75
	s_wait_dscnt 0x0
	v_cmp_lt_i32_e64 s9, v72, v71
	s_or_b32 s8, s8, s9
	s_wait_alu 0xfffe
	s_and_b32 s8, s10, s8
	s_wait_alu 0xfffe
	s_xor_b32 s9, s8, -1
	s_wait_alu 0xfffe
	s_and_saveexec_b32 s10, s9
	s_delay_alu instid0(SALU_CYCLE_1)
	s_xor_b32 s9, exec_lo, s10
; %bb.7:                                ;   in Loop: Header=BB32_2 Depth=1
	ds_load_b32 v70, v76 offset:4
                                        ; implicit-def: $vgpr75
; %bb.8:                                ;   in Loop: Header=BB32_2 Depth=1
	s_wait_alu 0xfffe
	s_or_saveexec_b32 s9, s9
	v_mov_b32_e32 v76, v72
	s_wait_alu 0xfffe
	s_xor_b32 exec_lo, exec_lo, s9
	s_cbranch_execz .LBB32_10
; %bb.9:                                ;   in Loop: Header=BB32_2 Depth=1
	ds_load_b32 v76, v75 offset:4
	s_wait_dscnt 0x1
	v_mov_b32_e32 v70, v71
.LBB32_10:                              ;   in Loop: Header=BB32_2 Depth=1
	s_or_b32 exec_lo, exec_lo, s9
	v_add_nc_u32_e32 v75, 1, v74
	v_add_nc_u32_e32 v77, 1, v73
	s_wait_dscnt 0x0
	v_cmp_lt_i32_e64 s9, v76, v70
	v_cndmask_b32_e64 v71, v71, v72, s8
	s_wait_loadcnt 0x0
	v_cndmask_b32_e64 v74, v75, v74, s8
	v_cndmask_b32_e64 v73, v73, v77, s8
	s_barrier_signal -1
	s_barrier_wait -1
	global_inv scope:SCOPE_SE
	v_cmp_ge_i32_e64 s10, v74, v2
	v_cmp_lt_i32_e64 s11, v73, v3
	s_or_b32 s8, s10, s9
	s_wait_alu 0xfffe
	s_and_b32 s8, s11, s8
	s_wait_alu 0xfffe
	v_cndmask_b32_e64 v72, v70, v76, s8
	v_mov_b32_e32 v70, v14
	ds_store_2addr_b32 v9, v71, v72 offset1:1
	s_wait_loadcnt_dscnt 0x0
	s_barrier_signal -1
	s_barrier_wait -1
	global_inv scope:SCOPE_SE
	s_and_saveexec_b32 s9, s0
	s_cbranch_execz .LBB32_14
; %bb.11:                               ;   in Loop: Header=BB32_2 Depth=1
	v_dual_mov_b32 v70, v14 :: v_dual_mov_b32 v71, v15
	s_mov_b32 s10, 0
.LBB32_12:                              ;   Parent Loop BB32_2 Depth=1
                                        ; =>  This Inner Loop Header: Depth=2
	s_delay_alu instid0(VALU_DEP_1) | instskip(NEXT) | instid1(VALU_DEP_1)
	v_sub_nc_u32_e32 v72, v71, v70
	v_lshrrev_b32_e32 v72, 1, v72
	s_delay_alu instid0(VALU_DEP_1) | instskip(NEXT) | instid1(VALU_DEP_1)
	v_add_nc_u32_e32 v72, v72, v70
	v_not_b32_e32 v73, v72
	v_lshl_add_u32 v74, v72, 2, v18
	v_add_nc_u32_e32 v75, 1, v72
	s_delay_alu instid0(VALU_DEP_3)
	v_lshl_add_u32 v73, v73, 2, v62
	ds_load_b32 v74, v74
	ds_load_b32 v73, v73
	s_wait_dscnt 0x0
	v_cmp_lt_i32_e64 s8, v73, v74
	s_wait_alu 0xf1ff
	s_delay_alu instid0(VALU_DEP_1) | instskip(SKIP_1) | instid1(VALU_DEP_1)
	v_cndmask_b32_e64 v71, v71, v72, s8
	v_cndmask_b32_e64 v70, v75, v70, s8
	v_cmp_ge_i32_e64 s8, v70, v71
	s_or_b32 s10, s8, s10
	s_delay_alu instid0(SALU_CYCLE_1)
	s_and_not1_b32 exec_lo, exec_lo, s10
	s_cbranch_execnz .LBB32_12
; %bb.13:                               ;   in Loop: Header=BB32_2 Depth=1
	s_or_b32 exec_lo, exec_lo, s10
.LBB32_14:                              ;   in Loop: Header=BB32_2 Depth=1
	s_wait_alu 0xfffe
	s_or_b32 exec_lo, exec_lo, s9
	v_sub_nc_u32_e32 v73, v23, v70
	v_lshl_add_u32 v76, v70, 2, v18
	v_add_nc_u32_e32 v74, v70, v4
                                        ; implicit-def: $vgpr70
	s_delay_alu instid0(VALU_DEP_3) | instskip(SKIP_1) | instid1(VALU_DEP_3)
	v_lshlrev_b32_e32 v75, 2, v73
	v_cmp_gt_i32_e64 s10, v6, v73
	v_cmp_le_i32_e64 s8, v5, v74
	ds_load_b32 v71, v76
	ds_load_b32 v72, v75
	s_wait_dscnt 0x0
	v_cmp_lt_i32_e64 s9, v72, v71
	s_or_b32 s8, s8, s9
	s_wait_alu 0xfffe
	s_and_b32 s8, s10, s8
	s_wait_alu 0xfffe
	s_xor_b32 s9, s8, -1
	s_wait_alu 0xfffe
	s_and_saveexec_b32 s10, s9
	s_delay_alu instid0(SALU_CYCLE_1)
	s_xor_b32 s9, exec_lo, s10
; %bb.15:                               ;   in Loop: Header=BB32_2 Depth=1
	ds_load_b32 v70, v76 offset:4
                                        ; implicit-def: $vgpr75
; %bb.16:                               ;   in Loop: Header=BB32_2 Depth=1
	s_wait_alu 0xfffe
	s_or_saveexec_b32 s9, s9
	v_mov_b32_e32 v76, v72
	s_wait_alu 0xfffe
	s_xor_b32 exec_lo, exec_lo, s9
	s_cbranch_execz .LBB32_18
; %bb.17:                               ;   in Loop: Header=BB32_2 Depth=1
	ds_load_b32 v76, v75 offset:4
	s_wait_dscnt 0x1
	v_mov_b32_e32 v70, v71
.LBB32_18:                              ;   in Loop: Header=BB32_2 Depth=1
	s_or_b32 exec_lo, exec_lo, s9
	v_add_nc_u32_e32 v75, 1, v74
	v_add_nc_u32_e32 v77, 1, v73
	s_wait_dscnt 0x0
	v_cmp_lt_i32_e64 s9, v76, v70
	v_cndmask_b32_e64 v71, v71, v72, s8
	s_wait_loadcnt 0x0
	v_cndmask_b32_e64 v74, v75, v74, s8
	v_cndmask_b32_e64 v73, v73, v77, s8
	s_barrier_signal -1
	s_barrier_wait -1
	global_inv scope:SCOPE_SE
	v_cmp_ge_i32_e64 s10, v74, v5
	v_cmp_lt_i32_e64 s11, v73, v6
	s_or_b32 s8, s10, s9
	s_wait_alu 0xfffe
	s_and_b32 s8, s11, s8
	s_wait_alu 0xfffe
	v_cndmask_b32_e64 v72, v70, v76, s8
	v_mov_b32_e32 v70, v21
	ds_store_2addr_b32 v9, v71, v72 offset1:1
	s_wait_loadcnt_dscnt 0x0
	s_barrier_signal -1
	s_barrier_wait -1
	global_inv scope:SCOPE_SE
	s_and_saveexec_b32 s9, s1
	s_cbranch_execz .LBB32_22
; %bb.19:                               ;   in Loop: Header=BB32_2 Depth=1
	v_dual_mov_b32 v70, v21 :: v_dual_mov_b32 v71, v22
	s_mov_b32 s10, 0
.LBB32_20:                              ;   Parent Loop BB32_2 Depth=1
                                        ; =>  This Inner Loop Header: Depth=2
	s_delay_alu instid0(VALU_DEP_1) | instskip(NEXT) | instid1(VALU_DEP_1)
	v_sub_nc_u32_e32 v72, v71, v70
	v_lshrrev_b32_e32 v72, 1, v72
	s_delay_alu instid0(VALU_DEP_1) | instskip(NEXT) | instid1(VALU_DEP_1)
	v_add_nc_u32_e32 v72, v72, v70
	v_not_b32_e32 v73, v72
	v_lshl_add_u32 v74, v72, 2, v25
	v_add_nc_u32_e32 v75, 1, v72
	s_delay_alu instid0(VALU_DEP_3)
	v_lshl_add_u32 v73, v73, 2, v63
	ds_load_b32 v74, v74
	ds_load_b32 v73, v73
	s_wait_dscnt 0x0
	v_cmp_lt_i32_e64 s8, v73, v74
	s_wait_alu 0xf1ff
	s_delay_alu instid0(VALU_DEP_1) | instskip(SKIP_1) | instid1(VALU_DEP_1)
	v_cndmask_b32_e64 v71, v71, v72, s8
	v_cndmask_b32_e64 v70, v75, v70, s8
	v_cmp_ge_i32_e64 s8, v70, v71
	s_or_b32 s10, s8, s10
	s_delay_alu instid0(SALU_CYCLE_1)
	s_and_not1_b32 exec_lo, exec_lo, s10
	s_cbranch_execnz .LBB32_20
; %bb.21:                               ;   in Loop: Header=BB32_2 Depth=1
	s_or_b32 exec_lo, exec_lo, s10
.LBB32_22:                              ;   in Loop: Header=BB32_2 Depth=1
	s_wait_alu 0xfffe
	s_or_b32 exec_lo, exec_lo, s9
	v_sub_nc_u32_e32 v73, v30, v70
	v_lshl_add_u32 v76, v70, 2, v25
	v_add_nc_u32_e32 v74, v70, v10
                                        ; implicit-def: $vgpr70
	s_delay_alu instid0(VALU_DEP_3) | instskip(SKIP_1) | instid1(VALU_DEP_3)
	v_lshlrev_b32_e32 v75, 2, v73
	v_cmp_gt_i32_e64 s10, v13, v73
	v_cmp_le_i32_e64 s8, v12, v74
	ds_load_b32 v71, v76
	ds_load_b32 v72, v75
	s_wait_dscnt 0x0
	v_cmp_lt_i32_e64 s9, v72, v71
	s_or_b32 s8, s8, s9
	s_wait_alu 0xfffe
	s_and_b32 s8, s10, s8
	s_wait_alu 0xfffe
	s_xor_b32 s9, s8, -1
	s_wait_alu 0xfffe
	s_and_saveexec_b32 s10, s9
	s_delay_alu instid0(SALU_CYCLE_1)
	s_xor_b32 s9, exec_lo, s10
; %bb.23:                               ;   in Loop: Header=BB32_2 Depth=1
	ds_load_b32 v70, v76 offset:4
                                        ; implicit-def: $vgpr75
; %bb.24:                               ;   in Loop: Header=BB32_2 Depth=1
	s_wait_alu 0xfffe
	s_or_saveexec_b32 s9, s9
	v_mov_b32_e32 v76, v72
	s_wait_alu 0xfffe
	s_xor_b32 exec_lo, exec_lo, s9
	s_cbranch_execz .LBB32_26
; %bb.25:                               ;   in Loop: Header=BB32_2 Depth=1
	ds_load_b32 v76, v75 offset:4
	s_wait_dscnt 0x1
	v_mov_b32_e32 v70, v71
.LBB32_26:                              ;   in Loop: Header=BB32_2 Depth=1
	s_or_b32 exec_lo, exec_lo, s9
	v_add_nc_u32_e32 v75, 1, v74
	v_add_nc_u32_e32 v77, 1, v73
	s_wait_dscnt 0x0
	v_cmp_lt_i32_e64 s9, v76, v70
	v_cndmask_b32_e64 v71, v71, v72, s8
	s_wait_loadcnt 0x0
	v_cndmask_b32_e64 v74, v75, v74, s8
	v_cndmask_b32_e64 v73, v73, v77, s8
	s_barrier_signal -1
	s_barrier_wait -1
	global_inv scope:SCOPE_SE
	v_cmp_ge_i32_e64 s10, v74, v12
	v_cmp_lt_i32_e64 s11, v73, v13
	s_or_b32 s8, s10, s9
	s_wait_alu 0xfffe
	s_and_b32 s8, s11, s8
	s_wait_alu 0xfffe
	v_cndmask_b32_e64 v72, v70, v76, s8
	v_mov_b32_e32 v70, v28
	ds_store_2addr_b32 v9, v71, v72 offset1:1
	s_wait_loadcnt_dscnt 0x0
	s_barrier_signal -1
	s_barrier_wait -1
	global_inv scope:SCOPE_SE
	s_and_saveexec_b32 s9, s2
	s_cbranch_execz .LBB32_30
; %bb.27:                               ;   in Loop: Header=BB32_2 Depth=1
	v_dual_mov_b32 v70, v28 :: v_dual_mov_b32 v71, v29
	s_mov_b32 s10, 0
.LBB32_28:                              ;   Parent Loop BB32_2 Depth=1
                                        ; =>  This Inner Loop Header: Depth=2
	s_delay_alu instid0(VALU_DEP_1) | instskip(NEXT) | instid1(VALU_DEP_1)
	v_sub_nc_u32_e32 v72, v71, v70
	v_lshrrev_b32_e32 v72, 1, v72
	s_delay_alu instid0(VALU_DEP_1) | instskip(NEXT) | instid1(VALU_DEP_1)
	v_add_nc_u32_e32 v72, v72, v70
	v_not_b32_e32 v73, v72
	v_lshl_add_u32 v74, v72, 2, v32
	v_add_nc_u32_e32 v75, 1, v72
	s_delay_alu instid0(VALU_DEP_3)
	v_lshl_add_u32 v73, v73, 2, v64
	ds_load_b32 v74, v74
	ds_load_b32 v73, v73
	s_wait_dscnt 0x0
	v_cmp_lt_i32_e64 s8, v73, v74
	s_wait_alu 0xf1ff
	s_delay_alu instid0(VALU_DEP_1) | instskip(SKIP_1) | instid1(VALU_DEP_1)
	v_cndmask_b32_e64 v71, v71, v72, s8
	v_cndmask_b32_e64 v70, v75, v70, s8
	v_cmp_ge_i32_e64 s8, v70, v71
	s_or_b32 s10, s8, s10
	s_delay_alu instid0(SALU_CYCLE_1)
	s_and_not1_b32 exec_lo, exec_lo, s10
	s_cbranch_execnz .LBB32_28
; %bb.29:                               ;   in Loop: Header=BB32_2 Depth=1
	s_or_b32 exec_lo, exec_lo, s10
.LBB32_30:                              ;   in Loop: Header=BB32_2 Depth=1
	s_wait_alu 0xfffe
	s_or_b32 exec_lo, exec_lo, s9
	v_sub_nc_u32_e32 v73, v37, v70
	v_lshl_add_u32 v76, v70, 2, v32
	v_add_nc_u32_e32 v74, v70, v17
                                        ; implicit-def: $vgpr70
	s_delay_alu instid0(VALU_DEP_3) | instskip(SKIP_1) | instid1(VALU_DEP_3)
	v_lshlrev_b32_e32 v75, 2, v73
	v_cmp_gt_i32_e64 s10, v20, v73
	v_cmp_le_i32_e64 s8, v19, v74
	ds_load_b32 v71, v76
	ds_load_b32 v72, v75
	s_wait_dscnt 0x0
	v_cmp_lt_i32_e64 s9, v72, v71
	s_or_b32 s8, s8, s9
	s_wait_alu 0xfffe
	s_and_b32 s8, s10, s8
	s_wait_alu 0xfffe
	s_xor_b32 s9, s8, -1
	s_wait_alu 0xfffe
	s_and_saveexec_b32 s10, s9
	s_delay_alu instid0(SALU_CYCLE_1)
	s_xor_b32 s9, exec_lo, s10
; %bb.31:                               ;   in Loop: Header=BB32_2 Depth=1
	ds_load_b32 v70, v76 offset:4
                                        ; implicit-def: $vgpr75
; %bb.32:                               ;   in Loop: Header=BB32_2 Depth=1
	s_wait_alu 0xfffe
	s_or_saveexec_b32 s9, s9
	v_mov_b32_e32 v76, v72
	s_wait_alu 0xfffe
	s_xor_b32 exec_lo, exec_lo, s9
	s_cbranch_execz .LBB32_34
; %bb.33:                               ;   in Loop: Header=BB32_2 Depth=1
	ds_load_b32 v76, v75 offset:4
	s_wait_dscnt 0x1
	v_mov_b32_e32 v70, v71
.LBB32_34:                              ;   in Loop: Header=BB32_2 Depth=1
	s_or_b32 exec_lo, exec_lo, s9
	v_add_nc_u32_e32 v75, 1, v74
	v_add_nc_u32_e32 v77, 1, v73
	s_wait_dscnt 0x0
	v_cmp_lt_i32_e64 s9, v76, v70
	v_cndmask_b32_e64 v71, v71, v72, s8
	s_wait_loadcnt 0x0
	v_cndmask_b32_e64 v74, v75, v74, s8
	v_cndmask_b32_e64 v73, v73, v77, s8
	s_barrier_signal -1
	s_barrier_wait -1
	global_inv scope:SCOPE_SE
	v_cmp_ge_i32_e64 s10, v74, v19
	v_cmp_lt_i32_e64 s11, v73, v20
	s_or_b32 s8, s10, s9
	s_wait_alu 0xfffe
	s_and_b32 s8, s11, s8
	s_wait_alu 0xfffe
	v_cndmask_b32_e64 v72, v70, v76, s8
	v_mov_b32_e32 v70, v35
	ds_store_2addr_b32 v9, v71, v72 offset1:1
	s_wait_loadcnt_dscnt 0x0
	s_barrier_signal -1
	s_barrier_wait -1
	global_inv scope:SCOPE_SE
	s_and_saveexec_b32 s9, s3
	s_cbranch_execz .LBB32_38
; %bb.35:                               ;   in Loop: Header=BB32_2 Depth=1
	v_dual_mov_b32 v70, v35 :: v_dual_mov_b32 v71, v36
	s_mov_b32 s10, 0
.LBB32_36:                              ;   Parent Loop BB32_2 Depth=1
                                        ; =>  This Inner Loop Header: Depth=2
	s_delay_alu instid0(VALU_DEP_1) | instskip(NEXT) | instid1(VALU_DEP_1)
	v_sub_nc_u32_e32 v72, v71, v70
	v_lshrrev_b32_e32 v72, 1, v72
	s_delay_alu instid0(VALU_DEP_1) | instskip(NEXT) | instid1(VALU_DEP_1)
	v_add_nc_u32_e32 v72, v72, v70
	v_not_b32_e32 v73, v72
	v_lshl_add_u32 v74, v72, 2, v38
	v_add_nc_u32_e32 v75, 1, v72
	s_delay_alu instid0(VALU_DEP_3)
	v_lshl_add_u32 v73, v73, 2, v65
	ds_load_b32 v74, v74
	ds_load_b32 v73, v73
	s_wait_dscnt 0x0
	v_cmp_lt_i32_e64 s8, v73, v74
	s_wait_alu 0xf1ff
	s_delay_alu instid0(VALU_DEP_1) | instskip(SKIP_1) | instid1(VALU_DEP_1)
	v_cndmask_b32_e64 v71, v71, v72, s8
	v_cndmask_b32_e64 v70, v75, v70, s8
	v_cmp_ge_i32_e64 s8, v70, v71
	s_or_b32 s10, s8, s10
	s_delay_alu instid0(SALU_CYCLE_1)
	s_and_not1_b32 exec_lo, exec_lo, s10
	s_cbranch_execnz .LBB32_36
; %bb.37:                               ;   in Loop: Header=BB32_2 Depth=1
	s_or_b32 exec_lo, exec_lo, s10
.LBB32_38:                              ;   in Loop: Header=BB32_2 Depth=1
	s_wait_alu 0xfffe
	s_or_b32 exec_lo, exec_lo, s9
	v_sub_nc_u32_e32 v73, v39, v70
	v_lshl_add_u32 v76, v70, 2, v38
	v_add_nc_u32_e32 v74, v70, v24
                                        ; implicit-def: $vgpr70
	s_delay_alu instid0(VALU_DEP_3) | instskip(SKIP_1) | instid1(VALU_DEP_3)
	v_lshlrev_b32_e32 v75, 2, v73
	v_cmp_gt_i32_e64 s10, v27, v73
	v_cmp_le_i32_e64 s8, v26, v74
	ds_load_b32 v71, v76
	ds_load_b32 v72, v75
	s_wait_dscnt 0x0
	v_cmp_lt_i32_e64 s9, v72, v71
	s_or_b32 s8, s8, s9
	s_wait_alu 0xfffe
	s_and_b32 s8, s10, s8
	s_wait_alu 0xfffe
	s_xor_b32 s9, s8, -1
	s_wait_alu 0xfffe
	s_and_saveexec_b32 s10, s9
	s_delay_alu instid0(SALU_CYCLE_1)
	s_xor_b32 s9, exec_lo, s10
; %bb.39:                               ;   in Loop: Header=BB32_2 Depth=1
	ds_load_b32 v70, v76 offset:4
                                        ; implicit-def: $vgpr75
; %bb.40:                               ;   in Loop: Header=BB32_2 Depth=1
	s_wait_alu 0xfffe
	s_or_saveexec_b32 s9, s9
	v_mov_b32_e32 v76, v72
	s_wait_alu 0xfffe
	s_xor_b32 exec_lo, exec_lo, s9
	s_cbranch_execz .LBB32_42
; %bb.41:                               ;   in Loop: Header=BB32_2 Depth=1
	ds_load_b32 v76, v75 offset:4
	s_wait_dscnt 0x1
	v_mov_b32_e32 v70, v71
.LBB32_42:                              ;   in Loop: Header=BB32_2 Depth=1
	s_or_b32 exec_lo, exec_lo, s9
	v_add_nc_u32_e32 v75, 1, v74
	v_add_nc_u32_e32 v77, 1, v73
	s_wait_dscnt 0x0
	v_cmp_lt_i32_e64 s9, v76, v70
	v_cndmask_b32_e64 v71, v71, v72, s8
	s_wait_loadcnt 0x0
	v_cndmask_b32_e64 v74, v75, v74, s8
	v_cndmask_b32_e64 v73, v73, v77, s8
	s_barrier_signal -1
	s_barrier_wait -1
	global_inv scope:SCOPE_SE
	v_cmp_ge_i32_e64 s10, v74, v26
	v_cmp_lt_i32_e64 s11, v73, v27
	s_or_b32 s8, s10, s9
	s_wait_alu 0xfffe
	s_and_b32 s8, s11, s8
	s_wait_alu 0xfffe
	v_cndmask_b32_e64 v72, v70, v76, s8
	v_mov_b32_e32 v70, v43
	ds_store_2addr_b32 v9, v71, v72 offset1:1
	s_wait_loadcnt_dscnt 0x0
	s_barrier_signal -1
	s_barrier_wait -1
	global_inv scope:SCOPE_SE
	s_and_saveexec_b32 s9, s4
	s_cbranch_execz .LBB32_46
; %bb.43:                               ;   in Loop: Header=BB32_2 Depth=1
	v_dual_mov_b32 v70, v43 :: v_dual_mov_b32 v71, v46
	s_mov_b32 s10, 0
.LBB32_44:                              ;   Parent Loop BB32_2 Depth=1
                                        ; =>  This Inner Loop Header: Depth=2
	s_delay_alu instid0(VALU_DEP_1) | instskip(NEXT) | instid1(VALU_DEP_1)
	v_sub_nc_u32_e32 v72, v71, v70
	v_lshrrev_b32_e32 v72, 1, v72
	s_delay_alu instid0(VALU_DEP_1) | instskip(NEXT) | instid1(VALU_DEP_1)
	v_add_nc_u32_e32 v72, v72, v70
	v_not_b32_e32 v73, v72
	v_lshl_add_u32 v74, v72, 2, v41
	v_add_nc_u32_e32 v75, 1, v72
	s_delay_alu instid0(VALU_DEP_3)
	v_lshl_add_u32 v73, v73, 2, v66
	ds_load_b32 v74, v74
	ds_load_b32 v73, v73
	s_wait_dscnt 0x0
	v_cmp_lt_i32_e64 s8, v73, v74
	s_wait_alu 0xf1ff
	s_delay_alu instid0(VALU_DEP_1) | instskip(SKIP_1) | instid1(VALU_DEP_1)
	v_cndmask_b32_e64 v71, v71, v72, s8
	v_cndmask_b32_e64 v70, v75, v70, s8
	v_cmp_ge_i32_e64 s8, v70, v71
	s_or_b32 s10, s8, s10
	s_delay_alu instid0(SALU_CYCLE_1)
	s_and_not1_b32 exec_lo, exec_lo, s10
	s_cbranch_execnz .LBB32_44
; %bb.45:                               ;   in Loop: Header=BB32_2 Depth=1
	s_or_b32 exec_lo, exec_lo, s10
.LBB32_46:                              ;   in Loop: Header=BB32_2 Depth=1
	s_wait_alu 0xfffe
	s_or_b32 exec_lo, exec_lo, s9
	v_sub_nc_u32_e32 v73, v49, v70
	v_lshl_add_u32 v76, v70, 2, v41
	v_add_nc_u32_e32 v74, v70, v31
                                        ; implicit-def: $vgpr70
	s_delay_alu instid0(VALU_DEP_3) | instskip(SKIP_1) | instid1(VALU_DEP_3)
	v_lshlrev_b32_e32 v75, 2, v73
	v_cmp_gt_i32_e64 s10, v34, v73
	v_cmp_le_i32_e64 s8, v33, v74
	ds_load_b32 v71, v76
	ds_load_b32 v72, v75
	s_wait_dscnt 0x0
	v_cmp_lt_i32_e64 s9, v72, v71
	s_or_b32 s8, s8, s9
	s_wait_alu 0xfffe
	s_and_b32 s8, s10, s8
	s_wait_alu 0xfffe
	s_xor_b32 s9, s8, -1
	s_wait_alu 0xfffe
	s_and_saveexec_b32 s10, s9
	s_delay_alu instid0(SALU_CYCLE_1)
	s_xor_b32 s9, exec_lo, s10
; %bb.47:                               ;   in Loop: Header=BB32_2 Depth=1
	ds_load_b32 v70, v76 offset:4
                                        ; implicit-def: $vgpr75
; %bb.48:                               ;   in Loop: Header=BB32_2 Depth=1
	s_wait_alu 0xfffe
	s_or_saveexec_b32 s9, s9
	v_mov_b32_e32 v76, v72
	s_wait_alu 0xfffe
	s_xor_b32 exec_lo, exec_lo, s9
	s_cbranch_execz .LBB32_50
; %bb.49:                               ;   in Loop: Header=BB32_2 Depth=1
	ds_load_b32 v76, v75 offset:4
	s_wait_dscnt 0x1
	v_mov_b32_e32 v70, v71
.LBB32_50:                              ;   in Loop: Header=BB32_2 Depth=1
	s_or_b32 exec_lo, exec_lo, s9
	v_add_nc_u32_e32 v75, 1, v74
	v_add_nc_u32_e32 v77, 1, v73
	s_wait_dscnt 0x0
	v_cmp_lt_i32_e64 s9, v76, v70
	v_cndmask_b32_e64 v71, v71, v72, s8
	s_wait_loadcnt 0x0
	v_cndmask_b32_e64 v74, v75, v74, s8
	v_cndmask_b32_e64 v73, v73, v77, s8
	s_barrier_signal -1
	s_barrier_wait -1
	global_inv scope:SCOPE_SE
	v_cmp_ge_i32_e64 s10, v74, v33
	v_cmp_lt_i32_e64 s11, v73, v34
	s_or_b32 s8, s10, s9
	s_wait_alu 0xfffe
	s_and_b32 s8, s11, s8
	s_wait_alu 0xfffe
	v_cndmask_b32_e64 v72, v70, v76, s8
	v_mov_b32_e32 v70, v50
	ds_store_2addr_b32 v9, v71, v72 offset1:1
	s_wait_loadcnt_dscnt 0x0
	s_barrier_signal -1
	s_barrier_wait -1
	global_inv scope:SCOPE_SE
	s_and_saveexec_b32 s9, s5
	s_cbranch_execz .LBB32_54
; %bb.51:                               ;   in Loop: Header=BB32_2 Depth=1
	v_dual_mov_b32 v70, v50 :: v_dual_mov_b32 v71, v51
	s_mov_b32 s10, 0
.LBB32_52:                              ;   Parent Loop BB32_2 Depth=1
                                        ; =>  This Inner Loop Header: Depth=2
	s_delay_alu instid0(VALU_DEP_1) | instskip(NEXT) | instid1(VALU_DEP_1)
	v_sub_nc_u32_e32 v72, v71, v70
	v_lshrrev_b32_e32 v72, 1, v72
	s_delay_alu instid0(VALU_DEP_1) | instskip(NEXT) | instid1(VALU_DEP_1)
	v_add_nc_u32_e32 v72, v72, v70
	v_not_b32_e32 v73, v72
	v_lshl_add_u32 v74, v72, 2, v54
	v_add_nc_u32_e32 v75, 1, v72
	s_delay_alu instid0(VALU_DEP_3)
	v_lshl_add_u32 v73, v73, 2, v67
	ds_load_b32 v74, v74
	ds_load_b32 v73, v73
	s_wait_dscnt 0x0
	v_cmp_lt_i32_e64 s8, v73, v74
	s_wait_alu 0xf1ff
	s_delay_alu instid0(VALU_DEP_1) | instskip(SKIP_1) | instid1(VALU_DEP_1)
	v_cndmask_b32_e64 v71, v71, v72, s8
	v_cndmask_b32_e64 v70, v75, v70, s8
	v_cmp_ge_i32_e64 s8, v70, v71
	s_or_b32 s10, s8, s10
	s_delay_alu instid0(SALU_CYCLE_1)
	s_and_not1_b32 exec_lo, exec_lo, s10
	s_cbranch_execnz .LBB32_52
; %bb.53:                               ;   in Loop: Header=BB32_2 Depth=1
	s_or_b32 exec_lo, exec_lo, s10
.LBB32_54:                              ;   in Loop: Header=BB32_2 Depth=1
	s_wait_alu 0xfffe
	s_or_b32 exec_lo, exec_lo, s9
	v_sub_nc_u32_e32 v73, v55, v70
	v_lshl_add_u32 v76, v70, 2, v54
	v_add_nc_u32_e32 v74, v70, v40
                                        ; implicit-def: $vgpr70
	s_delay_alu instid0(VALU_DEP_3) | instskip(SKIP_1) | instid1(VALU_DEP_3)
	v_lshlrev_b32_e32 v75, 2, v73
	v_cmp_gt_i32_e64 s10, v45, v73
	v_cmp_le_i32_e64 s8, v44, v74
	ds_load_b32 v71, v76
	ds_load_b32 v72, v75
	s_wait_dscnt 0x0
	v_cmp_lt_i32_e64 s9, v72, v71
	s_or_b32 s8, s8, s9
	s_wait_alu 0xfffe
	s_and_b32 s8, s10, s8
	s_wait_alu 0xfffe
	s_xor_b32 s9, s8, -1
	s_wait_alu 0xfffe
	s_and_saveexec_b32 s10, s9
	s_delay_alu instid0(SALU_CYCLE_1)
	s_xor_b32 s9, exec_lo, s10
; %bb.55:                               ;   in Loop: Header=BB32_2 Depth=1
	ds_load_b32 v70, v76 offset:4
                                        ; implicit-def: $vgpr75
; %bb.56:                               ;   in Loop: Header=BB32_2 Depth=1
	s_wait_alu 0xfffe
	s_or_saveexec_b32 s9, s9
	v_mov_b32_e32 v76, v72
	s_wait_alu 0xfffe
	s_xor_b32 exec_lo, exec_lo, s9
	s_cbranch_execz .LBB32_58
; %bb.57:                               ;   in Loop: Header=BB32_2 Depth=1
	ds_load_b32 v76, v75 offset:4
	s_wait_dscnt 0x1
	v_mov_b32_e32 v70, v71
.LBB32_58:                              ;   in Loop: Header=BB32_2 Depth=1
	s_or_b32 exec_lo, exec_lo, s9
	v_add_nc_u32_e32 v75, 1, v74
	v_add_nc_u32_e32 v77, 1, v73
	s_wait_dscnt 0x0
	v_cmp_lt_i32_e64 s9, v76, v70
	v_cndmask_b32_e64 v71, v71, v72, s8
	s_wait_loadcnt 0x0
	v_cndmask_b32_e64 v74, v75, v74, s8
	v_cndmask_b32_e64 v73, v73, v77, s8
	s_barrier_signal -1
	s_barrier_wait -1
	global_inv scope:SCOPE_SE
	v_cmp_ge_i32_e64 s10, v74, v44
	v_cmp_lt_i32_e64 s11, v73, v45
	s_or_b32 s8, s10, s9
	s_wait_alu 0xfffe
	s_and_b32 s8, s11, s8
	s_wait_alu 0xfffe
	v_cndmask_b32_e64 v72, v70, v76, s8
	v_mov_b32_e32 v70, v52
	ds_store_2addr_b32 v9, v71, v72 offset1:1
	s_wait_loadcnt_dscnt 0x0
	s_barrier_signal -1
	s_barrier_wait -1
	global_inv scope:SCOPE_SE
	s_and_saveexec_b32 s9, s6
	s_cbranch_execz .LBB32_62
; %bb.59:                               ;   in Loop: Header=BB32_2 Depth=1
	v_dual_mov_b32 v70, v52 :: v_dual_mov_b32 v71, v53
	s_mov_b32 s10, 0
.LBB32_60:                              ;   Parent Loop BB32_2 Depth=1
                                        ; =>  This Inner Loop Header: Depth=2
	s_delay_alu instid0(VALU_DEP_1) | instskip(NEXT) | instid1(VALU_DEP_1)
	v_sub_nc_u32_e32 v72, v71, v70
	v_lshrrev_b32_e32 v72, 1, v72
	s_delay_alu instid0(VALU_DEP_1) | instskip(NEXT) | instid1(VALU_DEP_1)
	v_add_nc_u32_e32 v72, v72, v70
	v_not_b32_e32 v73, v72
	v_lshl_add_u32 v74, v72, 2, v56
	v_add_nc_u32_e32 v75, 1, v72
	s_delay_alu instid0(VALU_DEP_3)
	v_lshl_add_u32 v73, v73, 2, v68
	ds_load_b32 v74, v74
	ds_load_b32 v73, v73
	s_wait_dscnt 0x0
	v_cmp_lt_i32_e64 s8, v73, v74
	s_wait_alu 0xf1ff
	s_delay_alu instid0(VALU_DEP_1) | instskip(SKIP_1) | instid1(VALU_DEP_1)
	v_cndmask_b32_e64 v71, v71, v72, s8
	v_cndmask_b32_e64 v70, v75, v70, s8
	v_cmp_ge_i32_e64 s8, v70, v71
	s_or_b32 s10, s8, s10
	s_delay_alu instid0(SALU_CYCLE_1)
	s_and_not1_b32 exec_lo, exec_lo, s10
	s_cbranch_execnz .LBB32_60
; %bb.61:                               ;   in Loop: Header=BB32_2 Depth=1
	s_or_b32 exec_lo, exec_lo, s10
.LBB32_62:                              ;   in Loop: Header=BB32_2 Depth=1
	s_wait_alu 0xfffe
	s_or_b32 exec_lo, exec_lo, s9
	v_sub_nc_u32_e32 v73, v59, v70
	v_lshl_add_u32 v76, v70, 2, v56
	v_add_nc_u32_e32 v74, v70, v42
                                        ; implicit-def: $vgpr70
	s_delay_alu instid0(VALU_DEP_3) | instskip(SKIP_1) | instid1(VALU_DEP_3)
	v_lshlrev_b32_e32 v75, 2, v73
	v_cmp_gt_i32_e64 s10, v48, v73
	v_cmp_le_i32_e64 s8, v47, v74
	ds_load_b32 v71, v76
	ds_load_b32 v72, v75
	s_wait_dscnt 0x0
	v_cmp_lt_i32_e64 s9, v72, v71
	s_or_b32 s8, s8, s9
	s_wait_alu 0xfffe
	s_and_b32 s8, s10, s8
	s_wait_alu 0xfffe
	s_xor_b32 s9, s8, -1
	s_wait_alu 0xfffe
	s_and_saveexec_b32 s10, s9
	s_delay_alu instid0(SALU_CYCLE_1)
	s_xor_b32 s9, exec_lo, s10
; %bb.63:                               ;   in Loop: Header=BB32_2 Depth=1
	ds_load_b32 v70, v76 offset:4
                                        ; implicit-def: $vgpr75
; %bb.64:                               ;   in Loop: Header=BB32_2 Depth=1
	s_wait_alu 0xfffe
	s_or_saveexec_b32 s9, s9
	v_mov_b32_e32 v76, v72
	s_wait_alu 0xfffe
	s_xor_b32 exec_lo, exec_lo, s9
	s_cbranch_execz .LBB32_66
; %bb.65:                               ;   in Loop: Header=BB32_2 Depth=1
	ds_load_b32 v76, v75 offset:4
	s_wait_dscnt 0x1
	v_mov_b32_e32 v70, v71
.LBB32_66:                              ;   in Loop: Header=BB32_2 Depth=1
	s_or_b32 exec_lo, exec_lo, s9
	v_add_nc_u32_e32 v75, 1, v74
	v_add_nc_u32_e32 v77, 1, v73
	s_wait_dscnt 0x0
	v_cmp_lt_i32_e64 s9, v76, v70
	v_cndmask_b32_e64 v71, v71, v72, s8
	s_wait_loadcnt 0x0
	v_cndmask_b32_e64 v74, v75, v74, s8
	v_cndmask_b32_e64 v73, v73, v77, s8
	s_barrier_signal -1
	s_barrier_wait -1
	global_inv scope:SCOPE_SE
	v_cmp_ge_i32_e64 s10, v74, v47
	v_cmp_lt_i32_e64 s11, v73, v48
	s_or_b32 s8, s10, s9
	s_wait_alu 0xfffe
	s_and_b32 s8, s11, s8
	s_wait_alu 0xfffe
	v_cndmask_b32_e64 v72, v70, v76, s8
	v_mov_b32_e32 v70, v57
	ds_store_2addr_b32 v9, v71, v72 offset1:1
	s_wait_loadcnt_dscnt 0x0
	s_barrier_signal -1
	s_barrier_wait -1
	global_inv scope:SCOPE_SE
	s_and_saveexec_b32 s9, s7
	s_cbranch_execz .LBB32_70
; %bb.67:                               ;   in Loop: Header=BB32_2 Depth=1
	v_dual_mov_b32 v70, v57 :: v_dual_mov_b32 v71, v58
	s_mov_b32 s10, 0
.LBB32_68:                              ;   Parent Loop BB32_2 Depth=1
                                        ; =>  This Inner Loop Header: Depth=2
	s_delay_alu instid0(VALU_DEP_1) | instskip(NEXT) | instid1(VALU_DEP_1)
	v_sub_nc_u32_e32 v72, v71, v70
	v_lshrrev_b32_e32 v72, 1, v72
	s_delay_alu instid0(VALU_DEP_1) | instskip(NEXT) | instid1(VALU_DEP_1)
	v_add_nc_u32_e32 v72, v72, v70
	v_not_b32_e32 v73, v72
	v_lshlrev_b32_e32 v74, 2, v72
	v_add_nc_u32_e32 v75, 1, v72
	s_delay_alu instid0(VALU_DEP_3)
	v_lshl_add_u32 v73, v73, 2, v69
	ds_load_b32 v74, v74
	ds_load_b32 v73, v73
	s_wait_dscnt 0x0
	v_cmp_lt_i32_e64 s8, v73, v74
	s_wait_alu 0xf1ff
	s_delay_alu instid0(VALU_DEP_1) | instskip(SKIP_1) | instid1(VALU_DEP_1)
	v_cndmask_b32_e64 v71, v71, v72, s8
	v_cndmask_b32_e64 v70, v75, v70, s8
	v_cmp_ge_i32_e64 s8, v70, v71
	s_or_b32 s10, s8, s10
	s_delay_alu instid0(SALU_CYCLE_1)
	s_and_not1_b32 exec_lo, exec_lo, s10
	s_cbranch_execnz .LBB32_68
; %bb.69:                               ;   in Loop: Header=BB32_2 Depth=1
	s_or_b32 exec_lo, exec_lo, s10
.LBB32_70:                              ;   in Loop: Header=BB32_2 Depth=1
	s_wait_alu 0xfffe
	s_or_b32 exec_lo, exec_lo, s9
	v_sub_nc_u32_e32 v71, v60, v70
	v_lshlrev_b32_e32 v76, 2, v70
	v_cmp_le_i32_e64 s8, 0x200, v70
                                        ; implicit-def: $vgpr74
	s_delay_alu instid0(VALU_DEP_3)
	v_lshlrev_b32_e32 v75, 2, v71
	v_cmp_gt_i32_e64 s10, 0x400, v71
	ds_load_b32 v72, v76
	ds_load_b32 v73, v75
	s_wait_dscnt 0x0
	v_cmp_lt_i32_e64 s9, v73, v72
	s_or_b32 s8, s8, s9
	s_wait_alu 0xfffe
	s_and_b32 s8, s10, s8
	s_wait_alu 0xfffe
	s_xor_b32 s9, s8, -1
	s_wait_alu 0xfffe
	s_and_saveexec_b32 s10, s9
	s_delay_alu instid0(SALU_CYCLE_1)
	s_xor_b32 s9, exec_lo, s10
; %bb.71:                               ;   in Loop: Header=BB32_2 Depth=1
	ds_load_b32 v74, v76 offset:4
	v_add_nc_u32_e32 v70, 1, v70
                                        ; implicit-def: $vgpr75
; %bb.72:                               ;   in Loop: Header=BB32_2 Depth=1
	s_wait_alu 0xfffe
	s_or_saveexec_b32 s9, s9
	v_mov_b32_e32 v76, v73
	s_wait_alu 0xfffe
	s_xor_b32 exec_lo, exec_lo, s9
	s_cbranch_execz .LBB32_1
; %bb.73:                               ;   in Loop: Header=BB32_2 Depth=1
	ds_load_b32 v76, v75 offset:4
	s_wait_dscnt 0x1
	v_dual_mov_b32 v74, v72 :: v_dual_add_nc_u32 v71, 1, v71
	s_branch .LBB32_1
.LBB32_74:
	v_lshlrev_b32_e32 v0, 2, v0
	s_add_nc_u64 s[0:1], s[14:15], s[18:19]
	s_clause 0x1
	global_store_b32 v0, v70, s[0:1]
	global_store_b32 v0, v71, s[0:1] offset:2048
	s_endpgm
	.section	.rodata,"a",@progbits
	.p2align	6, 0x0
	.amdhsa_kernel _Z16sort_keys_kernelIiLj512ELj2EN10test_utils4lessELj10EEvPKT_PS2_T2_
		.amdhsa_group_segment_fixed_size 4100
		.amdhsa_private_segment_fixed_size 0
		.amdhsa_kernarg_size 20
		.amdhsa_user_sgpr_count 2
		.amdhsa_user_sgpr_dispatch_ptr 0
		.amdhsa_user_sgpr_queue_ptr 0
		.amdhsa_user_sgpr_kernarg_segment_ptr 1
		.amdhsa_user_sgpr_dispatch_id 0
		.amdhsa_user_sgpr_private_segment_size 0
		.amdhsa_wavefront_size32 1
		.amdhsa_uses_dynamic_stack 0
		.amdhsa_enable_private_segment 0
		.amdhsa_system_sgpr_workgroup_id_x 1
		.amdhsa_system_sgpr_workgroup_id_y 0
		.amdhsa_system_sgpr_workgroup_id_z 0
		.amdhsa_system_sgpr_workgroup_info 0
		.amdhsa_system_vgpr_workitem_id 0
		.amdhsa_next_free_vgpr 78
		.amdhsa_next_free_sgpr 20
		.amdhsa_reserve_vcc 1
		.amdhsa_float_round_mode_32 0
		.amdhsa_float_round_mode_16_64 0
		.amdhsa_float_denorm_mode_32 3
		.amdhsa_float_denorm_mode_16_64 3
		.amdhsa_fp16_overflow 0
		.amdhsa_workgroup_processor_mode 1
		.amdhsa_memory_ordered 1
		.amdhsa_forward_progress 1
		.amdhsa_inst_pref_size 39
		.amdhsa_round_robin_scheduling 0
		.amdhsa_exception_fp_ieee_invalid_op 0
		.amdhsa_exception_fp_denorm_src 0
		.amdhsa_exception_fp_ieee_div_zero 0
		.amdhsa_exception_fp_ieee_overflow 0
		.amdhsa_exception_fp_ieee_underflow 0
		.amdhsa_exception_fp_ieee_inexact 0
		.amdhsa_exception_int_div_zero 0
	.end_amdhsa_kernel
	.section	.text._Z16sort_keys_kernelIiLj512ELj2EN10test_utils4lessELj10EEvPKT_PS2_T2_,"axG",@progbits,_Z16sort_keys_kernelIiLj512ELj2EN10test_utils4lessELj10EEvPKT_PS2_T2_,comdat
.Lfunc_end32:
	.size	_Z16sort_keys_kernelIiLj512ELj2EN10test_utils4lessELj10EEvPKT_PS2_T2_, .Lfunc_end32-_Z16sort_keys_kernelIiLj512ELj2EN10test_utils4lessELj10EEvPKT_PS2_T2_
                                        ; -- End function
	.set _Z16sort_keys_kernelIiLj512ELj2EN10test_utils4lessELj10EEvPKT_PS2_T2_.num_vgpr, 78
	.set _Z16sort_keys_kernelIiLj512ELj2EN10test_utils4lessELj10EEvPKT_PS2_T2_.num_agpr, 0
	.set _Z16sort_keys_kernelIiLj512ELj2EN10test_utils4lessELj10EEvPKT_PS2_T2_.numbered_sgpr, 20
	.set _Z16sort_keys_kernelIiLj512ELj2EN10test_utils4lessELj10EEvPKT_PS2_T2_.num_named_barrier, 0
	.set _Z16sort_keys_kernelIiLj512ELj2EN10test_utils4lessELj10EEvPKT_PS2_T2_.private_seg_size, 0
	.set _Z16sort_keys_kernelIiLj512ELj2EN10test_utils4lessELj10EEvPKT_PS2_T2_.uses_vcc, 1
	.set _Z16sort_keys_kernelIiLj512ELj2EN10test_utils4lessELj10EEvPKT_PS2_T2_.uses_flat_scratch, 0
	.set _Z16sort_keys_kernelIiLj512ELj2EN10test_utils4lessELj10EEvPKT_PS2_T2_.has_dyn_sized_stack, 0
	.set _Z16sort_keys_kernelIiLj512ELj2EN10test_utils4lessELj10EEvPKT_PS2_T2_.has_recursion, 0
	.set _Z16sort_keys_kernelIiLj512ELj2EN10test_utils4lessELj10EEvPKT_PS2_T2_.has_indirect_call, 0
	.section	.AMDGPU.csdata,"",@progbits
; Kernel info:
; codeLenInByte = 4968
; TotalNumSgprs: 22
; NumVgprs: 78
; ScratchSize: 0
; MemoryBound: 0
; FloatMode: 240
; IeeeMode: 1
; LDSByteSize: 4100 bytes/workgroup (compile time only)
; SGPRBlocks: 0
; VGPRBlocks: 9
; NumSGPRsForWavesPerEU: 22
; NumVGPRsForWavesPerEU: 78
; Occupancy: 16
; WaveLimiterHint : 1
; COMPUTE_PGM_RSRC2:SCRATCH_EN: 0
; COMPUTE_PGM_RSRC2:USER_SGPR: 2
; COMPUTE_PGM_RSRC2:TRAP_HANDLER: 0
; COMPUTE_PGM_RSRC2:TGID_X_EN: 1
; COMPUTE_PGM_RSRC2:TGID_Y_EN: 0
; COMPUTE_PGM_RSRC2:TGID_Z_EN: 0
; COMPUTE_PGM_RSRC2:TIDIG_COMP_CNT: 0
	.section	.text._Z17sort_pairs_kernelIiLj512ELj2EN10test_utils4lessELj10EEvPKT_PS2_T2_,"axG",@progbits,_Z17sort_pairs_kernelIiLj512ELj2EN10test_utils4lessELj10EEvPKT_PS2_T2_,comdat
	.protected	_Z17sort_pairs_kernelIiLj512ELj2EN10test_utils4lessELj10EEvPKT_PS2_T2_ ; -- Begin function _Z17sort_pairs_kernelIiLj512ELj2EN10test_utils4lessELj10EEvPKT_PS2_T2_
	.globl	_Z17sort_pairs_kernelIiLj512ELj2EN10test_utils4lessELj10EEvPKT_PS2_T2_
	.p2align	8
	.type	_Z17sort_pairs_kernelIiLj512ELj2EN10test_utils4lessELj10EEvPKT_PS2_T2_,@function
_Z17sort_pairs_kernelIiLj512ELj2EN10test_utils4lessELj10EEvPKT_PS2_T2_: ; @_Z17sort_pairs_kernelIiLj512ELj2EN10test_utils4lessELj10EEvPKT_PS2_T2_
; %bb.0:
	s_load_b128 s[12:15], s[0:1], 0x0
	s_lshl_b32 s18, ttmp9, 10
	s_mov_b32 s19, 0
	v_lshlrev_b32_e32 v1, 2, v0
	s_lshl_b64 s[16:17], s[18:19], 2
	v_lshlrev_b32_e32 v12, 1, v0
	s_delay_alu instid0(VALU_DEP_1)
	v_and_b32_e32 v2, 0x3fc, v12
	v_and_b32_e32 v3, 0x3f8, v12
	;; [unrolled: 1-line block ×5, first 2 shown]
	v_or_b32_e32 v13, 2, v2
	v_add_nc_u32_e32 v14, 4, v2
	v_or_b32_e32 v16, 4, v3
	v_add_nc_u32_e32 v17, 8, v3
	v_and_b32_e32 v5, 0x3e0, v12
	s_wait_kmcnt 0x0
	s_add_nc_u64 s[0:1], s[12:13], s[16:17]
	v_sub_nc_u32_e32 v69, v14, v13
	s_clause 0x1
	global_load_b32 v71, v1, s[0:1]
	global_load_b32 v70, v1, s[0:1] offset:2048
	v_or_b32_e32 v19, 8, v4
	v_add_nc_u32_e32 v20, 16, v4
	v_sub_nc_u32_e32 v53, v13, v2
	v_sub_nc_u32_e32 v72, v17, v16
	;; [unrolled: 1-line block ×3, first 2 shown]
	v_cmp_ge_i32_e64 s0, v61, v69
	v_and_b32_e32 v63, 14, v12
	v_and_b32_e32 v6, 0x3c0, v12
	v_or_b32_e32 v22, 16, v5
	v_add_nc_u32_e32 v23, 32, v5
	v_lshlrev_b32_e32 v45, 2, v61
	v_add_nc_u32_e32 v37, v13, v61
	v_sub_nc_u32_e32 v54, v16, v3
	v_sub_nc_u32_e32 v73, v20, v19
	v_min_i32_e32 v53, v61, v53
	v_sub_nc_u32_e32 v80, v62, v72
	v_cndmask_b32_e64 v61, 0, v79, s0
	v_cmp_ge_i32_e64 s0, v62, v72
	v_and_b32_e32 v64, 30, v12
	v_and_b32_e32 v7, 0x380, v12
	v_or_b32_e32 v25, 32, v6
	v_add_nc_u32_e32 v26, 64, v6
	v_lshlrev_b32_e32 v46, 2, v62
	v_add_nc_u32_e32 v38, v16, v62
	v_sub_nc_u32_e32 v55, v19, v4
	v_sub_nc_u32_e32 v74, v23, v22
	v_min_i32_e32 v54, v62, v54
	v_sub_nc_u32_e32 v81, v63, v73
	s_wait_alu 0xf1ff
	v_cndmask_b32_e64 v62, 0, v80, s0
	v_cmp_ge_i32_e64 s0, v63, v73
	v_and_b32_e32 v65, 62, v12
	v_and_b32_e32 v8, 0x300, v12
	v_or_b32_e32 v28, 64, v7
	v_add_nc_u32_e32 v29, 0x80, v7
	v_lshlrev_b32_e32 v47, 2, v63
	v_add_nc_u32_e32 v39, v19, v63
	v_sub_nc_u32_e32 v56, v22, v5
	v_sub_nc_u32_e32 v75, v26, v25
	v_min_i32_e32 v55, v63, v55
	v_sub_nc_u32_e32 v82, v64, v74
	s_wait_alu 0xf1ff
	;; [unrolled: 13-line block ×3, first 2 shown]
	v_cndmask_b32_e64 v64, 0, v82, s0
	v_cmp_ge_i32_e64 s0, v65, v75
	v_and_b32_e32 v67, 0xfe, v12
	v_or_b32_e32 v34, 0x100, v9
	v_add_nc_u32_e32 v35, 0x200, v9
	v_lshlrev_b32_e32 v49, 2, v65
	v_add_nc_u32_e32 v41, v25, v65
	v_sub_nc_u32_e32 v58, v28, v7
	v_sub_nc_u32_e32 v77, v32, v31
	v_min_i32_e32 v57, v65, v57
	v_sub_nc_u32_e32 v84, v66, v76
	s_wait_alu 0xf1ff
	v_cndmask_b32_e64 v65, 0, v83, s0
	v_cmp_ge_i32_e64 s0, v66, v76
	v_and_b32_e32 v68, 0x1fe, v12
	v_lshlrev_b32_e32 v50, 2, v66
	v_add_nc_u32_e32 v42, v28, v66
	v_sub_nc_u32_e32 v59, v31, v8
	v_sub_nc_u32_e32 v78, v35, v34
	v_min_i32_e32 v58, v66, v58
	v_sub_nc_u32_e32 v85, v67, v77
	s_wait_alu 0xf1ff
	v_cndmask_b32_e64 v66, 0, v84, s0
	v_cmp_ge_i32_e64 s0, v67, v77
	v_lshlrev_b32_e32 v51, 2, v67
	v_add_nc_u32_e32 v43, v31, v67
	v_sub_nc_u32_e32 v60, v34, v9
	v_min_i32_e32 v59, v67, v59
	v_sub_nc_u32_e32 v86, v68, v78
	s_wait_alu 0xf1ff
	v_cndmask_b32_e64 v67, 0, v85, s0
	v_cmp_ge_i32_e64 s0, v68, v78
	v_lshlrev_b32_e32 v1, 3, v0
	v_lshlrev_b32_e32 v52, 2, v68
	v_add_nc_u32_e32 v44, v34, v68
	v_min_i32_e32 v60, v68, v60
	s_wait_alu 0xf1ff
	v_cndmask_b32_e64 v68, 0, v86, s0
	v_subrev_nc_u32_e64 v10, 0x200, v12 clamp
	v_min_i32_e32 v11, 0x200, v12
	v_add_nc_u32_e32 v12, 0x200, v12
	v_lshlrev_b32_e32 v15, 2, v2
	v_lshlrev_b32_e32 v18, 2, v3
	v_lshlrev_b32_e32 v21, 2, v4
	v_lshlrev_b32_e32 v24, 2, v5
	v_lshlrev_b32_e32 v27, 2, v6
	v_lshlrev_b32_e32 v30, 2, v7
	v_lshlrev_b32_e32 v33, 2, v8
	v_lshlrev_b32_e32 v36, 2, v9
	v_lshl_add_u32 v45, v13, 2, v45
	v_lshl_add_u32 v46, v16, 2, v46
	;; [unrolled: 1-line block ×8, first 2 shown]
	v_cmp_lt_i32_e64 s0, v61, v53
	v_cmp_lt_i32_e64 s1, v62, v54
	;; [unrolled: 1-line block ×8, first 2 shown]
	v_add_nc_u32_e32 v69, 0x800, v1
	v_cmp_lt_i32_e32 vcc_lo, v10, v11
	s_wait_loadcnt 0x1
	v_add_nc_u32_e32 v73, 1, v71
	s_wait_loadcnt 0x0
	v_add_nc_u32_e32 v72, 1, v70
	s_branch .LBB33_2
.LBB33_1:                               ;   in Loop: Header=BB33_2 Depth=1
	s_or_b32 exec_lo, exec_lo, s9
	s_delay_alu instid0(VALU_DEP_2)
	v_cmp_le_i32_e64 s9, 0x200, v76
	s_wait_dscnt 0x0
	v_cmp_lt_i32_e64 s10, v80, v77
	v_cmp_gt_i32_e64 s11, 0x400, v73
	s_wait_loadcnt 0x0
	s_barrier_signal -1
	s_barrier_wait -1
	s_or_b32 s9, s9, s10
	global_inv scope:SCOPE_SE
	s_wait_alu 0xfffe
	s_and_b32 s9, s11, s9
	ds_store_2addr_b32 v1, v71, v72 offset1:1
	s_wait_alu 0xfffe
	v_cndmask_b32_e64 v73, v76, v73, s9
	v_lshlrev_b32_e32 v71, 2, v78
	s_wait_loadcnt_dscnt 0x0
	s_barrier_signal -1
	s_barrier_wait -1
	v_lshlrev_b32_e32 v72, 2, v73
	global_inv scope:SCOPE_SE
	v_cndmask_b32_e64 v70, v77, v80, s9
	ds_load_b32 v73, v71
	ds_load_b32 v72, v72
	v_cndmask_b32_e64 v71, v74, v75, s8
	s_add_co_i32 s19, s19, 1
	s_delay_alu instid0(SALU_CYCLE_1)
	s_cmp_eq_u32 s19, 10
	s_cbranch_scc1 .LBB33_74
.LBB33_2:                               ; =>This Loop Header: Depth=1
                                        ;     Child Loop BB33_4 Depth 2
                                        ;     Child Loop BB33_12 Depth 2
                                        ;     Child Loop BB33_20 Depth 2
                                        ;     Child Loop BB33_28 Depth 2
                                        ;     Child Loop BB33_36 Depth 2
                                        ;     Child Loop BB33_44 Depth 2
                                        ;     Child Loop BB33_52 Depth 2
                                        ;     Child Loop BB33_60 Depth 2
                                        ;     Child Loop BB33_68 Depth 2
	s_delay_alu instid0(VALU_DEP_1)
	v_cmp_lt_i32_e64 s8, v70, v71
	s_barrier_signal -1
	s_barrier_wait -1
	global_inv scope:SCOPE_SE
	s_wait_alu 0xf1ff
	v_cndmask_b32_e64 v74, v70, v71, s8
	v_cndmask_b32_e64 v71, v71, v70, s8
	v_mov_b32_e32 v70, v61
	ds_store_2addr_b32 v1, v71, v74 offset1:1
	s_wait_loadcnt_dscnt 0x0
	s_barrier_signal -1
	s_barrier_wait -1
	global_inv scope:SCOPE_SE
	s_and_saveexec_b32 s10, s0
	s_cbranch_execz .LBB33_6
; %bb.3:                                ;   in Loop: Header=BB33_2 Depth=1
	v_dual_mov_b32 v70, v61 :: v_dual_mov_b32 v71, v53
	s_mov_b32 s11, 0
.LBB33_4:                               ;   Parent Loop BB33_2 Depth=1
                                        ; =>  This Inner Loop Header: Depth=2
	s_delay_alu instid0(VALU_DEP_1) | instskip(NEXT) | instid1(VALU_DEP_1)
	v_sub_nc_u32_e32 v74, v71, v70
	v_lshrrev_b32_e32 v74, 1, v74
	s_delay_alu instid0(VALU_DEP_1) | instskip(NEXT) | instid1(VALU_DEP_1)
	v_add_nc_u32_e32 v74, v74, v70
	v_not_b32_e32 v75, v74
	v_lshl_add_u32 v76, v74, 2, v15
	v_add_nc_u32_e32 v77, 1, v74
	s_delay_alu instid0(VALU_DEP_3)
	v_lshl_add_u32 v75, v75, 2, v45
	ds_load_b32 v76, v76
	ds_load_b32 v75, v75
	s_wait_dscnt 0x0
	v_cmp_lt_i32_e64 s9, v75, v76
	s_wait_alu 0xf1ff
	s_delay_alu instid0(VALU_DEP_1) | instskip(SKIP_1) | instid1(VALU_DEP_1)
	v_cndmask_b32_e64 v71, v71, v74, s9
	v_cndmask_b32_e64 v70, v77, v70, s9
	v_cmp_ge_i32_e64 s9, v70, v71
	s_or_b32 s11, s9, s11
	s_delay_alu instid0(SALU_CYCLE_1)
	s_and_not1_b32 exec_lo, exec_lo, s11
	s_cbranch_execnz .LBB33_4
; %bb.5:                                ;   in Loop: Header=BB33_2 Depth=1
	s_or_b32 exec_lo, exec_lo, s11
.LBB33_6:                               ;   in Loop: Header=BB33_2 Depth=1
	s_delay_alu instid0(SALU_CYCLE_1) | instskip(SKIP_3) | instid1(VALU_DEP_3)
	s_or_b32 exec_lo, exec_lo, s10
	v_sub_nc_u32_e32 v71, v37, v70
	v_lshl_add_u32 v77, v70, 2, v15
	v_add_nc_u32_e32 v76, v70, v2
                                        ; implicit-def: $vgpr70
	v_lshlrev_b32_e32 v78, 2, v71
	v_cmp_gt_i32_e64 s11, v14, v71
	s_delay_alu instid0(VALU_DEP_3)
	v_cmp_le_i32_e64 s9, v13, v76
	ds_load_b32 v74, v77
	ds_load_b32 v75, v78
	s_wait_dscnt 0x0
	v_cmp_lt_i32_e64 s10, v75, v74
	s_or_b32 s9, s9, s10
	s_wait_alu 0xfffe
	s_and_b32 s9, s11, s9
	s_wait_alu 0xfffe
	s_xor_b32 s10, s9, -1
	s_delay_alu instid0(SALU_CYCLE_1) | instskip(NEXT) | instid1(SALU_CYCLE_1)
	s_and_saveexec_b32 s11, s10
	s_xor_b32 s10, exec_lo, s11
; %bb.7:                                ;   in Loop: Header=BB33_2 Depth=1
	ds_load_b32 v70, v77 offset:4
                                        ; implicit-def: $vgpr78
; %bb.8:                                ;   in Loop: Header=BB33_2 Depth=1
	s_or_saveexec_b32 s10, s10
	v_mov_b32_e32 v77, v75
	s_xor_b32 exec_lo, exec_lo, s10
	s_cbranch_execz .LBB33_10
; %bb.9:                                ;   in Loop: Header=BB33_2 Depth=1
	ds_load_b32 v77, v78 offset:4
	s_wait_dscnt 0x1
	v_mov_b32_e32 v70, v74
.LBB33_10:                              ;   in Loop: Header=BB33_2 Depth=1
	s_or_b32 exec_lo, exec_lo, s10
	v_add_nc_u32_e32 v78, 1, v76
	v_add_nc_u32_e32 v79, 1, v71
	s_wait_dscnt 0x0
	v_cmp_lt_i32_e64 s10, v77, v70
	s_wait_loadcnt 0x0
	s_barrier_signal -1
	v_cndmask_b32_e64 v78, v78, v76, s9
	v_cndmask_b32_e64 v79, v71, v79, s9
	;; [unrolled: 1-line block ×5, first 2 shown]
	v_cmp_ge_i32_e64 s11, v78, v13
	v_cmp_lt_i32_e64 s12, v79, v14
	v_lshlrev_b32_e32 v71, 2, v71
	s_barrier_wait -1
	global_inv scope:SCOPE_SE
	s_or_b32 s8, s11, s10
	ds_store_2addr_b32 v1, v72, v76 offset1:1
	s_wait_alu 0xfffe
	s_and_b32 s8, s12, s8
	s_wait_loadcnt_dscnt 0x0
	s_wait_alu 0xfffe
	v_cndmask_b32_e64 v73, v70, v77, s8
	v_cndmask_b32_e64 v70, v78, v79, s8
	s_barrier_signal -1
	s_barrier_wait -1
	global_inv scope:SCOPE_SE
	v_lshlrev_b32_e32 v72, 2, v70
	ds_load_b32 v70, v71
	ds_load_b32 v71, v72
	v_cndmask_b32_e64 v72, v74, v75, s9
	v_mov_b32_e32 v75, v62
	s_wait_loadcnt_dscnt 0x0
	s_barrier_signal -1
	s_barrier_wait -1
	global_inv scope:SCOPE_SE
	ds_store_2addr_b32 v1, v72, v73 offset1:1
	s_wait_loadcnt_dscnt 0x0
	s_barrier_signal -1
	s_barrier_wait -1
	global_inv scope:SCOPE_SE
	s_and_saveexec_b32 s9, s1
	s_cbranch_execz .LBB33_14
; %bb.11:                               ;   in Loop: Header=BB33_2 Depth=1
	v_dual_mov_b32 v75, v62 :: v_dual_mov_b32 v72, v54
	s_mov_b32 s10, 0
.LBB33_12:                              ;   Parent Loop BB33_2 Depth=1
                                        ; =>  This Inner Loop Header: Depth=2
	s_delay_alu instid0(VALU_DEP_1) | instskip(NEXT) | instid1(VALU_DEP_1)
	v_sub_nc_u32_e32 v73, v72, v75
	v_lshrrev_b32_e32 v73, 1, v73
	s_delay_alu instid0(VALU_DEP_1) | instskip(NEXT) | instid1(VALU_DEP_1)
	v_add_nc_u32_e32 v73, v73, v75
	v_not_b32_e32 v74, v73
	v_lshl_add_u32 v76, v73, 2, v18
	v_add_nc_u32_e32 v77, 1, v73
	s_delay_alu instid0(VALU_DEP_3)
	v_lshl_add_u32 v74, v74, 2, v46
	ds_load_b32 v76, v76
	ds_load_b32 v74, v74
	s_wait_dscnt 0x0
	v_cmp_lt_i32_e64 s8, v74, v76
	s_wait_alu 0xf1ff
	s_delay_alu instid0(VALU_DEP_1) | instskip(SKIP_1) | instid1(VALU_DEP_1)
	v_cndmask_b32_e64 v72, v72, v73, s8
	v_cndmask_b32_e64 v75, v77, v75, s8
	v_cmp_ge_i32_e64 s8, v75, v72
	s_or_b32 s10, s8, s10
	s_delay_alu instid0(SALU_CYCLE_1)
	s_and_not1_b32 exec_lo, exec_lo, s10
	s_cbranch_execnz .LBB33_12
; %bb.13:                               ;   in Loop: Header=BB33_2 Depth=1
	s_or_b32 exec_lo, exec_lo, s10
.LBB33_14:                              ;   in Loop: Header=BB33_2 Depth=1
	s_wait_alu 0xfffe
	s_or_b32 exec_lo, exec_lo, s9
	v_sub_nc_u32_e32 v74, v38, v75
	v_lshl_add_u32 v77, v75, 2, v18
	v_add_nc_u32_e32 v75, v75, v3
                                        ; implicit-def: $vgpr76
	s_delay_alu instid0(VALU_DEP_3) | instskip(SKIP_1) | instid1(VALU_DEP_3)
	v_lshlrev_b32_e32 v78, 2, v74
	v_cmp_gt_i32_e64 s10, v17, v74
	v_cmp_le_i32_e64 s8, v16, v75
	ds_load_b32 v72, v77
	ds_load_b32 v73, v78
	s_wait_dscnt 0x0
	v_cmp_lt_i32_e64 s9, v73, v72
	s_or_b32 s8, s8, s9
	s_wait_alu 0xfffe
	s_and_b32 s8, s10, s8
	s_wait_alu 0xfffe
	s_xor_b32 s9, s8, -1
	s_wait_alu 0xfffe
	s_and_saveexec_b32 s10, s9
	s_delay_alu instid0(SALU_CYCLE_1)
	s_xor_b32 s9, exec_lo, s10
; %bb.15:                               ;   in Loop: Header=BB33_2 Depth=1
	ds_load_b32 v76, v77 offset:4
                                        ; implicit-def: $vgpr78
; %bb.16:                               ;   in Loop: Header=BB33_2 Depth=1
	s_wait_alu 0xfffe
	s_or_saveexec_b32 s9, s9
	v_mov_b32_e32 v77, v73
	s_wait_alu 0xfffe
	s_xor_b32 exec_lo, exec_lo, s9
	s_cbranch_execz .LBB33_18
; %bb.17:                               ;   in Loop: Header=BB33_2 Depth=1
	ds_load_b32 v77, v78 offset:4
	s_wait_dscnt 0x1
	v_mov_b32_e32 v76, v72
.LBB33_18:                              ;   in Loop: Header=BB33_2 Depth=1
	s_or_b32 exec_lo, exec_lo, s9
	v_add_nc_u32_e32 v78, 1, v75
	v_add_nc_u32_e32 v79, 1, v74
	s_wait_dscnt 0x0
	v_cmp_lt_i32_e64 s9, v77, v76
	s_wait_loadcnt 0x0
	s_barrier_signal -1
	v_cndmask_b32_e64 v78, v78, v75, s8
	v_cndmask_b32_e64 v79, v74, v79, s8
	;; [unrolled: 1-line block ×3, first 2 shown]
	s_barrier_wait -1
	global_inv scope:SCOPE_SE
	v_cmp_ge_i32_e64 s10, v78, v16
	v_cmp_lt_i32_e64 s11, v79, v17
	ds_store_2addr_b32 v1, v70, v71 offset1:1
	v_lshlrev_b32_e32 v70, 2, v74
	s_wait_loadcnt_dscnt 0x0
	s_or_b32 s9, s10, s9
	s_barrier_signal -1
	s_wait_alu 0xfffe
	s_and_b32 s9, s11, s9
	s_barrier_wait -1
	s_wait_alu 0xfffe
	v_cndmask_b32_e64 v75, v76, v77, s9
	v_cndmask_b32_e64 v76, v78, v79, s9
	global_inv scope:SCOPE_SE
	v_cndmask_b32_e64 v72, v72, v73, s8
	v_lshlrev_b32_e32 v71, 2, v76
	ds_load_b32 v70, v70
	ds_load_b32 v71, v71
	s_wait_loadcnt_dscnt 0x0
	s_barrier_signal -1
	s_barrier_wait -1
	global_inv scope:SCOPE_SE
	ds_store_2addr_b32 v1, v72, v75 offset1:1
	v_mov_b32_e32 v75, v63
	s_wait_loadcnt_dscnt 0x0
	s_barrier_signal -1
	s_barrier_wait -1
	global_inv scope:SCOPE_SE
	s_and_saveexec_b32 s9, s2
	s_cbranch_execz .LBB33_22
; %bb.19:                               ;   in Loop: Header=BB33_2 Depth=1
	v_dual_mov_b32 v75, v63 :: v_dual_mov_b32 v72, v55
	s_mov_b32 s10, 0
.LBB33_20:                              ;   Parent Loop BB33_2 Depth=1
                                        ; =>  This Inner Loop Header: Depth=2
	s_delay_alu instid0(VALU_DEP_1) | instskip(NEXT) | instid1(VALU_DEP_1)
	v_sub_nc_u32_e32 v73, v72, v75
	v_lshrrev_b32_e32 v73, 1, v73
	s_delay_alu instid0(VALU_DEP_1) | instskip(NEXT) | instid1(VALU_DEP_1)
	v_add_nc_u32_e32 v73, v73, v75
	v_not_b32_e32 v74, v73
	v_lshl_add_u32 v76, v73, 2, v21
	v_add_nc_u32_e32 v77, 1, v73
	s_delay_alu instid0(VALU_DEP_3)
	v_lshl_add_u32 v74, v74, 2, v47
	ds_load_b32 v76, v76
	ds_load_b32 v74, v74
	s_wait_dscnt 0x0
	v_cmp_lt_i32_e64 s8, v74, v76
	s_wait_alu 0xf1ff
	s_delay_alu instid0(VALU_DEP_1) | instskip(SKIP_1) | instid1(VALU_DEP_1)
	v_cndmask_b32_e64 v72, v72, v73, s8
	v_cndmask_b32_e64 v75, v77, v75, s8
	v_cmp_ge_i32_e64 s8, v75, v72
	s_or_b32 s10, s8, s10
	s_delay_alu instid0(SALU_CYCLE_1)
	s_and_not1_b32 exec_lo, exec_lo, s10
	s_cbranch_execnz .LBB33_20
; %bb.21:                               ;   in Loop: Header=BB33_2 Depth=1
	s_or_b32 exec_lo, exec_lo, s10
.LBB33_22:                              ;   in Loop: Header=BB33_2 Depth=1
	s_wait_alu 0xfffe
	s_or_b32 exec_lo, exec_lo, s9
	v_sub_nc_u32_e32 v74, v39, v75
	v_lshl_add_u32 v77, v75, 2, v21
	v_add_nc_u32_e32 v75, v75, v4
                                        ; implicit-def: $vgpr76
	s_delay_alu instid0(VALU_DEP_3) | instskip(SKIP_1) | instid1(VALU_DEP_3)
	v_lshlrev_b32_e32 v78, 2, v74
	v_cmp_gt_i32_e64 s10, v20, v74
	v_cmp_le_i32_e64 s8, v19, v75
	ds_load_b32 v72, v77
	ds_load_b32 v73, v78
	s_wait_dscnt 0x0
	v_cmp_lt_i32_e64 s9, v73, v72
	s_or_b32 s8, s8, s9
	s_wait_alu 0xfffe
	s_and_b32 s8, s10, s8
	s_wait_alu 0xfffe
	s_xor_b32 s9, s8, -1
	s_wait_alu 0xfffe
	s_and_saveexec_b32 s10, s9
	s_delay_alu instid0(SALU_CYCLE_1)
	s_xor_b32 s9, exec_lo, s10
; %bb.23:                               ;   in Loop: Header=BB33_2 Depth=1
	ds_load_b32 v76, v77 offset:4
                                        ; implicit-def: $vgpr78
; %bb.24:                               ;   in Loop: Header=BB33_2 Depth=1
	s_wait_alu 0xfffe
	s_or_saveexec_b32 s9, s9
	v_mov_b32_e32 v77, v73
	s_wait_alu 0xfffe
	s_xor_b32 exec_lo, exec_lo, s9
	s_cbranch_execz .LBB33_26
; %bb.25:                               ;   in Loop: Header=BB33_2 Depth=1
	ds_load_b32 v77, v78 offset:4
	s_wait_dscnt 0x1
	v_mov_b32_e32 v76, v72
.LBB33_26:                              ;   in Loop: Header=BB33_2 Depth=1
	s_or_b32 exec_lo, exec_lo, s9
	v_add_nc_u32_e32 v78, 1, v75
	v_add_nc_u32_e32 v79, 1, v74
	s_wait_dscnt 0x0
	v_cmp_lt_i32_e64 s9, v77, v76
	s_wait_loadcnt 0x0
	s_barrier_signal -1
	v_cndmask_b32_e64 v78, v78, v75, s8
	v_cndmask_b32_e64 v79, v74, v79, s8
	;; [unrolled: 1-line block ×3, first 2 shown]
	s_barrier_wait -1
	global_inv scope:SCOPE_SE
	v_cmp_ge_i32_e64 s10, v78, v19
	v_cmp_lt_i32_e64 s11, v79, v20
	ds_store_2addr_b32 v1, v70, v71 offset1:1
	v_lshlrev_b32_e32 v70, 2, v74
	s_wait_loadcnt_dscnt 0x0
	s_or_b32 s9, s10, s9
	s_barrier_signal -1
	s_wait_alu 0xfffe
	s_and_b32 s9, s11, s9
	s_barrier_wait -1
	s_wait_alu 0xfffe
	v_cndmask_b32_e64 v75, v76, v77, s9
	v_cndmask_b32_e64 v76, v78, v79, s9
	global_inv scope:SCOPE_SE
	v_cndmask_b32_e64 v72, v72, v73, s8
	v_lshlrev_b32_e32 v71, 2, v76
	ds_load_b32 v70, v70
	ds_load_b32 v71, v71
	s_wait_loadcnt_dscnt 0x0
	s_barrier_signal -1
	s_barrier_wait -1
	global_inv scope:SCOPE_SE
	ds_store_2addr_b32 v1, v72, v75 offset1:1
	v_mov_b32_e32 v75, v64
	s_wait_loadcnt_dscnt 0x0
	s_barrier_signal -1
	s_barrier_wait -1
	global_inv scope:SCOPE_SE
	s_and_saveexec_b32 s9, s3
	s_cbranch_execz .LBB33_30
; %bb.27:                               ;   in Loop: Header=BB33_2 Depth=1
	v_dual_mov_b32 v75, v64 :: v_dual_mov_b32 v72, v56
	s_mov_b32 s10, 0
.LBB33_28:                              ;   Parent Loop BB33_2 Depth=1
                                        ; =>  This Inner Loop Header: Depth=2
	s_delay_alu instid0(VALU_DEP_1) | instskip(NEXT) | instid1(VALU_DEP_1)
	v_sub_nc_u32_e32 v73, v72, v75
	v_lshrrev_b32_e32 v73, 1, v73
	s_delay_alu instid0(VALU_DEP_1) | instskip(NEXT) | instid1(VALU_DEP_1)
	v_add_nc_u32_e32 v73, v73, v75
	v_not_b32_e32 v74, v73
	v_lshl_add_u32 v76, v73, 2, v24
	v_add_nc_u32_e32 v77, 1, v73
	s_delay_alu instid0(VALU_DEP_3)
	v_lshl_add_u32 v74, v74, 2, v48
	ds_load_b32 v76, v76
	ds_load_b32 v74, v74
	s_wait_dscnt 0x0
	v_cmp_lt_i32_e64 s8, v74, v76
	s_wait_alu 0xf1ff
	s_delay_alu instid0(VALU_DEP_1) | instskip(SKIP_1) | instid1(VALU_DEP_1)
	v_cndmask_b32_e64 v72, v72, v73, s8
	v_cndmask_b32_e64 v75, v77, v75, s8
	v_cmp_ge_i32_e64 s8, v75, v72
	s_or_b32 s10, s8, s10
	s_delay_alu instid0(SALU_CYCLE_1)
	s_and_not1_b32 exec_lo, exec_lo, s10
	s_cbranch_execnz .LBB33_28
; %bb.29:                               ;   in Loop: Header=BB33_2 Depth=1
	s_or_b32 exec_lo, exec_lo, s10
.LBB33_30:                              ;   in Loop: Header=BB33_2 Depth=1
	s_wait_alu 0xfffe
	s_or_b32 exec_lo, exec_lo, s9
	v_sub_nc_u32_e32 v74, v40, v75
	v_lshl_add_u32 v77, v75, 2, v24
	v_add_nc_u32_e32 v75, v75, v5
                                        ; implicit-def: $vgpr76
	s_delay_alu instid0(VALU_DEP_3) | instskip(SKIP_1) | instid1(VALU_DEP_3)
	v_lshlrev_b32_e32 v78, 2, v74
	v_cmp_gt_i32_e64 s10, v23, v74
	v_cmp_le_i32_e64 s8, v22, v75
	ds_load_b32 v72, v77
	ds_load_b32 v73, v78
	s_wait_dscnt 0x0
	v_cmp_lt_i32_e64 s9, v73, v72
	s_or_b32 s8, s8, s9
	s_wait_alu 0xfffe
	s_and_b32 s8, s10, s8
	s_wait_alu 0xfffe
	s_xor_b32 s9, s8, -1
	s_wait_alu 0xfffe
	s_and_saveexec_b32 s10, s9
	s_delay_alu instid0(SALU_CYCLE_1)
	s_xor_b32 s9, exec_lo, s10
; %bb.31:                               ;   in Loop: Header=BB33_2 Depth=1
	ds_load_b32 v76, v77 offset:4
                                        ; implicit-def: $vgpr78
; %bb.32:                               ;   in Loop: Header=BB33_2 Depth=1
	s_wait_alu 0xfffe
	s_or_saveexec_b32 s9, s9
	v_mov_b32_e32 v77, v73
	s_wait_alu 0xfffe
	s_xor_b32 exec_lo, exec_lo, s9
	s_cbranch_execz .LBB33_34
; %bb.33:                               ;   in Loop: Header=BB33_2 Depth=1
	ds_load_b32 v77, v78 offset:4
	s_wait_dscnt 0x1
	v_mov_b32_e32 v76, v72
.LBB33_34:                              ;   in Loop: Header=BB33_2 Depth=1
	s_or_b32 exec_lo, exec_lo, s9
	v_add_nc_u32_e32 v78, 1, v75
	v_add_nc_u32_e32 v79, 1, v74
	s_wait_dscnt 0x0
	v_cmp_lt_i32_e64 s9, v77, v76
	s_wait_loadcnt 0x0
	s_barrier_signal -1
	v_cndmask_b32_e64 v78, v78, v75, s8
	v_cndmask_b32_e64 v79, v74, v79, s8
	;; [unrolled: 1-line block ×3, first 2 shown]
	s_barrier_wait -1
	global_inv scope:SCOPE_SE
	v_cmp_ge_i32_e64 s10, v78, v22
	v_cmp_lt_i32_e64 s11, v79, v23
	ds_store_2addr_b32 v1, v70, v71 offset1:1
	v_lshlrev_b32_e32 v70, 2, v74
	s_wait_loadcnt_dscnt 0x0
	s_or_b32 s9, s10, s9
	s_barrier_signal -1
	s_wait_alu 0xfffe
	s_and_b32 s9, s11, s9
	s_barrier_wait -1
	s_wait_alu 0xfffe
	v_cndmask_b32_e64 v75, v76, v77, s9
	v_cndmask_b32_e64 v76, v78, v79, s9
	global_inv scope:SCOPE_SE
	v_cndmask_b32_e64 v72, v72, v73, s8
	v_lshlrev_b32_e32 v71, 2, v76
	ds_load_b32 v70, v70
	ds_load_b32 v71, v71
	s_wait_loadcnt_dscnt 0x0
	s_barrier_signal -1
	s_barrier_wait -1
	global_inv scope:SCOPE_SE
	ds_store_2addr_b32 v1, v72, v75 offset1:1
	v_mov_b32_e32 v75, v65
	s_wait_loadcnt_dscnt 0x0
	s_barrier_signal -1
	s_barrier_wait -1
	global_inv scope:SCOPE_SE
	s_and_saveexec_b32 s9, s4
	s_cbranch_execz .LBB33_38
; %bb.35:                               ;   in Loop: Header=BB33_2 Depth=1
	v_dual_mov_b32 v75, v65 :: v_dual_mov_b32 v72, v57
	s_mov_b32 s10, 0
.LBB33_36:                              ;   Parent Loop BB33_2 Depth=1
                                        ; =>  This Inner Loop Header: Depth=2
	s_delay_alu instid0(VALU_DEP_1) | instskip(NEXT) | instid1(VALU_DEP_1)
	v_sub_nc_u32_e32 v73, v72, v75
	v_lshrrev_b32_e32 v73, 1, v73
	s_delay_alu instid0(VALU_DEP_1) | instskip(NEXT) | instid1(VALU_DEP_1)
	v_add_nc_u32_e32 v73, v73, v75
	v_not_b32_e32 v74, v73
	v_lshl_add_u32 v76, v73, 2, v27
	v_add_nc_u32_e32 v77, 1, v73
	s_delay_alu instid0(VALU_DEP_3)
	v_lshl_add_u32 v74, v74, 2, v49
	ds_load_b32 v76, v76
	ds_load_b32 v74, v74
	s_wait_dscnt 0x0
	v_cmp_lt_i32_e64 s8, v74, v76
	s_wait_alu 0xf1ff
	s_delay_alu instid0(VALU_DEP_1) | instskip(SKIP_1) | instid1(VALU_DEP_1)
	v_cndmask_b32_e64 v72, v72, v73, s8
	v_cndmask_b32_e64 v75, v77, v75, s8
	v_cmp_ge_i32_e64 s8, v75, v72
	s_or_b32 s10, s8, s10
	s_delay_alu instid0(SALU_CYCLE_1)
	s_and_not1_b32 exec_lo, exec_lo, s10
	s_cbranch_execnz .LBB33_36
; %bb.37:                               ;   in Loop: Header=BB33_2 Depth=1
	s_or_b32 exec_lo, exec_lo, s10
.LBB33_38:                              ;   in Loop: Header=BB33_2 Depth=1
	s_wait_alu 0xfffe
	s_or_b32 exec_lo, exec_lo, s9
	v_sub_nc_u32_e32 v74, v41, v75
	v_lshl_add_u32 v77, v75, 2, v27
	v_add_nc_u32_e32 v75, v75, v6
                                        ; implicit-def: $vgpr76
	s_delay_alu instid0(VALU_DEP_3) | instskip(SKIP_1) | instid1(VALU_DEP_3)
	v_lshlrev_b32_e32 v78, 2, v74
	v_cmp_gt_i32_e64 s10, v26, v74
	v_cmp_le_i32_e64 s8, v25, v75
	ds_load_b32 v72, v77
	ds_load_b32 v73, v78
	s_wait_dscnt 0x0
	v_cmp_lt_i32_e64 s9, v73, v72
	s_or_b32 s8, s8, s9
	s_wait_alu 0xfffe
	s_and_b32 s8, s10, s8
	s_wait_alu 0xfffe
	s_xor_b32 s9, s8, -1
	s_wait_alu 0xfffe
	s_and_saveexec_b32 s10, s9
	s_delay_alu instid0(SALU_CYCLE_1)
	s_xor_b32 s9, exec_lo, s10
; %bb.39:                               ;   in Loop: Header=BB33_2 Depth=1
	ds_load_b32 v76, v77 offset:4
                                        ; implicit-def: $vgpr78
; %bb.40:                               ;   in Loop: Header=BB33_2 Depth=1
	s_wait_alu 0xfffe
	s_or_saveexec_b32 s9, s9
	v_mov_b32_e32 v77, v73
	s_wait_alu 0xfffe
	s_xor_b32 exec_lo, exec_lo, s9
	s_cbranch_execz .LBB33_42
; %bb.41:                               ;   in Loop: Header=BB33_2 Depth=1
	ds_load_b32 v77, v78 offset:4
	s_wait_dscnt 0x1
	v_mov_b32_e32 v76, v72
.LBB33_42:                              ;   in Loop: Header=BB33_2 Depth=1
	s_or_b32 exec_lo, exec_lo, s9
	v_add_nc_u32_e32 v78, 1, v75
	v_add_nc_u32_e32 v79, 1, v74
	s_wait_dscnt 0x0
	v_cmp_lt_i32_e64 s9, v77, v76
	s_wait_loadcnt 0x0
	s_barrier_signal -1
	v_cndmask_b32_e64 v78, v78, v75, s8
	v_cndmask_b32_e64 v79, v74, v79, s8
	;; [unrolled: 1-line block ×3, first 2 shown]
	s_barrier_wait -1
	global_inv scope:SCOPE_SE
	v_cmp_ge_i32_e64 s10, v78, v25
	v_cmp_lt_i32_e64 s11, v79, v26
	ds_store_2addr_b32 v1, v70, v71 offset1:1
	v_lshlrev_b32_e32 v70, 2, v74
	s_wait_loadcnt_dscnt 0x0
	s_or_b32 s9, s10, s9
	s_barrier_signal -1
	s_wait_alu 0xfffe
	s_and_b32 s9, s11, s9
	s_barrier_wait -1
	s_wait_alu 0xfffe
	v_cndmask_b32_e64 v75, v76, v77, s9
	v_cndmask_b32_e64 v76, v78, v79, s9
	global_inv scope:SCOPE_SE
	v_cndmask_b32_e64 v72, v72, v73, s8
	v_lshlrev_b32_e32 v71, 2, v76
	ds_load_b32 v70, v70
	ds_load_b32 v71, v71
	s_wait_loadcnt_dscnt 0x0
	s_barrier_signal -1
	s_barrier_wait -1
	global_inv scope:SCOPE_SE
	ds_store_2addr_b32 v1, v72, v75 offset1:1
	v_mov_b32_e32 v75, v66
	s_wait_loadcnt_dscnt 0x0
	s_barrier_signal -1
	s_barrier_wait -1
	global_inv scope:SCOPE_SE
	s_and_saveexec_b32 s9, s5
	s_cbranch_execz .LBB33_46
; %bb.43:                               ;   in Loop: Header=BB33_2 Depth=1
	v_dual_mov_b32 v75, v66 :: v_dual_mov_b32 v72, v58
	s_mov_b32 s10, 0
.LBB33_44:                              ;   Parent Loop BB33_2 Depth=1
                                        ; =>  This Inner Loop Header: Depth=2
	s_delay_alu instid0(VALU_DEP_1) | instskip(NEXT) | instid1(VALU_DEP_1)
	v_sub_nc_u32_e32 v73, v72, v75
	v_lshrrev_b32_e32 v73, 1, v73
	s_delay_alu instid0(VALU_DEP_1) | instskip(NEXT) | instid1(VALU_DEP_1)
	v_add_nc_u32_e32 v73, v73, v75
	v_not_b32_e32 v74, v73
	v_lshl_add_u32 v76, v73, 2, v30
	v_add_nc_u32_e32 v77, 1, v73
	s_delay_alu instid0(VALU_DEP_3)
	v_lshl_add_u32 v74, v74, 2, v50
	ds_load_b32 v76, v76
	ds_load_b32 v74, v74
	s_wait_dscnt 0x0
	v_cmp_lt_i32_e64 s8, v74, v76
	s_wait_alu 0xf1ff
	s_delay_alu instid0(VALU_DEP_1) | instskip(SKIP_1) | instid1(VALU_DEP_1)
	v_cndmask_b32_e64 v72, v72, v73, s8
	v_cndmask_b32_e64 v75, v77, v75, s8
	v_cmp_ge_i32_e64 s8, v75, v72
	s_or_b32 s10, s8, s10
	s_delay_alu instid0(SALU_CYCLE_1)
	s_and_not1_b32 exec_lo, exec_lo, s10
	s_cbranch_execnz .LBB33_44
; %bb.45:                               ;   in Loop: Header=BB33_2 Depth=1
	s_or_b32 exec_lo, exec_lo, s10
.LBB33_46:                              ;   in Loop: Header=BB33_2 Depth=1
	s_wait_alu 0xfffe
	s_or_b32 exec_lo, exec_lo, s9
	v_sub_nc_u32_e32 v74, v42, v75
	v_lshl_add_u32 v77, v75, 2, v30
	v_add_nc_u32_e32 v75, v75, v7
                                        ; implicit-def: $vgpr76
	s_delay_alu instid0(VALU_DEP_3) | instskip(SKIP_1) | instid1(VALU_DEP_3)
	v_lshlrev_b32_e32 v78, 2, v74
	v_cmp_gt_i32_e64 s10, v29, v74
	v_cmp_le_i32_e64 s8, v28, v75
	ds_load_b32 v72, v77
	ds_load_b32 v73, v78
	s_wait_dscnt 0x0
	v_cmp_lt_i32_e64 s9, v73, v72
	s_or_b32 s8, s8, s9
	s_wait_alu 0xfffe
	s_and_b32 s8, s10, s8
	s_wait_alu 0xfffe
	s_xor_b32 s9, s8, -1
	s_wait_alu 0xfffe
	s_and_saveexec_b32 s10, s9
	s_delay_alu instid0(SALU_CYCLE_1)
	s_xor_b32 s9, exec_lo, s10
; %bb.47:                               ;   in Loop: Header=BB33_2 Depth=1
	ds_load_b32 v76, v77 offset:4
                                        ; implicit-def: $vgpr78
; %bb.48:                               ;   in Loop: Header=BB33_2 Depth=1
	s_wait_alu 0xfffe
	s_or_saveexec_b32 s9, s9
	v_mov_b32_e32 v77, v73
	s_wait_alu 0xfffe
	s_xor_b32 exec_lo, exec_lo, s9
	s_cbranch_execz .LBB33_50
; %bb.49:                               ;   in Loop: Header=BB33_2 Depth=1
	ds_load_b32 v77, v78 offset:4
	s_wait_dscnt 0x1
	v_mov_b32_e32 v76, v72
.LBB33_50:                              ;   in Loop: Header=BB33_2 Depth=1
	s_or_b32 exec_lo, exec_lo, s9
	v_add_nc_u32_e32 v78, 1, v75
	v_add_nc_u32_e32 v79, 1, v74
	s_wait_dscnt 0x0
	v_cmp_lt_i32_e64 s9, v77, v76
	s_wait_loadcnt 0x0
	s_barrier_signal -1
	v_cndmask_b32_e64 v78, v78, v75, s8
	v_cndmask_b32_e64 v79, v74, v79, s8
	;; [unrolled: 1-line block ×3, first 2 shown]
	s_barrier_wait -1
	global_inv scope:SCOPE_SE
	v_cmp_ge_i32_e64 s10, v78, v28
	v_cmp_lt_i32_e64 s11, v79, v29
	ds_store_2addr_b32 v1, v70, v71 offset1:1
	v_lshlrev_b32_e32 v70, 2, v74
	s_wait_loadcnt_dscnt 0x0
	s_or_b32 s9, s10, s9
	s_barrier_signal -1
	s_wait_alu 0xfffe
	s_and_b32 s9, s11, s9
	s_barrier_wait -1
	s_wait_alu 0xfffe
	v_cndmask_b32_e64 v75, v76, v77, s9
	v_cndmask_b32_e64 v76, v78, v79, s9
	global_inv scope:SCOPE_SE
	v_cndmask_b32_e64 v72, v72, v73, s8
	v_lshlrev_b32_e32 v71, 2, v76
	ds_load_b32 v70, v70
	ds_load_b32 v71, v71
	s_wait_loadcnt_dscnt 0x0
	s_barrier_signal -1
	s_barrier_wait -1
	global_inv scope:SCOPE_SE
	ds_store_2addr_b32 v1, v72, v75 offset1:1
	v_mov_b32_e32 v75, v67
	s_wait_loadcnt_dscnt 0x0
	s_barrier_signal -1
	s_barrier_wait -1
	global_inv scope:SCOPE_SE
	s_and_saveexec_b32 s9, s6
	s_cbranch_execz .LBB33_54
; %bb.51:                               ;   in Loop: Header=BB33_2 Depth=1
	v_dual_mov_b32 v75, v67 :: v_dual_mov_b32 v72, v59
	s_mov_b32 s10, 0
.LBB33_52:                              ;   Parent Loop BB33_2 Depth=1
                                        ; =>  This Inner Loop Header: Depth=2
	s_delay_alu instid0(VALU_DEP_1) | instskip(NEXT) | instid1(VALU_DEP_1)
	v_sub_nc_u32_e32 v73, v72, v75
	v_lshrrev_b32_e32 v73, 1, v73
	s_delay_alu instid0(VALU_DEP_1) | instskip(NEXT) | instid1(VALU_DEP_1)
	v_add_nc_u32_e32 v73, v73, v75
	v_not_b32_e32 v74, v73
	v_lshl_add_u32 v76, v73, 2, v33
	v_add_nc_u32_e32 v77, 1, v73
	s_delay_alu instid0(VALU_DEP_3)
	v_lshl_add_u32 v74, v74, 2, v51
	ds_load_b32 v76, v76
	ds_load_b32 v74, v74
	s_wait_dscnt 0x0
	v_cmp_lt_i32_e64 s8, v74, v76
	s_wait_alu 0xf1ff
	s_delay_alu instid0(VALU_DEP_1) | instskip(SKIP_1) | instid1(VALU_DEP_1)
	v_cndmask_b32_e64 v72, v72, v73, s8
	v_cndmask_b32_e64 v75, v77, v75, s8
	v_cmp_ge_i32_e64 s8, v75, v72
	s_or_b32 s10, s8, s10
	s_delay_alu instid0(SALU_CYCLE_1)
	s_and_not1_b32 exec_lo, exec_lo, s10
	s_cbranch_execnz .LBB33_52
; %bb.53:                               ;   in Loop: Header=BB33_2 Depth=1
	s_or_b32 exec_lo, exec_lo, s10
.LBB33_54:                              ;   in Loop: Header=BB33_2 Depth=1
	s_wait_alu 0xfffe
	s_or_b32 exec_lo, exec_lo, s9
	v_sub_nc_u32_e32 v74, v43, v75
	v_lshl_add_u32 v77, v75, 2, v33
	v_add_nc_u32_e32 v75, v75, v8
                                        ; implicit-def: $vgpr76
	s_delay_alu instid0(VALU_DEP_3) | instskip(SKIP_1) | instid1(VALU_DEP_3)
	v_lshlrev_b32_e32 v78, 2, v74
	v_cmp_gt_i32_e64 s10, v32, v74
	v_cmp_le_i32_e64 s8, v31, v75
	ds_load_b32 v72, v77
	ds_load_b32 v73, v78
	s_wait_dscnt 0x0
	v_cmp_lt_i32_e64 s9, v73, v72
	s_or_b32 s8, s8, s9
	s_wait_alu 0xfffe
	s_and_b32 s8, s10, s8
	s_wait_alu 0xfffe
	s_xor_b32 s9, s8, -1
	s_wait_alu 0xfffe
	s_and_saveexec_b32 s10, s9
	s_delay_alu instid0(SALU_CYCLE_1)
	s_xor_b32 s9, exec_lo, s10
; %bb.55:                               ;   in Loop: Header=BB33_2 Depth=1
	ds_load_b32 v76, v77 offset:4
                                        ; implicit-def: $vgpr78
; %bb.56:                               ;   in Loop: Header=BB33_2 Depth=1
	s_wait_alu 0xfffe
	s_or_saveexec_b32 s9, s9
	v_mov_b32_e32 v77, v73
	s_wait_alu 0xfffe
	s_xor_b32 exec_lo, exec_lo, s9
	s_cbranch_execz .LBB33_58
; %bb.57:                               ;   in Loop: Header=BB33_2 Depth=1
	ds_load_b32 v77, v78 offset:4
	s_wait_dscnt 0x1
	v_mov_b32_e32 v76, v72
.LBB33_58:                              ;   in Loop: Header=BB33_2 Depth=1
	s_or_b32 exec_lo, exec_lo, s9
	v_add_nc_u32_e32 v78, 1, v75
	v_add_nc_u32_e32 v79, 1, v74
	s_wait_dscnt 0x0
	v_cmp_lt_i32_e64 s9, v77, v76
	s_wait_loadcnt 0x0
	s_barrier_signal -1
	v_cndmask_b32_e64 v78, v78, v75, s8
	v_cndmask_b32_e64 v79, v74, v79, s8
	;; [unrolled: 1-line block ×3, first 2 shown]
	s_barrier_wait -1
	global_inv scope:SCOPE_SE
	v_cmp_ge_i32_e64 s10, v78, v31
	v_cmp_lt_i32_e64 s11, v79, v32
	ds_store_2addr_b32 v1, v70, v71 offset1:1
	v_lshlrev_b32_e32 v70, 2, v74
	s_wait_loadcnt_dscnt 0x0
	s_or_b32 s9, s10, s9
	s_barrier_signal -1
	s_wait_alu 0xfffe
	s_and_b32 s9, s11, s9
	s_barrier_wait -1
	s_wait_alu 0xfffe
	v_cndmask_b32_e64 v75, v76, v77, s9
	v_cndmask_b32_e64 v76, v78, v79, s9
	global_inv scope:SCOPE_SE
	v_cndmask_b32_e64 v72, v72, v73, s8
	v_lshlrev_b32_e32 v71, 2, v76
	ds_load_b32 v70, v70
	ds_load_b32 v71, v71
	s_wait_loadcnt_dscnt 0x0
	s_barrier_signal -1
	s_barrier_wait -1
	global_inv scope:SCOPE_SE
	ds_store_2addr_b32 v1, v72, v75 offset1:1
	v_mov_b32_e32 v75, v68
	s_wait_loadcnt_dscnt 0x0
	s_barrier_signal -1
	s_barrier_wait -1
	global_inv scope:SCOPE_SE
	s_and_saveexec_b32 s9, s7
	s_cbranch_execz .LBB33_62
; %bb.59:                               ;   in Loop: Header=BB33_2 Depth=1
	v_dual_mov_b32 v75, v68 :: v_dual_mov_b32 v72, v60
	s_mov_b32 s10, 0
.LBB33_60:                              ;   Parent Loop BB33_2 Depth=1
                                        ; =>  This Inner Loop Header: Depth=2
	s_delay_alu instid0(VALU_DEP_1) | instskip(NEXT) | instid1(VALU_DEP_1)
	v_sub_nc_u32_e32 v73, v72, v75
	v_lshrrev_b32_e32 v73, 1, v73
	s_delay_alu instid0(VALU_DEP_1) | instskip(NEXT) | instid1(VALU_DEP_1)
	v_add_nc_u32_e32 v73, v73, v75
	v_not_b32_e32 v74, v73
	v_lshl_add_u32 v76, v73, 2, v36
	v_add_nc_u32_e32 v77, 1, v73
	s_delay_alu instid0(VALU_DEP_3)
	v_lshl_add_u32 v74, v74, 2, v52
	ds_load_b32 v76, v76
	ds_load_b32 v74, v74
	s_wait_dscnt 0x0
	v_cmp_lt_i32_e64 s8, v74, v76
	s_wait_alu 0xf1ff
	s_delay_alu instid0(VALU_DEP_1) | instskip(SKIP_1) | instid1(VALU_DEP_1)
	v_cndmask_b32_e64 v72, v72, v73, s8
	v_cndmask_b32_e64 v75, v77, v75, s8
	v_cmp_ge_i32_e64 s8, v75, v72
	s_or_b32 s10, s8, s10
	s_delay_alu instid0(SALU_CYCLE_1)
	s_and_not1_b32 exec_lo, exec_lo, s10
	s_cbranch_execnz .LBB33_60
; %bb.61:                               ;   in Loop: Header=BB33_2 Depth=1
	s_or_b32 exec_lo, exec_lo, s10
.LBB33_62:                              ;   in Loop: Header=BB33_2 Depth=1
	s_wait_alu 0xfffe
	s_or_b32 exec_lo, exec_lo, s9
	v_sub_nc_u32_e32 v72, v44, v75
	v_lshl_add_u32 v77, v75, 2, v36
	v_add_nc_u32_e32 v75, v75, v9
                                        ; implicit-def: $vgpr76
	s_delay_alu instid0(VALU_DEP_3) | instskip(SKIP_1) | instid1(VALU_DEP_3)
	v_lshlrev_b32_e32 v78, 2, v72
	v_cmp_gt_i32_e64 s10, v35, v72
	v_cmp_le_i32_e64 s8, v34, v75
	ds_load_b32 v73, v77
	ds_load_b32 v74, v78
	s_wait_dscnt 0x0
	v_cmp_lt_i32_e64 s9, v74, v73
	s_or_b32 s8, s8, s9
	s_wait_alu 0xfffe
	s_and_b32 s8, s10, s8
	s_wait_alu 0xfffe
	s_xor_b32 s9, s8, -1
	s_wait_alu 0xfffe
	s_and_saveexec_b32 s10, s9
	s_delay_alu instid0(SALU_CYCLE_1)
	s_xor_b32 s9, exec_lo, s10
; %bb.63:                               ;   in Loop: Header=BB33_2 Depth=1
	ds_load_b32 v76, v77 offset:4
                                        ; implicit-def: $vgpr78
; %bb.64:                               ;   in Loop: Header=BB33_2 Depth=1
	s_wait_alu 0xfffe
	s_or_saveexec_b32 s9, s9
	v_mov_b32_e32 v77, v74
	s_wait_alu 0xfffe
	s_xor_b32 exec_lo, exec_lo, s9
	s_cbranch_execz .LBB33_66
; %bb.65:                               ;   in Loop: Header=BB33_2 Depth=1
	ds_load_b32 v77, v78 offset:4
	s_wait_dscnt 0x1
	v_mov_b32_e32 v76, v73
.LBB33_66:                              ;   in Loop: Header=BB33_2 Depth=1
	s_or_b32 exec_lo, exec_lo, s9
	v_add_nc_u32_e32 v78, 1, v75
	v_add_nc_u32_e32 v79, 1, v72
	s_wait_dscnt 0x0
	v_cmp_lt_i32_e64 s9, v77, v76
	s_wait_loadcnt 0x0
	s_barrier_signal -1
	v_cndmask_b32_e64 v78, v78, v75, s8
	v_cndmask_b32_e64 v79, v72, v79, s8
	;; [unrolled: 1-line block ×3, first 2 shown]
	s_barrier_wait -1
	global_inv scope:SCOPE_SE
	v_cmp_ge_i32_e64 s10, v78, v34
	v_cmp_lt_i32_e64 s11, v79, v35
	ds_store_2addr_b32 v1, v70, v71 offset1:1
	v_lshlrev_b32_e32 v70, 2, v72
	s_wait_loadcnt_dscnt 0x0
	s_or_b32 s9, s10, s9
	s_barrier_signal -1
	s_wait_alu 0xfffe
	s_and_b32 s9, s11, s9
	s_barrier_wait -1
	s_wait_alu 0xfffe
	v_cndmask_b32_e64 v75, v76, v77, s9
	v_cndmask_b32_e64 v76, v78, v79, s9
	global_inv scope:SCOPE_SE
	v_lshlrev_b32_e32 v72, 2, v76
	ds_load_b32 v71, v70
	ds_load_b32 v72, v72
	v_cndmask_b32_e64 v70, v73, v74, s8
	s_wait_loadcnt_dscnt 0x0
	s_barrier_signal -1
	s_barrier_wait -1
	global_inv scope:SCOPE_SE
	ds_store_2addr_b32 v1, v70, v75 offset1:1
	v_mov_b32_e32 v70, v10
	s_wait_loadcnt_dscnt 0x0
	s_barrier_signal -1
	s_barrier_wait -1
	global_inv scope:SCOPE_SE
	s_and_saveexec_b32 s9, vcc_lo
	s_cbranch_execz .LBB33_70
; %bb.67:                               ;   in Loop: Header=BB33_2 Depth=1
	v_dual_mov_b32 v70, v10 :: v_dual_mov_b32 v73, v11
	s_mov_b32 s10, 0
.LBB33_68:                              ;   Parent Loop BB33_2 Depth=1
                                        ; =>  This Inner Loop Header: Depth=2
	s_delay_alu instid0(VALU_DEP_1) | instskip(NEXT) | instid1(VALU_DEP_1)
	v_sub_nc_u32_e32 v74, v73, v70
	v_lshrrev_b32_e32 v74, 1, v74
	s_delay_alu instid0(VALU_DEP_1) | instskip(NEXT) | instid1(VALU_DEP_1)
	v_add_nc_u32_e32 v74, v74, v70
	v_not_b32_e32 v75, v74
	v_lshlrev_b32_e32 v76, 2, v74
	v_add_nc_u32_e32 v77, 1, v74
	s_delay_alu instid0(VALU_DEP_3)
	v_lshl_add_u32 v75, v75, 2, v69
	ds_load_b32 v76, v76
	ds_load_b32 v75, v75
	s_wait_dscnt 0x0
	v_cmp_lt_i32_e64 s8, v75, v76
	s_wait_alu 0xf1ff
	s_delay_alu instid0(VALU_DEP_1) | instskip(SKIP_1) | instid1(VALU_DEP_1)
	v_cndmask_b32_e64 v73, v73, v74, s8
	v_cndmask_b32_e64 v70, v77, v70, s8
	v_cmp_ge_i32_e64 s8, v70, v73
	s_or_b32 s10, s8, s10
	s_delay_alu instid0(SALU_CYCLE_1)
	s_and_not1_b32 exec_lo, exec_lo, s10
	s_cbranch_execnz .LBB33_68
; %bb.69:                               ;   in Loop: Header=BB33_2 Depth=1
	s_or_b32 exec_lo, exec_lo, s10
.LBB33_70:                              ;   in Loop: Header=BB33_2 Depth=1
	s_wait_alu 0xfffe
	s_or_b32 exec_lo, exec_lo, s9
	v_sub_nc_u32_e32 v73, v12, v70
	v_lshlrev_b32_e32 v78, 2, v70
	v_cmp_le_i32_e64 s8, 0x200, v70
                                        ; implicit-def: $vgpr77
                                        ; implicit-def: $vgpr76
	s_delay_alu instid0(VALU_DEP_3)
	v_lshlrev_b32_e32 v79, 2, v73
	v_cmp_gt_i32_e64 s10, 0x400, v73
	ds_load_b32 v74, v78
	ds_load_b32 v75, v79
	s_wait_dscnt 0x0
	v_cmp_lt_i32_e64 s9, v75, v74
	s_or_b32 s8, s8, s9
	s_wait_alu 0xfffe
	s_and_b32 s8, s10, s8
	s_wait_alu 0xfffe
	s_xor_b32 s9, s8, -1
	s_wait_alu 0xfffe
	s_and_saveexec_b32 s10, s9
	s_delay_alu instid0(SALU_CYCLE_1)
	s_xor_b32 s9, exec_lo, s10
; %bb.71:                               ;   in Loop: Header=BB33_2 Depth=1
	ds_load_b32 v77, v78 offset:4
	v_add_nc_u32_e32 v76, 1, v70
                                        ; implicit-def: $vgpr79
; %bb.72:                               ;   in Loop: Header=BB33_2 Depth=1
	s_wait_alu 0xfffe
	s_or_saveexec_b32 s9, s9
	v_mov_b32_e32 v78, v70
	v_mov_b32_e32 v80, v75
	s_wait_alu 0xfffe
	s_xor_b32 exec_lo, exec_lo, s9
	s_cbranch_execz .LBB33_1
; %bb.73:                               ;   in Loop: Header=BB33_2 Depth=1
	ds_load_b32 v80, v79 offset:4
	s_wait_dscnt 0x1
	v_dual_mov_b32 v78, v73 :: v_dual_add_nc_u32 v77, 1, v73
	s_delay_alu instid0(VALU_DEP_1)
	v_dual_mov_b32 v76, v70 :: v_dual_mov_b32 v73, v77
	v_mov_b32_e32 v77, v74
	s_branch .LBB33_1
.LBB33_74:
	s_wait_dscnt 0x1
	v_add_nc_u32_e32 v1, v71, v73
	v_lshlrev_b32_e32 v0, 2, v0
	s_wait_dscnt 0x0
	v_add_nc_u32_e32 v2, v70, v72
	s_add_nc_u64 s[0:1], s[14:15], s[16:17]
	s_clause 0x1
	global_store_b32 v0, v1, s[0:1]
	global_store_b32 v0, v2, s[0:1] offset:2048
	s_endpgm
	.section	.rodata,"a",@progbits
	.p2align	6, 0x0
	.amdhsa_kernel _Z17sort_pairs_kernelIiLj512ELj2EN10test_utils4lessELj10EEvPKT_PS2_T2_
		.amdhsa_group_segment_fixed_size 4100
		.amdhsa_private_segment_fixed_size 0
		.amdhsa_kernarg_size 20
		.amdhsa_user_sgpr_count 2
		.amdhsa_user_sgpr_dispatch_ptr 0
		.amdhsa_user_sgpr_queue_ptr 0
		.amdhsa_user_sgpr_kernarg_segment_ptr 1
		.amdhsa_user_sgpr_dispatch_id 0
		.amdhsa_user_sgpr_private_segment_size 0
		.amdhsa_wavefront_size32 1
		.amdhsa_uses_dynamic_stack 0
		.amdhsa_enable_private_segment 0
		.amdhsa_system_sgpr_workgroup_id_x 1
		.amdhsa_system_sgpr_workgroup_id_y 0
		.amdhsa_system_sgpr_workgroup_id_z 0
		.amdhsa_system_sgpr_workgroup_info 0
		.amdhsa_system_vgpr_workitem_id 0
		.amdhsa_next_free_vgpr 87
		.amdhsa_next_free_sgpr 20
		.amdhsa_reserve_vcc 1
		.amdhsa_float_round_mode_32 0
		.amdhsa_float_round_mode_16_64 0
		.amdhsa_float_denorm_mode_32 3
		.amdhsa_float_denorm_mode_16_64 3
		.amdhsa_fp16_overflow 0
		.amdhsa_workgroup_processor_mode 1
		.amdhsa_memory_ordered 1
		.amdhsa_forward_progress 1
		.amdhsa_inst_pref_size 47
		.amdhsa_round_robin_scheduling 0
		.amdhsa_exception_fp_ieee_invalid_op 0
		.amdhsa_exception_fp_denorm_src 0
		.amdhsa_exception_fp_ieee_div_zero 0
		.amdhsa_exception_fp_ieee_overflow 0
		.amdhsa_exception_fp_ieee_underflow 0
		.amdhsa_exception_fp_ieee_inexact 0
		.amdhsa_exception_int_div_zero 0
	.end_amdhsa_kernel
	.section	.text._Z17sort_pairs_kernelIiLj512ELj2EN10test_utils4lessELj10EEvPKT_PS2_T2_,"axG",@progbits,_Z17sort_pairs_kernelIiLj512ELj2EN10test_utils4lessELj10EEvPKT_PS2_T2_,comdat
.Lfunc_end33:
	.size	_Z17sort_pairs_kernelIiLj512ELj2EN10test_utils4lessELj10EEvPKT_PS2_T2_, .Lfunc_end33-_Z17sort_pairs_kernelIiLj512ELj2EN10test_utils4lessELj10EEvPKT_PS2_T2_
                                        ; -- End function
	.set _Z17sort_pairs_kernelIiLj512ELj2EN10test_utils4lessELj10EEvPKT_PS2_T2_.num_vgpr, 87
	.set _Z17sort_pairs_kernelIiLj512ELj2EN10test_utils4lessELj10EEvPKT_PS2_T2_.num_agpr, 0
	.set _Z17sort_pairs_kernelIiLj512ELj2EN10test_utils4lessELj10EEvPKT_PS2_T2_.numbered_sgpr, 20
	.set _Z17sort_pairs_kernelIiLj512ELj2EN10test_utils4lessELj10EEvPKT_PS2_T2_.num_named_barrier, 0
	.set _Z17sort_pairs_kernelIiLj512ELj2EN10test_utils4lessELj10EEvPKT_PS2_T2_.private_seg_size, 0
	.set _Z17sort_pairs_kernelIiLj512ELj2EN10test_utils4lessELj10EEvPKT_PS2_T2_.uses_vcc, 1
	.set _Z17sort_pairs_kernelIiLj512ELj2EN10test_utils4lessELj10EEvPKT_PS2_T2_.uses_flat_scratch, 0
	.set _Z17sort_pairs_kernelIiLj512ELj2EN10test_utils4lessELj10EEvPKT_PS2_T2_.has_dyn_sized_stack, 0
	.set _Z17sort_pairs_kernelIiLj512ELj2EN10test_utils4lessELj10EEvPKT_PS2_T2_.has_recursion, 0
	.set _Z17sort_pairs_kernelIiLj512ELj2EN10test_utils4lessELj10EEvPKT_PS2_T2_.has_indirect_call, 0
	.section	.AMDGPU.csdata,"",@progbits
; Kernel info:
; codeLenInByte = 5912
; TotalNumSgprs: 22
; NumVgprs: 87
; ScratchSize: 0
; MemoryBound: 0
; FloatMode: 240
; IeeeMode: 1
; LDSByteSize: 4100 bytes/workgroup (compile time only)
; SGPRBlocks: 0
; VGPRBlocks: 10
; NumSGPRsForWavesPerEU: 22
; NumVGPRsForWavesPerEU: 87
; Occupancy: 16
; WaveLimiterHint : 1
; COMPUTE_PGM_RSRC2:SCRATCH_EN: 0
; COMPUTE_PGM_RSRC2:USER_SGPR: 2
; COMPUTE_PGM_RSRC2:TRAP_HANDLER: 0
; COMPUTE_PGM_RSRC2:TGID_X_EN: 1
; COMPUTE_PGM_RSRC2:TGID_Y_EN: 0
; COMPUTE_PGM_RSRC2:TGID_Z_EN: 0
; COMPUTE_PGM_RSRC2:TIDIG_COMP_CNT: 0
	.section	.text._Z16sort_keys_kernelIiLj512ELj3EN10test_utils4lessELj10EEvPKT_PS2_T2_,"axG",@progbits,_Z16sort_keys_kernelIiLj512ELj3EN10test_utils4lessELj10EEvPKT_PS2_T2_,comdat
	.protected	_Z16sort_keys_kernelIiLj512ELj3EN10test_utils4lessELj10EEvPKT_PS2_T2_ ; -- Begin function _Z16sort_keys_kernelIiLj512ELj3EN10test_utils4lessELj10EEvPKT_PS2_T2_
	.globl	_Z16sort_keys_kernelIiLj512ELj3EN10test_utils4lessELj10EEvPKT_PS2_T2_
	.p2align	8
	.type	_Z16sort_keys_kernelIiLj512ELj3EN10test_utils4lessELj10EEvPKT_PS2_T2_,@function
_Z16sort_keys_kernelIiLj512ELj3EN10test_utils4lessELj10EEvPKT_PS2_T2_: ; @_Z16sort_keys_kernelIiLj512ELj3EN10test_utils4lessELj10EEvPKT_PS2_T2_
; %bb.0:
	s_load_b128 s[12:15], s[0:1], 0x0
	s_mul_i32 s16, ttmp9, 0x600
	s_mov_b32 s17, 0
	v_lshlrev_b32_e32 v1, 2, v0
	s_lshl_b64 s[18:19], s[16:17], 2
	v_and_b32_e32 v18, 0x1f0, v0
	v_and_b32_e32 v43, 0x180, v0
	;; [unrolled: 1-line block ×5, first 2 shown]
	v_mul_u32_u24_e32 v24, 3, v18
	v_and_b32_e32 v26, 0x1e0, v0
	v_and_b32_e32 v30, 0x1c0, v0
	;; [unrolled: 1-line block ×3, first 2 shown]
	v_mul_u32_u24_e32 v48, 3, v43
	v_min_u32_e32 v77, 0x5e8, v24
	v_min_u32_e32 v21, 0x5d0, v24
	v_mul_u32_u24_e32 v8, 3, v3
	v_mul_u32_u24_e32 v17, 3, v12
	;; [unrolled: 1-line block ×3, first 2 shown]
	s_wait_kmcnt 0x0
	s_add_nc_u64 s[0:1], s[12:13], s[18:19]
	v_add_nc_u32_e32 v20, 24, v77
	s_clause 0x2
	global_load_b32 v80, v1, s[0:1]
	global_load_b32 v81, v1, s[0:1] offset:2048
	global_load_b32 v79, v1, s[0:1] offset:4096
	v_add_nc_u32_e32 v21, 48, v21
	v_and_b32_e32 v1, 0x1fe, v0
	v_mul_u32_u24_e32 v31, 3, v26
	v_mul_u32_u24_e32 v35, 3, v30
	;; [unrolled: 1-line block ×3, first 2 shown]
	v_sub_nc_u32_e32 v27, v21, v20
	v_min_u32_e32 v87, 0x540, v48
	v_min_u32_e32 v45, 0x480, v48
	v_mul_u32_u24_e32 v4, 3, v1
	v_and_b32_e32 v5, 1, v0
	v_min_u32_e32 v73, 0x5fa, v8
	v_min_u32_e32 v6, 0x5f4, v8
	;; [unrolled: 1-line block ×4, first 2 shown]
	v_sub_nc_u32_e32 v29, v65, v27
	v_cmp_ge_i32_e64 s2, v65, v27
	v_min_u32_e32 v82, 0x5d0, v31
	v_min_u32_e32 v32, 0x5a0, v31
	;; [unrolled: 1-line block ×4, first 2 shown]
	v_and_b32_e32 v86, 0x7f, v0
	v_min_u32_e32 v88, 0x480, v49
	v_min_u32_e32 v47, 0x300, v49
	v_add_nc_u32_e32 v44, 0xc0, v87
	v_add_nc_u32_e32 v45, 0x180, v45
	v_min_u32_e32 v71, 0x5fd, v4
	v_min_u32_e32 v2, 0x5fa, v4
	v_cmp_eq_u32_e32 vcc_lo, 1, v5
	v_and_b32_e32 v74, 3, v0
	v_add_nc_u32_e32 v5, 6, v73
	v_add_nc_u32_e32 v6, 12, v6
	v_and_b32_e32 v76, 7, v0
	v_add_nc_u32_e32 v15, 12, v75
	v_add_nc_u32_e32 v16, 24, v16
	v_cndmask_b32_e64 v27, 0, v29, s2
	v_and_b32_e32 v83, 31, v0
	v_add_nc_u32_e32 v29, 48, v82
	v_add_nc_u32_e32 v30, 0x60, v32
	v_and_b32_e32 v85, 63, v0
	v_add_nc_u32_e32 v32, 0x60, v84
	v_add_nc_u32_e32 v33, 0xc0, v33
	v_mul_u32_u24_e32 v68, 3, v86
	v_and_b32_e32 v89, 0xff, v0
	v_add_nc_u32_e32 v46, 0x180, v88
	v_add_nc_u32_e32 v47, 0x300, v47
	v_sub_nc_u32_e32 v51, v45, v44
	v_min_u32_e32 v49, 0x600, v49
	v_add_nc_u32_e32 v1, 3, v71
	v_add_nc_u32_e32 v2, 6, v2
	v_mul_u32_u24_e32 v61, 3, v74
	v_sub_nc_u32_e32 v11, v6, v5
	v_min_u32_e32 v8, 0x600, v8
	v_min_u32_e32 v17, 0x600, v17
	v_mul_u32_u24_e32 v62, 3, v76
	v_sub_nc_u32_e32 v22, v16, v15
	v_min_u32_e32 v24, 0x600, v24
	v_mul_u32_u24_e32 v66, 3, v83
	v_min_u32_e32 v31, 0x600, v31
	v_sub_nc_u32_e32 v34, v30, v29
	v_mul_u32_u24_e32 v67, 3, v85
	v_sub_nc_u32_e32 v39, v33, v32
	v_min_u32_e32 v35, 0x600, v35
	v_min_u32_e32 v48, 0x600, v48
	v_mul_u32_u24_e32 v69, 3, v89
	v_sub_nc_u32_e32 v53, v47, v46
	v_sub_nc_u32_e32 v54, v68, v51
	;; [unrolled: 1-line block ×3, first 2 shown]
	v_cmp_ge_i32_e64 s5, v68, v51
	v_cndmask_b32_e64 v72, 0, 3, vcc_lo
	v_sub_nc_u32_e32 v7, v2, v1
	v_min_u32_e32 v4, 0x600, v4
	v_sub_nc_u32_e32 v13, v61, v11
	v_sub_nc_u32_e32 v14, v5, v8
	v_cmp_ge_i32_e64 s0, v61, v11
	v_sub_nc_u32_e32 v23, v15, v17
	v_sub_nc_u32_e32 v25, v62, v22
	v_cmp_ge_i32_e64 s1, v62, v22
	v_sub_nc_u32_e32 v28, v20, v24
	v_sub_nc_u32_e32 v36, v66, v34
	v_sub_nc_u32_e32 v37, v29, v31
	v_cmp_ge_i32_e64 s3, v66, v34
	v_sub_nc_u32_e32 v40, v67, v39
	v_sub_nc_u32_e32 v41, v32, v35
	v_cmp_ge_i32_e64 s4, v67, v39
	v_sub_nc_u32_e32 v52, v44, v48
	v_sub_nc_u32_e32 v56, v69, v53
	v_cndmask_b32_e64 v51, 0, v54, s5
	v_cmp_ge_i32_e64 s5, v69, v53
	v_min_i32_e32 v54, v69, v55
	v_mul_u32_u24_e32 v55, 3, v0
	v_sub_nc_u32_e32 v9, v72, v7
	v_sub_nc_u32_e32 v10, v1, v4
	v_cmp_ge_i32_e32 vcc_lo, v72, v7
	v_cndmask_b32_e64 v11, 0, v13, s0
	v_min_i32_e32 v12, v61, v14
	v_cndmask_b32_e64 v22, 0, v25, s1
	v_min_i32_e32 v23, v62, v23
	v_min_i32_e32 v28, v65, v28
	s_wait_alu 0xf1ff
	v_cndmask_b32_e64 v34, 0, v36, s3
	v_min_i32_e32 v36, v66, v37
	v_cndmask_b32_e64 v39, 0, v40, s4
	v_min_i32_e32 v40, v67, v41
	v_min_i32_e32 v52, v68, v52
	v_cndmask_b32_e64 v53, 0, v56, s5
	v_subrev_nc_u32_e64 v58, 0x300, v55 clamp
	v_min_i32_e32 v59, 0x300, v55
	v_lshlrev_b32_e32 v63, 2, v72
	v_lshlrev_b32_e32 v64, 2, v61
	;; [unrolled: 1-line block ×8, first 2 shown]
	v_mul_u32_u24_e32 v3, 12, v0
	s_wait_alu 0xfffd
	v_cndmask_b32_e32 v7, 0, v9, vcc_lo
	v_min_i32_e32 v9, v72, v10
	v_lshlrev_b32_e32 v10, 2, v4
	v_add_nc_u32_e32 v13, v1, v72
	v_lshlrev_b32_e32 v14, 2, v8
	v_cmp_lt_i32_e64 s0, v11, v12
	v_mad_u32_u24 v18, v74, 3, v5
	v_lshlrev_b32_e32 v19, 2, v17
	v_cmp_lt_i32_e64 s1, v22, v23
	v_mad_u32_u24 v25, v76, 3, v15
	;; [unrolled: 3-line block ×7, first 2 shown]
	v_cmp_lt_i32_e64 s7, v58, v59
	v_mad_u32_u24 v61, v0, 3, 0x300
	v_lshl_add_u32 v62, v71, 2, v63
	v_lshl_add_u32 v63, v73, 2, v64
	;; [unrolled: 1-line block ×8, first 2 shown]
	v_lshlrev_b32_e32 v70, 2, v55
	v_add_nc_u32_e32 v71, v71, v72
	v_mad_u32_u24 v72, v74, 3, v73
	v_mad_u32_u24 v73, v76, 3, v75
	;; [unrolled: 1-line block ×7, first 2 shown]
	v_cmp_lt_i32_e32 vcc_lo, v7, v9
	s_branch .LBB34_2
.LBB34_1:                               ;   in Loop: Header=BB34_2 Depth=1
	s_or_b32 exec_lo, exec_lo, s10
	v_cmp_le_i32_e64 s10, 0x300, v86
	s_wait_dscnt 0x0
	v_cmp_lt_i32_e64 s11, v87, v84
	v_cmp_gt_i32_e64 s12, 0x600, v81
	v_cndmask_b32_e64 v80, v79, v80, s8
	v_cndmask_b32_e64 v81, v82, v83, s9
	s_add_co_i32 s17, s17, 1
	s_or_b32 s8, s10, s11
	s_wait_alu 0xfffe
	s_and_b32 s8, s12, s8
	s_cmp_eq_u32 s17, 10
	s_wait_alu 0xfffe
	v_cndmask_b32_e64 v79, v84, v87, s8
	s_cbranch_scc1 .LBB34_110
.LBB34_2:                               ; =>This Loop Header: Depth=1
                                        ;     Child Loop BB34_4 Depth 2
                                        ;     Child Loop BB34_16 Depth 2
	;; [unrolled: 1-line block ×9, first 2 shown]
	s_wait_loadcnt 0x1
	v_cmp_lt_i32_e64 s8, v81, v80
	v_max_i32_e32 v82, v81, v80
	v_min_i32_e32 v84, v81, v80
	s_wait_loadcnt 0x0
	s_barrier_signal -1
	s_wait_alu 0xf1ff
	v_cndmask_b32_e64 v83, v80, v81, s8
	v_cndmask_b32_e64 v80, v81, v80, s8
	v_cmp_lt_i32_e64 s8, v79, v82
	v_min_i32_e32 v81, v79, v82
	v_cmp_lt_i32_e64 s9, v79, v84
	s_barrier_wait -1
	global_inv scope:SCOPE_SE
	s_wait_alu 0xf1ff
	v_cndmask_b32_e64 v85, v79, v82, s8
	v_cndmask_b32_e64 v79, v80, v79, s8
	;; [unrolled: 1-line block ×3, first 2 shown]
	v_mov_b32_e32 v81, v7
	s_delay_alu instid0(VALU_DEP_3)
	v_cndmask_b32_e64 v79, v79, v84, s9
	ds_store_2addr_b32 v3, v80, v79 offset1:1
	ds_store_b32 v3, v85 offset:8
	s_wait_loadcnt_dscnt 0x0
	s_barrier_signal -1
	s_barrier_wait -1
	global_inv scope:SCOPE_SE
	s_and_saveexec_b32 s9, vcc_lo
	s_cbranch_execz .LBB34_6
; %bb.3:                                ;   in Loop: Header=BB34_2 Depth=1
	v_mov_b32_e32 v81, v7
	v_mov_b32_e32 v79, v9
	s_mov_b32 s10, 0
.LBB34_4:                               ;   Parent Loop BB34_2 Depth=1
                                        ; =>  This Inner Loop Header: Depth=2
	s_delay_alu instid0(VALU_DEP_1) | instskip(NEXT) | instid1(VALU_DEP_1)
	v_sub_nc_u32_e32 v80, v79, v81
	v_lshrrev_b32_e32 v80, 1, v80
	s_delay_alu instid0(VALU_DEP_1) | instskip(NEXT) | instid1(VALU_DEP_1)
	v_add_nc_u32_e32 v80, v80, v81
	v_not_b32_e32 v82, v80
	v_lshl_add_u32 v83, v80, 2, v10
	v_add_nc_u32_e32 v84, 1, v80
	s_delay_alu instid0(VALU_DEP_3)
	v_lshl_add_u32 v82, v82, 2, v62
	ds_load_b32 v83, v83
	ds_load_b32 v82, v82 offset:12
	s_wait_dscnt 0x0
	v_cmp_lt_i32_e64 s8, v82, v83
	s_wait_alu 0xf1ff
	s_delay_alu instid0(VALU_DEP_1) | instskip(SKIP_1) | instid1(VALU_DEP_1)
	v_cndmask_b32_e64 v79, v79, v80, s8
	v_cndmask_b32_e64 v81, v84, v81, s8
	v_cmp_ge_i32_e64 s8, v81, v79
	s_or_b32 s10, s8, s10
	s_delay_alu instid0(SALU_CYCLE_1)
	s_and_not1_b32 exec_lo, exec_lo, s10
	s_cbranch_execnz .LBB34_4
; %bb.5:                                ;   in Loop: Header=BB34_2 Depth=1
	s_or_b32 exec_lo, exec_lo, s10
.LBB34_6:                               ;   in Loop: Header=BB34_2 Depth=1
	s_wait_alu 0xfffe
	s_or_b32 exec_lo, exec_lo, s9
	v_sub_nc_u32_e32 v79, v71, v81
	v_lshl_add_u32 v82, v81, 2, v10
	v_add_nc_u32_e32 v83, v81, v4
	v_sub_nc_u32_e32 v84, v13, v81
                                        ; implicit-def: $vgpr81
	s_delay_alu instid0(VALU_DEP_4)
	v_lshlrev_b32_e32 v85, 2, v79
	ds_load_b32 v79, v82
	ds_load_b32 v80, v85 offset:12
	v_cmp_le_i32_e64 s8, v1, v83
	v_cmp_gt_i32_e64 s10, v2, v84
	s_wait_dscnt 0x0
	v_cmp_lt_i32_e64 s9, v80, v79
	s_or_b32 s8, s8, s9
	s_wait_alu 0xfffe
	s_and_b32 s8, s10, s8
	s_wait_alu 0xfffe
	s_xor_b32 s9, s8, -1
	s_wait_alu 0xfffe
	s_and_saveexec_b32 s10, s9
	s_delay_alu instid0(SALU_CYCLE_1)
	s_xor_b32 s9, exec_lo, s10
; %bb.7:                                ;   in Loop: Header=BB34_2 Depth=1
	ds_load_b32 v81, v82 offset:4
                                        ; implicit-def: $vgpr85
; %bb.8:                                ;   in Loop: Header=BB34_2 Depth=1
	s_wait_alu 0xfffe
	s_or_saveexec_b32 s9, s9
	v_mov_b32_e32 v82, v80
	s_wait_alu 0xfffe
	s_xor_b32 exec_lo, exec_lo, s9
	s_cbranch_execz .LBB34_10
; %bb.9:                                ;   in Loop: Header=BB34_2 Depth=1
	ds_load_b32 v82, v85 offset:16
	s_wait_dscnt 0x1
	v_mov_b32_e32 v81, v79
.LBB34_10:                              ;   in Loop: Header=BB34_2 Depth=1
	s_or_b32 exec_lo, exec_lo, s9
	v_add_nc_u32_e32 v85, 1, v83
	v_add_nc_u32_e32 v86, 1, v84
	s_wait_dscnt 0x0
	v_cmp_lt_i32_e64 s10, v82, v81
	s_delay_alu instid0(VALU_DEP_3) | instskip(NEXT) | instid1(VALU_DEP_3)
	v_cndmask_b32_e64 v85, v85, v83, s8
	v_cndmask_b32_e64 v84, v84, v86, s8
                                        ; implicit-def: $vgpr83
	s_delay_alu instid0(VALU_DEP_2) | instskip(NEXT) | instid1(VALU_DEP_2)
	v_cmp_ge_i32_e64 s9, v85, v1
	v_cmp_lt_i32_e64 s11, v84, v2
	s_or_b32 s9, s9, s10
	s_wait_alu 0xfffe
	s_and_b32 s9, s11, s9
	s_wait_alu 0xfffe
	s_xor_b32 s10, s9, -1
	s_delay_alu instid0(SALU_CYCLE_1) | instskip(NEXT) | instid1(SALU_CYCLE_1)
	s_and_saveexec_b32 s11, s10
	s_xor_b32 s10, exec_lo, s11
; %bb.11:                               ;   in Loop: Header=BB34_2 Depth=1
	v_lshlrev_b32_e32 v83, 2, v85
	ds_load_b32 v83, v83 offset:4
; %bb.12:                               ;   in Loop: Header=BB34_2 Depth=1
	s_or_saveexec_b32 s10, s10
	v_mov_b32_e32 v86, v82
	s_xor_b32 exec_lo, exec_lo, s10
	s_cbranch_execz .LBB34_14
; %bb.13:                               ;   in Loop: Header=BB34_2 Depth=1
	s_wait_dscnt 0x0
	v_lshlrev_b32_e32 v83, 2, v84
	ds_load_b32 v86, v83 offset:4
	v_mov_b32_e32 v83, v81
.LBB34_14:                              ;   in Loop: Header=BB34_2 Depth=1
	s_or_b32 exec_lo, exec_lo, s10
	v_add_nc_u32_e32 v87, 1, v85
	v_add_nc_u32_e32 v88, 1, v84
	v_cndmask_b32_e64 v82, v81, v82, s9
	v_mov_b32_e32 v81, v11
	s_wait_dscnt 0x0
	v_cmp_lt_i32_e64 s10, v86, v83
	v_cndmask_b32_e64 v85, v87, v85, s9
	v_cndmask_b32_e64 v84, v84, v88, s9
	v_cndmask_b32_e64 v79, v79, v80, s8
	s_wait_loadcnt 0x0
	s_barrier_signal -1
	v_cmp_ge_i32_e64 s11, v85, v1
	v_cmp_lt_i32_e64 s9, v84, v2
	s_barrier_wait -1
	global_inv scope:SCOPE_SE
	s_or_b32 s8, s11, s10
	s_wait_alu 0xfffe
	s_and_b32 s8, s9, s8
	s_wait_alu 0xfffe
	v_cndmask_b32_e64 v80, v83, v86, s8
	ds_store_2addr_b32 v3, v79, v82 offset1:1
	ds_store_b32 v3, v80 offset:8
	s_wait_loadcnt_dscnt 0x0
	s_barrier_signal -1
	s_barrier_wait -1
	global_inv scope:SCOPE_SE
	s_and_saveexec_b32 s9, s0
	s_cbranch_execz .LBB34_18
; %bb.15:                               ;   in Loop: Header=BB34_2 Depth=1
	v_mov_b32_e32 v81, v11
	v_mov_b32_e32 v79, v12
	s_mov_b32 s10, 0
.LBB34_16:                              ;   Parent Loop BB34_2 Depth=1
                                        ; =>  This Inner Loop Header: Depth=2
	s_delay_alu instid0(VALU_DEP_1) | instskip(NEXT) | instid1(VALU_DEP_1)
	v_sub_nc_u32_e32 v80, v79, v81
	v_lshrrev_b32_e32 v80, 1, v80
	s_delay_alu instid0(VALU_DEP_1) | instskip(NEXT) | instid1(VALU_DEP_1)
	v_add_nc_u32_e32 v80, v80, v81
	v_not_b32_e32 v82, v80
	v_lshl_add_u32 v83, v80, 2, v14
	v_add_nc_u32_e32 v84, 1, v80
	s_delay_alu instid0(VALU_DEP_3)
	v_lshl_add_u32 v82, v82, 2, v63
	ds_load_b32 v83, v83
	ds_load_b32 v82, v82 offset:24
	s_wait_dscnt 0x0
	v_cmp_lt_i32_e64 s8, v82, v83
	s_wait_alu 0xf1ff
	s_delay_alu instid0(VALU_DEP_1) | instskip(SKIP_1) | instid1(VALU_DEP_1)
	v_cndmask_b32_e64 v79, v79, v80, s8
	v_cndmask_b32_e64 v81, v84, v81, s8
	v_cmp_ge_i32_e64 s8, v81, v79
	s_or_b32 s10, s8, s10
	s_delay_alu instid0(SALU_CYCLE_1)
	s_and_not1_b32 exec_lo, exec_lo, s10
	s_cbranch_execnz .LBB34_16
; %bb.17:                               ;   in Loop: Header=BB34_2 Depth=1
	s_or_b32 exec_lo, exec_lo, s10
.LBB34_18:                              ;   in Loop: Header=BB34_2 Depth=1
	s_wait_alu 0xfffe
	s_or_b32 exec_lo, exec_lo, s9
	v_sub_nc_u32_e32 v79, v72, v81
	v_lshl_add_u32 v82, v81, 2, v14
	v_add_nc_u32_e32 v83, v81, v8
	v_sub_nc_u32_e32 v84, v18, v81
                                        ; implicit-def: $vgpr81
	s_delay_alu instid0(VALU_DEP_4)
	v_lshlrev_b32_e32 v85, 2, v79
	ds_load_b32 v79, v82
	ds_load_b32 v80, v85 offset:24
	v_cmp_le_i32_e64 s8, v5, v83
	v_cmp_gt_i32_e64 s10, v6, v84
	s_wait_dscnt 0x0
	v_cmp_lt_i32_e64 s9, v80, v79
	s_or_b32 s8, s8, s9
	s_wait_alu 0xfffe
	s_and_b32 s8, s10, s8
	s_wait_alu 0xfffe
	s_xor_b32 s9, s8, -1
	s_wait_alu 0xfffe
	s_and_saveexec_b32 s10, s9
	s_delay_alu instid0(SALU_CYCLE_1)
	s_xor_b32 s9, exec_lo, s10
; %bb.19:                               ;   in Loop: Header=BB34_2 Depth=1
	ds_load_b32 v81, v82 offset:4
                                        ; implicit-def: $vgpr85
; %bb.20:                               ;   in Loop: Header=BB34_2 Depth=1
	s_wait_alu 0xfffe
	s_or_saveexec_b32 s9, s9
	v_mov_b32_e32 v82, v80
	s_wait_alu 0xfffe
	s_xor_b32 exec_lo, exec_lo, s9
	s_cbranch_execz .LBB34_22
; %bb.21:                               ;   in Loop: Header=BB34_2 Depth=1
	ds_load_b32 v82, v85 offset:28
	s_wait_dscnt 0x1
	v_mov_b32_e32 v81, v79
.LBB34_22:                              ;   in Loop: Header=BB34_2 Depth=1
	s_or_b32 exec_lo, exec_lo, s9
	v_add_nc_u32_e32 v85, 1, v83
	v_add_nc_u32_e32 v86, 1, v84
	s_wait_dscnt 0x0
	v_cmp_lt_i32_e64 s10, v82, v81
	s_delay_alu instid0(VALU_DEP_3) | instskip(NEXT) | instid1(VALU_DEP_3)
	v_cndmask_b32_e64 v85, v85, v83, s8
	v_cndmask_b32_e64 v84, v84, v86, s8
                                        ; implicit-def: $vgpr83
	s_delay_alu instid0(VALU_DEP_2) | instskip(NEXT) | instid1(VALU_DEP_2)
	v_cmp_ge_i32_e64 s9, v85, v5
	v_cmp_lt_i32_e64 s11, v84, v6
	s_or_b32 s9, s9, s10
	s_wait_alu 0xfffe
	s_and_b32 s9, s11, s9
	s_wait_alu 0xfffe
	s_xor_b32 s10, s9, -1
	s_delay_alu instid0(SALU_CYCLE_1) | instskip(NEXT) | instid1(SALU_CYCLE_1)
	s_and_saveexec_b32 s11, s10
	s_xor_b32 s10, exec_lo, s11
; %bb.23:                               ;   in Loop: Header=BB34_2 Depth=1
	v_lshlrev_b32_e32 v83, 2, v85
	ds_load_b32 v83, v83 offset:4
; %bb.24:                               ;   in Loop: Header=BB34_2 Depth=1
	s_or_saveexec_b32 s10, s10
	v_mov_b32_e32 v86, v82
	s_xor_b32 exec_lo, exec_lo, s10
	s_cbranch_execz .LBB34_26
; %bb.25:                               ;   in Loop: Header=BB34_2 Depth=1
	s_wait_dscnt 0x0
	v_lshlrev_b32_e32 v83, 2, v84
	ds_load_b32 v86, v83 offset:4
	v_mov_b32_e32 v83, v81
.LBB34_26:                              ;   in Loop: Header=BB34_2 Depth=1
	s_or_b32 exec_lo, exec_lo, s10
	v_add_nc_u32_e32 v87, 1, v85
	v_add_nc_u32_e32 v88, 1, v84
	v_cndmask_b32_e64 v82, v81, v82, s9
	v_mov_b32_e32 v81, v22
	s_wait_dscnt 0x0
	v_cmp_lt_i32_e64 s10, v86, v83
	v_cndmask_b32_e64 v85, v87, v85, s9
	v_cndmask_b32_e64 v84, v84, v88, s9
	;; [unrolled: 1-line block ×3, first 2 shown]
	s_wait_loadcnt 0x0
	s_barrier_signal -1
	v_cmp_ge_i32_e64 s11, v85, v5
	v_cmp_lt_i32_e64 s9, v84, v6
	s_barrier_wait -1
	global_inv scope:SCOPE_SE
	s_or_b32 s8, s11, s10
	s_wait_alu 0xfffe
	s_and_b32 s8, s9, s8
	s_wait_alu 0xfffe
	v_cndmask_b32_e64 v80, v83, v86, s8
	ds_store_2addr_b32 v3, v79, v82 offset1:1
	ds_store_b32 v3, v80 offset:8
	s_wait_loadcnt_dscnt 0x0
	s_barrier_signal -1
	s_barrier_wait -1
	global_inv scope:SCOPE_SE
	s_and_saveexec_b32 s9, s1
	s_cbranch_execz .LBB34_30
; %bb.27:                               ;   in Loop: Header=BB34_2 Depth=1
	v_mov_b32_e32 v81, v22
	v_mov_b32_e32 v79, v23
	s_mov_b32 s10, 0
.LBB34_28:                              ;   Parent Loop BB34_2 Depth=1
                                        ; =>  This Inner Loop Header: Depth=2
	s_delay_alu instid0(VALU_DEP_1) | instskip(NEXT) | instid1(VALU_DEP_1)
	v_sub_nc_u32_e32 v80, v79, v81
	v_lshrrev_b32_e32 v80, 1, v80
	s_delay_alu instid0(VALU_DEP_1) | instskip(NEXT) | instid1(VALU_DEP_1)
	v_add_nc_u32_e32 v80, v80, v81
	v_not_b32_e32 v82, v80
	v_lshl_add_u32 v83, v80, 2, v19
	v_add_nc_u32_e32 v84, 1, v80
	s_delay_alu instid0(VALU_DEP_3)
	v_lshl_add_u32 v82, v82, 2, v64
	ds_load_b32 v83, v83
	ds_load_b32 v82, v82 offset:48
	s_wait_dscnt 0x0
	v_cmp_lt_i32_e64 s8, v82, v83
	s_wait_alu 0xf1ff
	s_delay_alu instid0(VALU_DEP_1) | instskip(SKIP_1) | instid1(VALU_DEP_1)
	v_cndmask_b32_e64 v79, v79, v80, s8
	v_cndmask_b32_e64 v81, v84, v81, s8
	v_cmp_ge_i32_e64 s8, v81, v79
	s_or_b32 s10, s8, s10
	s_delay_alu instid0(SALU_CYCLE_1)
	s_and_not1_b32 exec_lo, exec_lo, s10
	s_cbranch_execnz .LBB34_28
; %bb.29:                               ;   in Loop: Header=BB34_2 Depth=1
	s_or_b32 exec_lo, exec_lo, s10
.LBB34_30:                              ;   in Loop: Header=BB34_2 Depth=1
	s_wait_alu 0xfffe
	s_or_b32 exec_lo, exec_lo, s9
	v_sub_nc_u32_e32 v79, v73, v81
	v_lshl_add_u32 v82, v81, 2, v19
	v_add_nc_u32_e32 v83, v81, v17
	v_sub_nc_u32_e32 v84, v25, v81
                                        ; implicit-def: $vgpr81
	s_delay_alu instid0(VALU_DEP_4)
	v_lshlrev_b32_e32 v85, 2, v79
	ds_load_b32 v79, v82
	ds_load_b32 v80, v85 offset:48
	v_cmp_le_i32_e64 s8, v15, v83
	v_cmp_gt_i32_e64 s10, v16, v84
	s_wait_dscnt 0x0
	v_cmp_lt_i32_e64 s9, v80, v79
	s_or_b32 s8, s8, s9
	s_wait_alu 0xfffe
	s_and_b32 s8, s10, s8
	s_wait_alu 0xfffe
	s_xor_b32 s9, s8, -1
	s_wait_alu 0xfffe
	s_and_saveexec_b32 s10, s9
	s_delay_alu instid0(SALU_CYCLE_1)
	s_xor_b32 s9, exec_lo, s10
; %bb.31:                               ;   in Loop: Header=BB34_2 Depth=1
	ds_load_b32 v81, v82 offset:4
                                        ; implicit-def: $vgpr85
; %bb.32:                               ;   in Loop: Header=BB34_2 Depth=1
	s_wait_alu 0xfffe
	s_or_saveexec_b32 s9, s9
	v_mov_b32_e32 v82, v80
	s_wait_alu 0xfffe
	s_xor_b32 exec_lo, exec_lo, s9
	s_cbranch_execz .LBB34_34
; %bb.33:                               ;   in Loop: Header=BB34_2 Depth=1
	ds_load_b32 v82, v85 offset:52
	s_wait_dscnt 0x1
	v_mov_b32_e32 v81, v79
.LBB34_34:                              ;   in Loop: Header=BB34_2 Depth=1
	s_or_b32 exec_lo, exec_lo, s9
	v_add_nc_u32_e32 v85, 1, v83
	v_add_nc_u32_e32 v86, 1, v84
	s_wait_dscnt 0x0
	v_cmp_lt_i32_e64 s10, v82, v81
	s_delay_alu instid0(VALU_DEP_3) | instskip(NEXT) | instid1(VALU_DEP_3)
	v_cndmask_b32_e64 v85, v85, v83, s8
	v_cndmask_b32_e64 v84, v84, v86, s8
                                        ; implicit-def: $vgpr83
	s_delay_alu instid0(VALU_DEP_2) | instskip(NEXT) | instid1(VALU_DEP_2)
	v_cmp_ge_i32_e64 s9, v85, v15
	v_cmp_lt_i32_e64 s11, v84, v16
	s_or_b32 s9, s9, s10
	s_wait_alu 0xfffe
	s_and_b32 s9, s11, s9
	s_wait_alu 0xfffe
	s_xor_b32 s10, s9, -1
	s_delay_alu instid0(SALU_CYCLE_1) | instskip(NEXT) | instid1(SALU_CYCLE_1)
	s_and_saveexec_b32 s11, s10
	s_xor_b32 s10, exec_lo, s11
; %bb.35:                               ;   in Loop: Header=BB34_2 Depth=1
	v_lshlrev_b32_e32 v83, 2, v85
	ds_load_b32 v83, v83 offset:4
; %bb.36:                               ;   in Loop: Header=BB34_2 Depth=1
	s_or_saveexec_b32 s10, s10
	v_mov_b32_e32 v86, v82
	s_xor_b32 exec_lo, exec_lo, s10
	s_cbranch_execz .LBB34_38
; %bb.37:                               ;   in Loop: Header=BB34_2 Depth=1
	s_wait_dscnt 0x0
	v_lshlrev_b32_e32 v83, 2, v84
	ds_load_b32 v86, v83 offset:4
	v_mov_b32_e32 v83, v81
.LBB34_38:                              ;   in Loop: Header=BB34_2 Depth=1
	s_or_b32 exec_lo, exec_lo, s10
	v_add_nc_u32_e32 v87, 1, v85
	v_add_nc_u32_e32 v88, 1, v84
	v_cndmask_b32_e64 v82, v81, v82, s9
	v_mov_b32_e32 v81, v27
	s_wait_dscnt 0x0
	v_cmp_lt_i32_e64 s10, v86, v83
	v_cndmask_b32_e64 v85, v87, v85, s9
	v_cndmask_b32_e64 v84, v84, v88, s9
	;; [unrolled: 1-line block ×3, first 2 shown]
	s_wait_loadcnt 0x0
	s_barrier_signal -1
	v_cmp_ge_i32_e64 s11, v85, v15
	v_cmp_lt_i32_e64 s9, v84, v16
	s_barrier_wait -1
	global_inv scope:SCOPE_SE
	s_or_b32 s8, s11, s10
	s_wait_alu 0xfffe
	s_and_b32 s8, s9, s8
	s_wait_alu 0xfffe
	v_cndmask_b32_e64 v80, v83, v86, s8
	ds_store_2addr_b32 v3, v79, v82 offset1:1
	ds_store_b32 v3, v80 offset:8
	s_wait_loadcnt_dscnt 0x0
	s_barrier_signal -1
	s_barrier_wait -1
	global_inv scope:SCOPE_SE
	s_and_saveexec_b32 s9, s2
	s_cbranch_execz .LBB34_42
; %bb.39:                               ;   in Loop: Header=BB34_2 Depth=1
	v_mov_b32_e32 v81, v27
	v_mov_b32_e32 v79, v28
	s_mov_b32 s10, 0
.LBB34_40:                              ;   Parent Loop BB34_2 Depth=1
                                        ; =>  This Inner Loop Header: Depth=2
	s_delay_alu instid0(VALU_DEP_1) | instskip(NEXT) | instid1(VALU_DEP_1)
	v_sub_nc_u32_e32 v80, v79, v81
	v_lshrrev_b32_e32 v80, 1, v80
	s_delay_alu instid0(VALU_DEP_1) | instskip(NEXT) | instid1(VALU_DEP_1)
	v_add_nc_u32_e32 v80, v80, v81
	v_not_b32_e32 v82, v80
	v_lshl_add_u32 v83, v80, 2, v26
	v_add_nc_u32_e32 v84, 1, v80
	s_delay_alu instid0(VALU_DEP_3)
	v_lshl_add_u32 v82, v82, 2, v65
	ds_load_b32 v83, v83
	ds_load_b32 v82, v82 offset:96
	s_wait_dscnt 0x0
	v_cmp_lt_i32_e64 s8, v82, v83
	s_wait_alu 0xf1ff
	s_delay_alu instid0(VALU_DEP_1) | instskip(SKIP_1) | instid1(VALU_DEP_1)
	v_cndmask_b32_e64 v79, v79, v80, s8
	v_cndmask_b32_e64 v81, v84, v81, s8
	v_cmp_ge_i32_e64 s8, v81, v79
	s_or_b32 s10, s8, s10
	s_delay_alu instid0(SALU_CYCLE_1)
	s_and_not1_b32 exec_lo, exec_lo, s10
	s_cbranch_execnz .LBB34_40
; %bb.41:                               ;   in Loop: Header=BB34_2 Depth=1
	s_or_b32 exec_lo, exec_lo, s10
.LBB34_42:                              ;   in Loop: Header=BB34_2 Depth=1
	s_wait_alu 0xfffe
	s_or_b32 exec_lo, exec_lo, s9
	v_sub_nc_u32_e32 v79, v74, v81
	v_lshl_add_u32 v82, v81, 2, v26
	v_add_nc_u32_e32 v83, v81, v24
	v_sub_nc_u32_e32 v84, v37, v81
                                        ; implicit-def: $vgpr81
	s_delay_alu instid0(VALU_DEP_4)
	v_lshlrev_b32_e32 v85, 2, v79
	ds_load_b32 v79, v82
	ds_load_b32 v80, v85 offset:96
	v_cmp_le_i32_e64 s8, v20, v83
	v_cmp_gt_i32_e64 s10, v21, v84
	s_wait_dscnt 0x0
	v_cmp_lt_i32_e64 s9, v80, v79
	s_or_b32 s8, s8, s9
	s_wait_alu 0xfffe
	s_and_b32 s8, s10, s8
	s_wait_alu 0xfffe
	s_xor_b32 s9, s8, -1
	s_wait_alu 0xfffe
	s_and_saveexec_b32 s10, s9
	s_delay_alu instid0(SALU_CYCLE_1)
	s_xor_b32 s9, exec_lo, s10
; %bb.43:                               ;   in Loop: Header=BB34_2 Depth=1
	ds_load_b32 v81, v82 offset:4
                                        ; implicit-def: $vgpr85
; %bb.44:                               ;   in Loop: Header=BB34_2 Depth=1
	s_wait_alu 0xfffe
	s_or_saveexec_b32 s9, s9
	v_mov_b32_e32 v82, v80
	s_wait_alu 0xfffe
	s_xor_b32 exec_lo, exec_lo, s9
	s_cbranch_execz .LBB34_46
; %bb.45:                               ;   in Loop: Header=BB34_2 Depth=1
	ds_load_b32 v82, v85 offset:100
	s_wait_dscnt 0x1
	v_mov_b32_e32 v81, v79
.LBB34_46:                              ;   in Loop: Header=BB34_2 Depth=1
	s_or_b32 exec_lo, exec_lo, s9
	v_add_nc_u32_e32 v85, 1, v83
	v_add_nc_u32_e32 v86, 1, v84
	s_wait_dscnt 0x0
	v_cmp_lt_i32_e64 s10, v82, v81
	s_delay_alu instid0(VALU_DEP_3) | instskip(NEXT) | instid1(VALU_DEP_3)
	v_cndmask_b32_e64 v85, v85, v83, s8
	v_cndmask_b32_e64 v84, v84, v86, s8
                                        ; implicit-def: $vgpr83
	s_delay_alu instid0(VALU_DEP_2) | instskip(NEXT) | instid1(VALU_DEP_2)
	v_cmp_ge_i32_e64 s9, v85, v20
	v_cmp_lt_i32_e64 s11, v84, v21
	s_or_b32 s9, s9, s10
	s_wait_alu 0xfffe
	s_and_b32 s9, s11, s9
	s_wait_alu 0xfffe
	s_xor_b32 s10, s9, -1
	s_delay_alu instid0(SALU_CYCLE_1) | instskip(NEXT) | instid1(SALU_CYCLE_1)
	s_and_saveexec_b32 s11, s10
	s_xor_b32 s10, exec_lo, s11
; %bb.47:                               ;   in Loop: Header=BB34_2 Depth=1
	v_lshlrev_b32_e32 v83, 2, v85
	ds_load_b32 v83, v83 offset:4
; %bb.48:                               ;   in Loop: Header=BB34_2 Depth=1
	s_or_saveexec_b32 s10, s10
	v_mov_b32_e32 v86, v82
	s_xor_b32 exec_lo, exec_lo, s10
	s_cbranch_execz .LBB34_50
; %bb.49:                               ;   in Loop: Header=BB34_2 Depth=1
	s_wait_dscnt 0x0
	v_lshlrev_b32_e32 v83, 2, v84
	ds_load_b32 v86, v83 offset:4
	v_mov_b32_e32 v83, v81
.LBB34_50:                              ;   in Loop: Header=BB34_2 Depth=1
	s_or_b32 exec_lo, exec_lo, s10
	v_add_nc_u32_e32 v87, 1, v85
	v_add_nc_u32_e32 v88, 1, v84
	v_cndmask_b32_e64 v82, v81, v82, s9
	v_mov_b32_e32 v81, v34
	s_wait_dscnt 0x0
	v_cmp_lt_i32_e64 s10, v86, v83
	v_cndmask_b32_e64 v85, v87, v85, s9
	v_cndmask_b32_e64 v84, v84, v88, s9
	;; [unrolled: 1-line block ×3, first 2 shown]
	s_wait_loadcnt 0x0
	s_barrier_signal -1
	v_cmp_ge_i32_e64 s11, v85, v20
	v_cmp_lt_i32_e64 s9, v84, v21
	s_barrier_wait -1
	global_inv scope:SCOPE_SE
	s_or_b32 s8, s11, s10
	s_wait_alu 0xfffe
	s_and_b32 s8, s9, s8
	s_wait_alu 0xfffe
	v_cndmask_b32_e64 v80, v83, v86, s8
	ds_store_2addr_b32 v3, v79, v82 offset1:1
	ds_store_b32 v3, v80 offset:8
	s_wait_loadcnt_dscnt 0x0
	s_barrier_signal -1
	s_barrier_wait -1
	global_inv scope:SCOPE_SE
	s_and_saveexec_b32 s9, s3
	s_cbranch_execz .LBB34_54
; %bb.51:                               ;   in Loop: Header=BB34_2 Depth=1
	v_mov_b32_e32 v81, v34
	v_mov_b32_e32 v79, v36
	s_mov_b32 s10, 0
.LBB34_52:                              ;   Parent Loop BB34_2 Depth=1
                                        ; =>  This Inner Loop Header: Depth=2
	s_delay_alu instid0(VALU_DEP_1) | instskip(NEXT) | instid1(VALU_DEP_1)
	v_sub_nc_u32_e32 v80, v79, v81
	v_lshrrev_b32_e32 v80, 1, v80
	s_delay_alu instid0(VALU_DEP_1) | instskip(NEXT) | instid1(VALU_DEP_1)
	v_add_nc_u32_e32 v80, v80, v81
	v_not_b32_e32 v82, v80
	v_lshl_add_u32 v83, v80, 2, v38
	v_add_nc_u32_e32 v84, 1, v80
	s_delay_alu instid0(VALU_DEP_3)
	v_lshl_add_u32 v82, v82, 2, v66
	ds_load_b32 v83, v83
	ds_load_b32 v82, v82 offset:192
	s_wait_dscnt 0x0
	v_cmp_lt_i32_e64 s8, v82, v83
	s_wait_alu 0xf1ff
	s_delay_alu instid0(VALU_DEP_1) | instskip(SKIP_1) | instid1(VALU_DEP_1)
	v_cndmask_b32_e64 v79, v79, v80, s8
	v_cndmask_b32_e64 v81, v84, v81, s8
	v_cmp_ge_i32_e64 s8, v81, v79
	s_or_b32 s10, s8, s10
	s_delay_alu instid0(SALU_CYCLE_1)
	s_and_not1_b32 exec_lo, exec_lo, s10
	s_cbranch_execnz .LBB34_52
; %bb.53:                               ;   in Loop: Header=BB34_2 Depth=1
	s_or_b32 exec_lo, exec_lo, s10
.LBB34_54:                              ;   in Loop: Header=BB34_2 Depth=1
	s_wait_alu 0xfffe
	s_or_b32 exec_lo, exec_lo, s9
	v_sub_nc_u32_e32 v79, v75, v81
	v_lshl_add_u32 v82, v81, 2, v38
	v_add_nc_u32_e32 v83, v81, v31
	v_sub_nc_u32_e32 v84, v41, v81
                                        ; implicit-def: $vgpr81
	s_delay_alu instid0(VALU_DEP_4)
	v_lshlrev_b32_e32 v85, 2, v79
	ds_load_b32 v79, v82
	ds_load_b32 v80, v85 offset:192
	v_cmp_le_i32_e64 s8, v29, v83
	v_cmp_gt_i32_e64 s10, v30, v84
	s_wait_dscnt 0x0
	v_cmp_lt_i32_e64 s9, v80, v79
	s_or_b32 s8, s8, s9
	s_wait_alu 0xfffe
	s_and_b32 s8, s10, s8
	s_wait_alu 0xfffe
	s_xor_b32 s9, s8, -1
	s_wait_alu 0xfffe
	s_and_saveexec_b32 s10, s9
	s_delay_alu instid0(SALU_CYCLE_1)
	s_xor_b32 s9, exec_lo, s10
; %bb.55:                               ;   in Loop: Header=BB34_2 Depth=1
	ds_load_b32 v81, v82 offset:4
                                        ; implicit-def: $vgpr85
; %bb.56:                               ;   in Loop: Header=BB34_2 Depth=1
	s_wait_alu 0xfffe
	s_or_saveexec_b32 s9, s9
	v_mov_b32_e32 v82, v80
	s_wait_alu 0xfffe
	s_xor_b32 exec_lo, exec_lo, s9
	s_cbranch_execz .LBB34_58
; %bb.57:                               ;   in Loop: Header=BB34_2 Depth=1
	ds_load_b32 v82, v85 offset:196
	s_wait_dscnt 0x1
	v_mov_b32_e32 v81, v79
.LBB34_58:                              ;   in Loop: Header=BB34_2 Depth=1
	s_or_b32 exec_lo, exec_lo, s9
	v_add_nc_u32_e32 v85, 1, v83
	v_add_nc_u32_e32 v86, 1, v84
	s_wait_dscnt 0x0
	v_cmp_lt_i32_e64 s10, v82, v81
	s_delay_alu instid0(VALU_DEP_3) | instskip(NEXT) | instid1(VALU_DEP_3)
	v_cndmask_b32_e64 v85, v85, v83, s8
	v_cndmask_b32_e64 v84, v84, v86, s8
                                        ; implicit-def: $vgpr83
	s_delay_alu instid0(VALU_DEP_2) | instskip(NEXT) | instid1(VALU_DEP_2)
	v_cmp_ge_i32_e64 s9, v85, v29
	v_cmp_lt_i32_e64 s11, v84, v30
	s_or_b32 s9, s9, s10
	s_wait_alu 0xfffe
	s_and_b32 s9, s11, s9
	s_wait_alu 0xfffe
	s_xor_b32 s10, s9, -1
	s_delay_alu instid0(SALU_CYCLE_1) | instskip(NEXT) | instid1(SALU_CYCLE_1)
	s_and_saveexec_b32 s11, s10
	s_xor_b32 s10, exec_lo, s11
; %bb.59:                               ;   in Loop: Header=BB34_2 Depth=1
	v_lshlrev_b32_e32 v83, 2, v85
	ds_load_b32 v83, v83 offset:4
; %bb.60:                               ;   in Loop: Header=BB34_2 Depth=1
	s_or_saveexec_b32 s10, s10
	v_mov_b32_e32 v86, v82
	s_xor_b32 exec_lo, exec_lo, s10
	s_cbranch_execz .LBB34_62
; %bb.61:                               ;   in Loop: Header=BB34_2 Depth=1
	s_wait_dscnt 0x0
	v_lshlrev_b32_e32 v83, 2, v84
	ds_load_b32 v86, v83 offset:4
	v_mov_b32_e32 v83, v81
.LBB34_62:                              ;   in Loop: Header=BB34_2 Depth=1
	s_or_b32 exec_lo, exec_lo, s10
	v_add_nc_u32_e32 v87, 1, v85
	v_add_nc_u32_e32 v88, 1, v84
	v_cndmask_b32_e64 v82, v81, v82, s9
	v_mov_b32_e32 v81, v39
	s_wait_dscnt 0x0
	v_cmp_lt_i32_e64 s10, v86, v83
	v_cndmask_b32_e64 v85, v87, v85, s9
	v_cndmask_b32_e64 v84, v84, v88, s9
	;; [unrolled: 1-line block ×3, first 2 shown]
	s_wait_loadcnt 0x0
	s_barrier_signal -1
	v_cmp_ge_i32_e64 s11, v85, v29
	v_cmp_lt_i32_e64 s9, v84, v30
	s_barrier_wait -1
	global_inv scope:SCOPE_SE
	s_or_b32 s8, s11, s10
	s_wait_alu 0xfffe
	s_and_b32 s8, s9, s8
	s_wait_alu 0xfffe
	v_cndmask_b32_e64 v80, v83, v86, s8
	ds_store_2addr_b32 v3, v79, v82 offset1:1
	ds_store_b32 v3, v80 offset:8
	s_wait_loadcnt_dscnt 0x0
	s_barrier_signal -1
	s_barrier_wait -1
	global_inv scope:SCOPE_SE
	s_and_saveexec_b32 s9, s4
	s_cbranch_execz .LBB34_66
; %bb.63:                               ;   in Loop: Header=BB34_2 Depth=1
	v_mov_b32_e32 v81, v39
	v_mov_b32_e32 v79, v40
	s_mov_b32 s10, 0
.LBB34_64:                              ;   Parent Loop BB34_2 Depth=1
                                        ; =>  This Inner Loop Header: Depth=2
	s_delay_alu instid0(VALU_DEP_1) | instskip(NEXT) | instid1(VALU_DEP_1)
	v_sub_nc_u32_e32 v80, v79, v81
	v_lshrrev_b32_e32 v80, 1, v80
	s_delay_alu instid0(VALU_DEP_1) | instskip(NEXT) | instid1(VALU_DEP_1)
	v_add_nc_u32_e32 v80, v80, v81
	v_not_b32_e32 v82, v80
	v_lshl_add_u32 v83, v80, 2, v42
	v_add_nc_u32_e32 v84, 1, v80
	s_delay_alu instid0(VALU_DEP_3)
	v_lshl_add_u32 v82, v82, 2, v67
	ds_load_b32 v83, v83
	ds_load_b32 v82, v82 offset:384
	s_wait_dscnt 0x0
	v_cmp_lt_i32_e64 s8, v82, v83
	s_wait_alu 0xf1ff
	s_delay_alu instid0(VALU_DEP_1) | instskip(SKIP_1) | instid1(VALU_DEP_1)
	v_cndmask_b32_e64 v79, v79, v80, s8
	v_cndmask_b32_e64 v81, v84, v81, s8
	v_cmp_ge_i32_e64 s8, v81, v79
	s_or_b32 s10, s8, s10
	s_delay_alu instid0(SALU_CYCLE_1)
	s_and_not1_b32 exec_lo, exec_lo, s10
	s_cbranch_execnz .LBB34_64
; %bb.65:                               ;   in Loop: Header=BB34_2 Depth=1
	s_or_b32 exec_lo, exec_lo, s10
.LBB34_66:                              ;   in Loop: Header=BB34_2 Depth=1
	s_wait_alu 0xfffe
	s_or_b32 exec_lo, exec_lo, s9
	v_sub_nc_u32_e32 v79, v76, v81
	v_lshl_add_u32 v82, v81, 2, v42
	v_add_nc_u32_e32 v83, v81, v35
	v_sub_nc_u32_e32 v84, v43, v81
                                        ; implicit-def: $vgpr81
	s_delay_alu instid0(VALU_DEP_4)
	v_lshlrev_b32_e32 v85, 2, v79
	ds_load_b32 v79, v82
	ds_load_b32 v80, v85 offset:384
	v_cmp_le_i32_e64 s8, v32, v83
	v_cmp_gt_i32_e64 s10, v33, v84
	s_wait_dscnt 0x0
	v_cmp_lt_i32_e64 s9, v80, v79
	s_or_b32 s8, s8, s9
	s_wait_alu 0xfffe
	s_and_b32 s8, s10, s8
	s_wait_alu 0xfffe
	s_xor_b32 s9, s8, -1
	s_wait_alu 0xfffe
	s_and_saveexec_b32 s10, s9
	s_delay_alu instid0(SALU_CYCLE_1)
	s_xor_b32 s9, exec_lo, s10
; %bb.67:                               ;   in Loop: Header=BB34_2 Depth=1
	ds_load_b32 v81, v82 offset:4
                                        ; implicit-def: $vgpr85
; %bb.68:                               ;   in Loop: Header=BB34_2 Depth=1
	s_wait_alu 0xfffe
	s_or_saveexec_b32 s9, s9
	v_mov_b32_e32 v82, v80
	s_wait_alu 0xfffe
	s_xor_b32 exec_lo, exec_lo, s9
	s_cbranch_execz .LBB34_70
; %bb.69:                               ;   in Loop: Header=BB34_2 Depth=1
	ds_load_b32 v82, v85 offset:388
	s_wait_dscnt 0x1
	v_mov_b32_e32 v81, v79
.LBB34_70:                              ;   in Loop: Header=BB34_2 Depth=1
	s_or_b32 exec_lo, exec_lo, s9
	v_add_nc_u32_e32 v85, 1, v83
	v_add_nc_u32_e32 v86, 1, v84
	s_wait_dscnt 0x0
	v_cmp_lt_i32_e64 s10, v82, v81
	s_delay_alu instid0(VALU_DEP_3) | instskip(NEXT) | instid1(VALU_DEP_3)
	v_cndmask_b32_e64 v85, v85, v83, s8
	v_cndmask_b32_e64 v84, v84, v86, s8
                                        ; implicit-def: $vgpr83
	s_delay_alu instid0(VALU_DEP_2) | instskip(NEXT) | instid1(VALU_DEP_2)
	v_cmp_ge_i32_e64 s9, v85, v32
	v_cmp_lt_i32_e64 s11, v84, v33
	s_or_b32 s9, s9, s10
	s_wait_alu 0xfffe
	s_and_b32 s9, s11, s9
	s_wait_alu 0xfffe
	s_xor_b32 s10, s9, -1
	s_delay_alu instid0(SALU_CYCLE_1) | instskip(NEXT) | instid1(SALU_CYCLE_1)
	s_and_saveexec_b32 s11, s10
	s_xor_b32 s10, exec_lo, s11
; %bb.71:                               ;   in Loop: Header=BB34_2 Depth=1
	v_lshlrev_b32_e32 v83, 2, v85
	ds_load_b32 v83, v83 offset:4
; %bb.72:                               ;   in Loop: Header=BB34_2 Depth=1
	s_or_saveexec_b32 s10, s10
	v_mov_b32_e32 v86, v82
	s_xor_b32 exec_lo, exec_lo, s10
	s_cbranch_execz .LBB34_74
; %bb.73:                               ;   in Loop: Header=BB34_2 Depth=1
	s_wait_dscnt 0x0
	v_lshlrev_b32_e32 v83, 2, v84
	ds_load_b32 v86, v83 offset:4
	v_mov_b32_e32 v83, v81
.LBB34_74:                              ;   in Loop: Header=BB34_2 Depth=1
	s_or_b32 exec_lo, exec_lo, s10
	v_add_nc_u32_e32 v87, 1, v85
	v_add_nc_u32_e32 v88, 1, v84
	v_cndmask_b32_e64 v82, v81, v82, s9
	v_mov_b32_e32 v81, v51
	s_wait_dscnt 0x0
	v_cmp_lt_i32_e64 s10, v86, v83
	v_cndmask_b32_e64 v85, v87, v85, s9
	v_cndmask_b32_e64 v84, v84, v88, s9
	;; [unrolled: 1-line block ×3, first 2 shown]
	s_wait_loadcnt 0x0
	s_barrier_signal -1
	v_cmp_ge_i32_e64 s11, v85, v32
	v_cmp_lt_i32_e64 s9, v84, v33
	s_barrier_wait -1
	global_inv scope:SCOPE_SE
	s_or_b32 s8, s11, s10
	s_wait_alu 0xfffe
	s_and_b32 s8, s9, s8
	s_wait_alu 0xfffe
	v_cndmask_b32_e64 v80, v83, v86, s8
	ds_store_2addr_b32 v3, v79, v82 offset1:1
	ds_store_b32 v3, v80 offset:8
	s_wait_loadcnt_dscnt 0x0
	s_barrier_signal -1
	s_barrier_wait -1
	global_inv scope:SCOPE_SE
	s_and_saveexec_b32 s9, s5
	s_cbranch_execz .LBB34_78
; %bb.75:                               ;   in Loop: Header=BB34_2 Depth=1
	v_mov_b32_e32 v81, v51
	v_mov_b32_e32 v79, v52
	s_mov_b32 s10, 0
.LBB34_76:                              ;   Parent Loop BB34_2 Depth=1
                                        ; =>  This Inner Loop Header: Depth=2
	s_delay_alu instid0(VALU_DEP_1) | instskip(NEXT) | instid1(VALU_DEP_1)
	v_sub_nc_u32_e32 v80, v79, v81
	v_lshrrev_b32_e32 v80, 1, v80
	s_delay_alu instid0(VALU_DEP_1) | instskip(NEXT) | instid1(VALU_DEP_1)
	v_add_nc_u32_e32 v80, v80, v81
	v_not_b32_e32 v82, v80
	v_lshl_add_u32 v83, v80, 2, v50
	v_add_nc_u32_e32 v84, 1, v80
	s_delay_alu instid0(VALU_DEP_3)
	v_lshl_add_u32 v82, v82, 2, v68
	ds_load_b32 v83, v83
	ds_load_b32 v82, v82 offset:768
	s_wait_dscnt 0x0
	v_cmp_lt_i32_e64 s8, v82, v83
	s_wait_alu 0xf1ff
	s_delay_alu instid0(VALU_DEP_1) | instskip(SKIP_1) | instid1(VALU_DEP_1)
	v_cndmask_b32_e64 v79, v79, v80, s8
	v_cndmask_b32_e64 v81, v84, v81, s8
	v_cmp_ge_i32_e64 s8, v81, v79
	s_or_b32 s10, s8, s10
	s_delay_alu instid0(SALU_CYCLE_1)
	s_and_not1_b32 exec_lo, exec_lo, s10
	s_cbranch_execnz .LBB34_76
; %bb.77:                               ;   in Loop: Header=BB34_2 Depth=1
	s_or_b32 exec_lo, exec_lo, s10
.LBB34_78:                              ;   in Loop: Header=BB34_2 Depth=1
	s_wait_alu 0xfffe
	s_or_b32 exec_lo, exec_lo, s9
	v_sub_nc_u32_e32 v79, v77, v81
	v_lshl_add_u32 v82, v81, 2, v50
	v_add_nc_u32_e32 v83, v81, v48
	v_sub_nc_u32_e32 v84, v56, v81
                                        ; implicit-def: $vgpr81
	s_delay_alu instid0(VALU_DEP_4)
	v_lshlrev_b32_e32 v85, 2, v79
	ds_load_b32 v79, v82
	ds_load_b32 v80, v85 offset:768
	v_cmp_le_i32_e64 s8, v44, v83
	v_cmp_gt_i32_e64 s10, v45, v84
	s_wait_dscnt 0x0
	v_cmp_lt_i32_e64 s9, v80, v79
	s_or_b32 s8, s8, s9
	s_wait_alu 0xfffe
	s_and_b32 s8, s10, s8
	s_wait_alu 0xfffe
	s_xor_b32 s9, s8, -1
	s_wait_alu 0xfffe
	s_and_saveexec_b32 s10, s9
	s_delay_alu instid0(SALU_CYCLE_1)
	s_xor_b32 s9, exec_lo, s10
; %bb.79:                               ;   in Loop: Header=BB34_2 Depth=1
	ds_load_b32 v81, v82 offset:4
                                        ; implicit-def: $vgpr85
; %bb.80:                               ;   in Loop: Header=BB34_2 Depth=1
	s_wait_alu 0xfffe
	s_or_saveexec_b32 s9, s9
	v_mov_b32_e32 v82, v80
	s_wait_alu 0xfffe
	s_xor_b32 exec_lo, exec_lo, s9
	s_cbranch_execz .LBB34_82
; %bb.81:                               ;   in Loop: Header=BB34_2 Depth=1
	ds_load_b32 v82, v85 offset:772
	s_wait_dscnt 0x1
	v_mov_b32_e32 v81, v79
.LBB34_82:                              ;   in Loop: Header=BB34_2 Depth=1
	s_or_b32 exec_lo, exec_lo, s9
	v_add_nc_u32_e32 v85, 1, v83
	v_add_nc_u32_e32 v86, 1, v84
	s_wait_dscnt 0x0
	v_cmp_lt_i32_e64 s10, v82, v81
	s_delay_alu instid0(VALU_DEP_3) | instskip(NEXT) | instid1(VALU_DEP_3)
	v_cndmask_b32_e64 v85, v85, v83, s8
	v_cndmask_b32_e64 v84, v84, v86, s8
                                        ; implicit-def: $vgpr83
	s_delay_alu instid0(VALU_DEP_2) | instskip(NEXT) | instid1(VALU_DEP_2)
	v_cmp_ge_i32_e64 s9, v85, v44
	v_cmp_lt_i32_e64 s11, v84, v45
	s_or_b32 s9, s9, s10
	s_wait_alu 0xfffe
	s_and_b32 s9, s11, s9
	s_wait_alu 0xfffe
	s_xor_b32 s10, s9, -1
	s_delay_alu instid0(SALU_CYCLE_1) | instskip(NEXT) | instid1(SALU_CYCLE_1)
	s_and_saveexec_b32 s11, s10
	s_xor_b32 s10, exec_lo, s11
; %bb.83:                               ;   in Loop: Header=BB34_2 Depth=1
	v_lshlrev_b32_e32 v83, 2, v85
	ds_load_b32 v83, v83 offset:4
; %bb.84:                               ;   in Loop: Header=BB34_2 Depth=1
	s_or_saveexec_b32 s10, s10
	v_mov_b32_e32 v86, v82
	s_xor_b32 exec_lo, exec_lo, s10
	s_cbranch_execz .LBB34_86
; %bb.85:                               ;   in Loop: Header=BB34_2 Depth=1
	s_wait_dscnt 0x0
	v_lshlrev_b32_e32 v83, 2, v84
	ds_load_b32 v86, v83 offset:4
	v_mov_b32_e32 v83, v81
.LBB34_86:                              ;   in Loop: Header=BB34_2 Depth=1
	s_or_b32 exec_lo, exec_lo, s10
	v_add_nc_u32_e32 v87, 1, v85
	v_add_nc_u32_e32 v88, 1, v84
	v_cndmask_b32_e64 v82, v81, v82, s9
	v_mov_b32_e32 v81, v53
	s_wait_dscnt 0x0
	v_cmp_lt_i32_e64 s10, v86, v83
	v_cndmask_b32_e64 v85, v87, v85, s9
	v_cndmask_b32_e64 v84, v84, v88, s9
	;; [unrolled: 1-line block ×3, first 2 shown]
	s_wait_loadcnt 0x0
	s_barrier_signal -1
	v_cmp_ge_i32_e64 s11, v85, v44
	v_cmp_lt_i32_e64 s9, v84, v45
	s_barrier_wait -1
	global_inv scope:SCOPE_SE
	s_or_b32 s8, s11, s10
	s_wait_alu 0xfffe
	s_and_b32 s8, s9, s8
	s_wait_alu 0xfffe
	v_cndmask_b32_e64 v80, v83, v86, s8
	ds_store_2addr_b32 v3, v79, v82 offset1:1
	ds_store_b32 v3, v80 offset:8
	s_wait_loadcnt_dscnt 0x0
	s_barrier_signal -1
	s_barrier_wait -1
	global_inv scope:SCOPE_SE
	s_and_saveexec_b32 s9, s6
	s_cbranch_execz .LBB34_90
; %bb.87:                               ;   in Loop: Header=BB34_2 Depth=1
	v_mov_b32_e32 v81, v53
	v_mov_b32_e32 v79, v54
	s_mov_b32 s10, 0
.LBB34_88:                              ;   Parent Loop BB34_2 Depth=1
                                        ; =>  This Inner Loop Header: Depth=2
	s_delay_alu instid0(VALU_DEP_1) | instskip(NEXT) | instid1(VALU_DEP_1)
	v_sub_nc_u32_e32 v80, v79, v81
	v_lshrrev_b32_e32 v80, 1, v80
	s_delay_alu instid0(VALU_DEP_1) | instskip(NEXT) | instid1(VALU_DEP_1)
	v_add_nc_u32_e32 v80, v80, v81
	v_not_b32_e32 v82, v80
	v_lshl_add_u32 v83, v80, 2, v57
	v_add_nc_u32_e32 v84, 1, v80
	s_delay_alu instid0(VALU_DEP_3)
	v_lshl_add_u32 v82, v82, 2, v69
	ds_load_b32 v83, v83
	ds_load_b32 v82, v82 offset:1536
	s_wait_dscnt 0x0
	v_cmp_lt_i32_e64 s8, v82, v83
	s_wait_alu 0xf1ff
	s_delay_alu instid0(VALU_DEP_1) | instskip(SKIP_1) | instid1(VALU_DEP_1)
	v_cndmask_b32_e64 v79, v79, v80, s8
	v_cndmask_b32_e64 v81, v84, v81, s8
	v_cmp_ge_i32_e64 s8, v81, v79
	s_or_b32 s10, s8, s10
	s_delay_alu instid0(SALU_CYCLE_1)
	s_and_not1_b32 exec_lo, exec_lo, s10
	s_cbranch_execnz .LBB34_88
; %bb.89:                               ;   in Loop: Header=BB34_2 Depth=1
	s_or_b32 exec_lo, exec_lo, s10
.LBB34_90:                              ;   in Loop: Header=BB34_2 Depth=1
	s_wait_alu 0xfffe
	s_or_b32 exec_lo, exec_lo, s9
	v_sub_nc_u32_e32 v79, v78, v81
	v_lshl_add_u32 v82, v81, 2, v57
	v_add_nc_u32_e32 v83, v81, v49
	v_sub_nc_u32_e32 v84, v60, v81
                                        ; implicit-def: $vgpr81
	s_delay_alu instid0(VALU_DEP_4)
	v_lshlrev_b32_e32 v85, 2, v79
	ds_load_b32 v79, v82
	ds_load_b32 v80, v85 offset:1536
	v_cmp_le_i32_e64 s8, v46, v83
	v_cmp_gt_i32_e64 s10, v47, v84
	s_wait_dscnt 0x0
	v_cmp_lt_i32_e64 s9, v80, v79
	s_or_b32 s8, s8, s9
	s_wait_alu 0xfffe
	s_and_b32 s8, s10, s8
	s_wait_alu 0xfffe
	s_xor_b32 s9, s8, -1
	s_wait_alu 0xfffe
	s_and_saveexec_b32 s10, s9
	s_delay_alu instid0(SALU_CYCLE_1)
	s_xor_b32 s9, exec_lo, s10
; %bb.91:                               ;   in Loop: Header=BB34_2 Depth=1
	ds_load_b32 v81, v82 offset:4
                                        ; implicit-def: $vgpr85
; %bb.92:                               ;   in Loop: Header=BB34_2 Depth=1
	s_wait_alu 0xfffe
	s_or_saveexec_b32 s9, s9
	v_mov_b32_e32 v82, v80
	s_wait_alu 0xfffe
	s_xor_b32 exec_lo, exec_lo, s9
	s_cbranch_execz .LBB34_94
; %bb.93:                               ;   in Loop: Header=BB34_2 Depth=1
	ds_load_b32 v82, v85 offset:1540
	s_wait_dscnt 0x1
	v_mov_b32_e32 v81, v79
.LBB34_94:                              ;   in Loop: Header=BB34_2 Depth=1
	s_or_b32 exec_lo, exec_lo, s9
	v_add_nc_u32_e32 v85, 1, v83
	v_add_nc_u32_e32 v86, 1, v84
	s_wait_dscnt 0x0
	v_cmp_lt_i32_e64 s10, v82, v81
	s_delay_alu instid0(VALU_DEP_3) | instskip(NEXT) | instid1(VALU_DEP_3)
	v_cndmask_b32_e64 v85, v85, v83, s8
	v_cndmask_b32_e64 v84, v84, v86, s8
                                        ; implicit-def: $vgpr83
	s_delay_alu instid0(VALU_DEP_2) | instskip(NEXT) | instid1(VALU_DEP_2)
	v_cmp_ge_i32_e64 s9, v85, v46
	v_cmp_lt_i32_e64 s11, v84, v47
	s_or_b32 s9, s9, s10
	s_wait_alu 0xfffe
	s_and_b32 s9, s11, s9
	s_wait_alu 0xfffe
	s_xor_b32 s10, s9, -1
	s_delay_alu instid0(SALU_CYCLE_1) | instskip(NEXT) | instid1(SALU_CYCLE_1)
	s_and_saveexec_b32 s11, s10
	s_xor_b32 s10, exec_lo, s11
; %bb.95:                               ;   in Loop: Header=BB34_2 Depth=1
	v_lshlrev_b32_e32 v83, 2, v85
	ds_load_b32 v83, v83 offset:4
; %bb.96:                               ;   in Loop: Header=BB34_2 Depth=1
	s_or_saveexec_b32 s10, s10
	v_mov_b32_e32 v86, v82
	s_xor_b32 exec_lo, exec_lo, s10
	s_cbranch_execz .LBB34_98
; %bb.97:                               ;   in Loop: Header=BB34_2 Depth=1
	s_wait_dscnt 0x0
	v_lshlrev_b32_e32 v83, 2, v84
	ds_load_b32 v86, v83 offset:4
	v_mov_b32_e32 v83, v81
.LBB34_98:                              ;   in Loop: Header=BB34_2 Depth=1
	s_or_b32 exec_lo, exec_lo, s10
	v_add_nc_u32_e32 v87, 1, v85
	v_add_nc_u32_e32 v88, 1, v84
	v_cndmask_b32_e64 v82, v81, v82, s9
	v_mov_b32_e32 v81, v58
	s_wait_dscnt 0x0
	v_cmp_lt_i32_e64 s10, v86, v83
	v_cndmask_b32_e64 v85, v87, v85, s9
	v_cndmask_b32_e64 v84, v84, v88, s9
	;; [unrolled: 1-line block ×3, first 2 shown]
	s_wait_loadcnt 0x0
	s_barrier_signal -1
	v_cmp_ge_i32_e64 s11, v85, v46
	v_cmp_lt_i32_e64 s9, v84, v47
	s_barrier_wait -1
	global_inv scope:SCOPE_SE
	s_or_b32 s8, s11, s10
	s_wait_alu 0xfffe
	s_and_b32 s8, s9, s8
	s_wait_alu 0xfffe
	v_cndmask_b32_e64 v80, v83, v86, s8
	ds_store_2addr_b32 v3, v79, v82 offset1:1
	ds_store_b32 v3, v80 offset:8
	s_wait_loadcnt_dscnt 0x0
	s_barrier_signal -1
	s_barrier_wait -1
	global_inv scope:SCOPE_SE
	s_and_saveexec_b32 s9, s7
	s_cbranch_execz .LBB34_102
; %bb.99:                               ;   in Loop: Header=BB34_2 Depth=1
	v_mov_b32_e32 v81, v58
	v_mov_b32_e32 v79, v59
	s_mov_b32 s10, 0
.LBB34_100:                             ;   Parent Loop BB34_2 Depth=1
                                        ; =>  This Inner Loop Header: Depth=2
	s_delay_alu instid0(VALU_DEP_1) | instskip(NEXT) | instid1(VALU_DEP_1)
	v_sub_nc_u32_e32 v80, v79, v81
	v_lshrrev_b32_e32 v80, 1, v80
	s_delay_alu instid0(VALU_DEP_1) | instskip(NEXT) | instid1(VALU_DEP_1)
	v_add_nc_u32_e32 v80, v80, v81
	v_not_b32_e32 v82, v80
	v_lshlrev_b32_e32 v83, 2, v80
	v_add_nc_u32_e32 v84, 1, v80
	s_delay_alu instid0(VALU_DEP_3)
	v_lshl_add_u32 v82, v82, 2, v70
	ds_load_b32 v83, v83
	ds_load_b32 v82, v82 offset:3072
	s_wait_dscnt 0x0
	v_cmp_lt_i32_e64 s8, v82, v83
	s_wait_alu 0xf1ff
	s_delay_alu instid0(VALU_DEP_1) | instskip(SKIP_1) | instid1(VALU_DEP_1)
	v_cndmask_b32_e64 v79, v79, v80, s8
	v_cndmask_b32_e64 v81, v84, v81, s8
	v_cmp_ge_i32_e64 s8, v81, v79
	s_or_b32 s10, s8, s10
	s_delay_alu instid0(SALU_CYCLE_1)
	s_and_not1_b32 exec_lo, exec_lo, s10
	s_cbranch_execnz .LBB34_100
; %bb.101:                              ;   in Loop: Header=BB34_2 Depth=1
	s_or_b32 exec_lo, exec_lo, s10
.LBB34_102:                             ;   in Loop: Header=BB34_2 Depth=1
	s_wait_alu 0xfffe
	s_or_b32 exec_lo, exec_lo, s9
	v_sub_nc_u32_e32 v79, v55, v81
	v_lshlrev_b32_e32 v83, 2, v81
	v_sub_nc_u32_e32 v84, v61, v81
	v_cmp_le_i32_e64 s8, 0x300, v81
                                        ; implicit-def: $vgpr82
	s_delay_alu instid0(VALU_DEP_4)
	v_lshlrev_b32_e32 v85, 2, v79
	ds_load_b32 v79, v83
	ds_load_b32 v80, v85 offset:3072
	v_cmp_gt_i32_e64 s10, 0x600, v84
	s_wait_dscnt 0x0
	v_cmp_lt_i32_e64 s9, v80, v79
	s_or_b32 s8, s8, s9
	s_wait_alu 0xfffe
	s_and_b32 s8, s10, s8
	s_wait_alu 0xfffe
	s_xor_b32 s9, s8, -1
	s_wait_alu 0xfffe
	s_and_saveexec_b32 s10, s9
	s_delay_alu instid0(SALU_CYCLE_1)
	s_xor_b32 s9, exec_lo, s10
; %bb.103:                              ;   in Loop: Header=BB34_2 Depth=1
	ds_load_b32 v82, v83 offset:4
                                        ; implicit-def: $vgpr85
; %bb.104:                              ;   in Loop: Header=BB34_2 Depth=1
	s_wait_alu 0xfffe
	s_or_saveexec_b32 s9, s9
	v_mov_b32_e32 v83, v80
	s_wait_alu 0xfffe
	s_xor_b32 exec_lo, exec_lo, s9
	s_cbranch_execz .LBB34_106
; %bb.105:                              ;   in Loop: Header=BB34_2 Depth=1
	ds_load_b32 v83, v85 offset:3076
	s_wait_dscnt 0x1
	v_mov_b32_e32 v82, v79
.LBB34_106:                             ;   in Loop: Header=BB34_2 Depth=1
	s_or_b32 exec_lo, exec_lo, s9
	v_add_nc_u32_e32 v85, 1, v81
	v_add_nc_u32_e32 v86, 1, v84
	s_wait_dscnt 0x0
	v_cmp_lt_i32_e64 s10, v83, v82
	s_delay_alu instid0(VALU_DEP_3) | instskip(NEXT) | instid1(VALU_DEP_3)
	v_cndmask_b32_e64 v85, v85, v81, s8
	v_cndmask_b32_e64 v81, v84, v86, s8
                                        ; implicit-def: $vgpr84
                                        ; implicit-def: $vgpr86
	s_delay_alu instid0(VALU_DEP_2) | instskip(NEXT) | instid1(VALU_DEP_2)
	v_cmp_le_i32_e64 s9, 0x300, v85
	v_cmp_gt_i32_e64 s11, 0x600, v81
	s_or_b32 s9, s9, s10
	s_wait_alu 0xfffe
	s_and_b32 s9, s11, s9
	s_wait_alu 0xfffe
	s_xor_b32 s10, s9, -1
	s_delay_alu instid0(SALU_CYCLE_1) | instskip(NEXT) | instid1(SALU_CYCLE_1)
	s_and_saveexec_b32 s11, s10
	s_xor_b32 s10, exec_lo, s11
; %bb.107:                              ;   in Loop: Header=BB34_2 Depth=1
	v_lshlrev_b32_e32 v84, 2, v85
	v_add_nc_u32_e32 v86, 1, v85
                                        ; implicit-def: $vgpr85
	ds_load_b32 v84, v84 offset:4
; %bb.108:                              ;   in Loop: Header=BB34_2 Depth=1
	s_or_saveexec_b32 s10, s10
	v_mov_b32_e32 v87, v83
	s_xor_b32 exec_lo, exec_lo, s10
	s_cbranch_execz .LBB34_1
; %bb.109:                              ;   in Loop: Header=BB34_2 Depth=1
	s_wait_dscnt 0x0
	v_lshlrev_b32_e32 v84, 2, v81
	v_dual_mov_b32 v86, v85 :: v_dual_add_nc_u32 v81, 1, v81
	ds_load_b32 v87, v84 offset:4
	v_mov_b32_e32 v84, v82
	s_branch .LBB34_1
.LBB34_110:
	v_lshlrev_b32_e32 v0, 2, v0
	s_add_nc_u64 s[0:1], s[14:15], s[18:19]
	s_clause 0x2
	global_store_b32 v0, v80, s[0:1]
	global_store_b32 v0, v81, s[0:1] offset:2048
	global_store_b32 v0, v79, s[0:1] offset:4096
	s_endpgm
	.section	.rodata,"a",@progbits
	.p2align	6, 0x0
	.amdhsa_kernel _Z16sort_keys_kernelIiLj512ELj3EN10test_utils4lessELj10EEvPKT_PS2_T2_
		.amdhsa_group_segment_fixed_size 6148
		.amdhsa_private_segment_fixed_size 0
		.amdhsa_kernarg_size 20
		.amdhsa_user_sgpr_count 2
		.amdhsa_user_sgpr_dispatch_ptr 0
		.amdhsa_user_sgpr_queue_ptr 0
		.amdhsa_user_sgpr_kernarg_segment_ptr 1
		.amdhsa_user_sgpr_dispatch_id 0
		.amdhsa_user_sgpr_private_segment_size 0
		.amdhsa_wavefront_size32 1
		.amdhsa_uses_dynamic_stack 0
		.amdhsa_enable_private_segment 0
		.amdhsa_system_sgpr_workgroup_id_x 1
		.amdhsa_system_sgpr_workgroup_id_y 0
		.amdhsa_system_sgpr_workgroup_id_z 0
		.amdhsa_system_sgpr_workgroup_info 0
		.amdhsa_system_vgpr_workitem_id 0
		.amdhsa_next_free_vgpr 90
		.amdhsa_next_free_sgpr 20
		.amdhsa_reserve_vcc 1
		.amdhsa_float_round_mode_32 0
		.amdhsa_float_round_mode_16_64 0
		.amdhsa_float_denorm_mode_32 3
		.amdhsa_float_denorm_mode_16_64 3
		.amdhsa_fp16_overflow 0
		.amdhsa_workgroup_processor_mode 1
		.amdhsa_memory_ordered 1
		.amdhsa_forward_progress 1
		.amdhsa_inst_pref_size 54
		.amdhsa_round_robin_scheduling 0
		.amdhsa_exception_fp_ieee_invalid_op 0
		.amdhsa_exception_fp_denorm_src 0
		.amdhsa_exception_fp_ieee_div_zero 0
		.amdhsa_exception_fp_ieee_overflow 0
		.amdhsa_exception_fp_ieee_underflow 0
		.amdhsa_exception_fp_ieee_inexact 0
		.amdhsa_exception_int_div_zero 0
	.end_amdhsa_kernel
	.section	.text._Z16sort_keys_kernelIiLj512ELj3EN10test_utils4lessELj10EEvPKT_PS2_T2_,"axG",@progbits,_Z16sort_keys_kernelIiLj512ELj3EN10test_utils4lessELj10EEvPKT_PS2_T2_,comdat
.Lfunc_end34:
	.size	_Z16sort_keys_kernelIiLj512ELj3EN10test_utils4lessELj10EEvPKT_PS2_T2_, .Lfunc_end34-_Z16sort_keys_kernelIiLj512ELj3EN10test_utils4lessELj10EEvPKT_PS2_T2_
                                        ; -- End function
	.set _Z16sort_keys_kernelIiLj512ELj3EN10test_utils4lessELj10EEvPKT_PS2_T2_.num_vgpr, 90
	.set _Z16sort_keys_kernelIiLj512ELj3EN10test_utils4lessELj10EEvPKT_PS2_T2_.num_agpr, 0
	.set _Z16sort_keys_kernelIiLj512ELj3EN10test_utils4lessELj10EEvPKT_PS2_T2_.numbered_sgpr, 20
	.set _Z16sort_keys_kernelIiLj512ELj3EN10test_utils4lessELj10EEvPKT_PS2_T2_.num_named_barrier, 0
	.set _Z16sort_keys_kernelIiLj512ELj3EN10test_utils4lessELj10EEvPKT_PS2_T2_.private_seg_size, 0
	.set _Z16sort_keys_kernelIiLj512ELj3EN10test_utils4lessELj10EEvPKT_PS2_T2_.uses_vcc, 1
	.set _Z16sort_keys_kernelIiLj512ELj3EN10test_utils4lessELj10EEvPKT_PS2_T2_.uses_flat_scratch, 0
	.set _Z16sort_keys_kernelIiLj512ELj3EN10test_utils4lessELj10EEvPKT_PS2_T2_.has_dyn_sized_stack, 0
	.set _Z16sort_keys_kernelIiLj512ELj3EN10test_utils4lessELj10EEvPKT_PS2_T2_.has_recursion, 0
	.set _Z16sort_keys_kernelIiLj512ELj3EN10test_utils4lessELj10EEvPKT_PS2_T2_.has_indirect_call, 0
	.section	.AMDGPU.csdata,"",@progbits
; Kernel info:
; codeLenInByte = 6904
; TotalNumSgprs: 22
; NumVgprs: 90
; ScratchSize: 0
; MemoryBound: 0
; FloatMode: 240
; IeeeMode: 1
; LDSByteSize: 6148 bytes/workgroup (compile time only)
; SGPRBlocks: 0
; VGPRBlocks: 11
; NumSGPRsForWavesPerEU: 22
; NumVGPRsForWavesPerEU: 90
; Occupancy: 16
; WaveLimiterHint : 1
; COMPUTE_PGM_RSRC2:SCRATCH_EN: 0
; COMPUTE_PGM_RSRC2:USER_SGPR: 2
; COMPUTE_PGM_RSRC2:TRAP_HANDLER: 0
; COMPUTE_PGM_RSRC2:TGID_X_EN: 1
; COMPUTE_PGM_RSRC2:TGID_Y_EN: 0
; COMPUTE_PGM_RSRC2:TGID_Z_EN: 0
; COMPUTE_PGM_RSRC2:TIDIG_COMP_CNT: 0
	.section	.text._Z17sort_pairs_kernelIiLj512ELj3EN10test_utils4lessELj10EEvPKT_PS2_T2_,"axG",@progbits,_Z17sort_pairs_kernelIiLj512ELj3EN10test_utils4lessELj10EEvPKT_PS2_T2_,comdat
	.protected	_Z17sort_pairs_kernelIiLj512ELj3EN10test_utils4lessELj10EEvPKT_PS2_T2_ ; -- Begin function _Z17sort_pairs_kernelIiLj512ELj3EN10test_utils4lessELj10EEvPKT_PS2_T2_
	.globl	_Z17sort_pairs_kernelIiLj512ELj3EN10test_utils4lessELj10EEvPKT_PS2_T2_
	.p2align	8
	.type	_Z17sort_pairs_kernelIiLj512ELj3EN10test_utils4lessELj10EEvPKT_PS2_T2_,@function
_Z17sort_pairs_kernelIiLj512ELj3EN10test_utils4lessELj10EEvPKT_PS2_T2_: ; @_Z17sort_pairs_kernelIiLj512ELj3EN10test_utils4lessELj10EEvPKT_PS2_T2_
; %bb.0:
	s_load_b128 s[16:19], s[0:1], 0x0
	s_mul_i32 s14, ttmp9, 0x600
	s_mov_b32 s15, 0
	v_lshlrev_b32_e32 v1, 2, v0
	s_lshl_b64 s[20:21], s[14:15], 2
	v_and_b32_e32 v4, 0x1fe, v0
	v_and_b32_e32 v6, 0x1fc, v0
	;; [unrolled: 1-line block ×5, first 2 shown]
	v_mul_u32_u24_e32 v13, 3, v4
	v_and_b32_e32 v5, 1, v0
	v_and_b32_e32 v10, 0x1c0, v0
	;; [unrolled: 1-line block ×3, first 2 shown]
	v_mul_u32_u24_e32 v14, 3, v6
	v_mul_u32_u24_e32 v15, 3, v7
	;; [unrolled: 1-line block ×4, first 2 shown]
	v_min_u32_e32 v47, 0x5fd, v13
	v_min_u32_e32 v21, 0x5fa, v13
	s_wait_kmcnt 0x0
	s_add_nc_u64 s[0:1], s[16:17], s[20:21]
	v_cmp_eq_u32_e32 vcc_lo, 1, v5
	s_clause 0x2
	global_load_b32 v81, v1, s[0:1]
	global_load_b32 v80, v1, s[0:1] offset:2048
	global_load_b32 v79, v1, s[0:1] offset:4096
	v_mul_u32_u24_e32 v18, 3, v10
	v_mul_u32_u24_e32 v19, 3, v11
	v_min_u32_e32 v22, 0x5f4, v14
	v_min_u32_e32 v9, 0x600, v15
	;; [unrolled: 1-line block ×9, first 2 shown]
	v_add_nc_u32_e32 v15, 3, v47
	v_add_nc_u32_e32 v16, 6, v21
	v_and_b32_e32 v56, 7, v0
	v_and_b32_e32 v58, 31, v0
	;; [unrolled: 1-line block ×3, first 2 shown]
	v_cndmask_b32_e64 v62, 0, 3, vcc_lo
	v_min_u32_e32 v7, 0x600, v13
	v_min_u32_e32 v52, 0x5a0, v18
	;; [unrolled: 1-line block ×6, first 2 shown]
	v_add_nc_u32_e32 v19, 12, v22
	v_add_nc_u32_e32 v21, 12, v49
	;; [unrolled: 1-line block ×5, first 2 shown]
	v_sub_nc_u32_e32 v67, v16, v15
	v_and_b32_e32 v59, 63, v0
	v_mul_u32_u24_e32 v64, 3, v56
	v_mul_u32_u24_e32 v74, 3, v58
	;; [unrolled: 1-line block ×3, first 2 shown]
	v_min_u32_e32 v11, 0x600, v17
	v_add_nc_u32_e32 v30, 0x60, v52
	v_add_nc_u32_e32 v31, 0xc0, v31
	v_sub_nc_u32_e32 v70, v21, v9
	v_sub_nc_u32_e32 v71, v22, v21
	;; [unrolled: 1-line block ×4, first 2 shown]
	v_cmp_ge_i32_e64 s0, v62, v67
	v_and_b32_e32 v60, 0x7f, v0
	v_mul_u32_u24_e32 v75, 3, v59
	v_min_u32_e32 v48, 0x5fa, v14
	v_min_u32_e32 v12, 0x600, v18
	;; [unrolled: 1-line block ×4, first 2 shown]
	v_lshlrev_b32_e32 v39, 2, v62
	v_lshlrev_b32_e32 v41, 2, v64
	v_add_nc_u32_e32 v33, 0xc0, v53
	v_add_nc_u32_e32 v34, 0x180, v34
	v_sub_nc_u32_e32 v66, v15, v7
	v_sub_nc_u32_e32 v82, v27, v11
	;; [unrolled: 1-line block ×4, first 2 shown]
	v_cmp_ge_i32_e64 s2, v64, v71
	v_min_i32_e32 v64, v64, v70
	v_sub_nc_u32_e32 v95, v74, v83
	v_cndmask_b32_e64 v70, 0, v91, s0
	v_cmp_ge_i32_e64 s0, v74, v83
	v_and_b32_e32 v55, 3, v0
	v_and_b32_e32 v57, 15, v0
	;; [unrolled: 1-line block ×3, first 2 shown]
	v_mul_u32_u24_e32 v76, 3, v60
	v_min_u32_e32 v8, 0x600, v14
	v_lshlrev_b32_e32 v43, 2, v74
	v_add_nc_u32_e32 v18, 6, v48
	v_add_nc_u32_e32 v24, 24, v50
	;; [unrolled: 1-line block ×5, first 2 shown]
	v_lshl_add_u32 v39, v47, 2, v39
	v_add_nc_u32_e32 v47, v47, v62
	v_add_nc_u32_e32 v54, v15, v62
	v_sub_nc_u32_e32 v84, v30, v12
	v_sub_nc_u32_e32 v88, v34, v33
	v_min_i32_e32 v62, v62, v66
	v_min_i32_e32 v66, v74, v82
	v_sub_nc_u32_e32 v82, v75, v86
	s_wait_alu 0xf1ff
	v_cndmask_b32_e64 v74, 0, v95, s0
	v_cmp_ge_i32_e64 s0, v75, v86
	v_mul_u32_u24_e32 v63, 3, v55
	v_mul_u32_u24_e32 v65, 3, v57
	;; [unrolled: 1-line block ×3, first 2 shown]
	v_min_u32_e32 v14, 0x600, v20
	v_lshlrev_b32_e32 v44, 2, v75
	v_sub_nc_u32_e32 v68, v18, v8
	v_sub_nc_u32_e32 v69, v19, v18
	;; [unrolled: 1-line block ×5, first 2 shown]
	v_min_i32_e32 v67, v75, v84
	v_sub_nc_u32_e32 v84, v76, v88
	s_wait_alu 0xf1ff
	v_cndmask_b32_e64 v75, 0, v82, s0
	v_cmp_ge_i32_e64 s0, v76, v88
	v_lshlrev_b32_e32 v40, 2, v63
	v_lshlrev_b32_e32 v45, 2, v76
	v_sub_nc_u32_e32 v72, v24, v10
	v_sub_nc_u32_e32 v89, v36, v14
	;; [unrolled: 1-line block ×3, first 2 shown]
	v_cmp_ge_i32_e64 s1, v63, v69
	v_min_i32_e32 v63, v63, v68
	v_sub_nc_u32_e32 v94, v65, v73
	v_cmp_ge_i32_e64 s3, v65, v73
	v_min_i32_e32 v68, v76, v87
	v_sub_nc_u32_e32 v87, v77, v90
	s_wait_alu 0xf1ff
	v_cndmask_b32_e64 v76, 0, v84, s0
	v_cmp_ge_i32_e64 s0, v77, v90
	v_mul_u32_u24_e32 v2, 3, v0
	v_lshlrev_b32_e32 v42, 2, v65
	v_lshlrev_b32_e32 v46, 2, v77
	v_min_i32_e32 v65, v65, v72
	v_min_i32_e32 v69, v77, v89
	v_cndmask_b32_e64 v71, 0, v92, s1
	v_cndmask_b32_e64 v72, 0, v93, s2
	;; [unrolled: 1-line block ×3, first 2 shown]
	s_wait_alu 0xf1ff
	v_cndmask_b32_e64 v77, 0, v87, s0
	v_mul_u32_u24_e32 v1, 12, v0
	v_mad_u32_u24 v3, v0, 3, 0x300
	v_subrev_nc_u32_e64 v4, 0x300, v2 clamp
	v_min_i32_e32 v5, 0x300, v2
	v_lshlrev_b32_e32 v6, 2, v2
	v_lshlrev_b32_e32 v17, 2, v7
	;; [unrolled: 1-line block ×9, first 2 shown]
	v_lshl_add_u32 v40, v48, 2, v40
	v_lshl_add_u32 v41, v49, 2, v41
	;; [unrolled: 1-line block ×7, first 2 shown]
	v_mad_u32_u24 v48, v55, 3, v48
	v_mad_u32_u24 v49, v56, 3, v49
	;; [unrolled: 1-line block ×13, first 2 shown]
	v_cmp_lt_i32_e64 s0, v70, v62
	v_cmp_lt_i32_e64 s1, v71, v63
	;; [unrolled: 1-line block ×8, first 2 shown]
	v_mad_u32_u24 v78, v78, 3, v85
	v_cmp_lt_i32_e32 vcc_lo, v4, v5
	s_wait_loadcnt 0x2
	v_add_nc_u32_e32 v84, 1, v81
	s_wait_loadcnt 0x1
	v_add_nc_u32_e32 v83, 1, v80
	;; [unrolled: 2-line block ×3, first 2 shown]
	s_branch .LBB35_2
.LBB35_1:                               ;   in Loop: Header=BB35_2 Depth=1
	s_or_b32 exec_lo, exec_lo, s10
	s_delay_alu instid0(VALU_DEP_1)
	v_cmp_le_i32_e64 s10, 0x300, v89
	s_wait_dscnt 0x0
	v_cmp_lt_i32_e64 s11, v93, v90
	v_cmp_gt_i32_e64 s12, 0x600, v84
	v_cndmask_b32_e64 v83, v79, v83, s8
	s_wait_loadcnt 0x0
	s_barrier_signal -1
	s_or_b32 s10, s10, s11
	s_barrier_wait -1
	s_wait_alu 0xfffe
	s_and_b32 s10, s12, s10
	global_inv scope:SCOPE_SE
	s_wait_alu 0xfffe
	v_cndmask_b32_e64 v84, v89, v84, s10
	ds_store_2addr_b32 v1, v80, v81 offset1:1
	ds_store_b32 v1, v82 offset:8
	v_lshlrev_b32_e32 v80, 2, v83
	v_lshlrev_b32_e32 v81, 2, v91
	s_wait_loadcnt_dscnt 0x0
	v_lshlrev_b32_e32 v82, 2, v84
	s_barrier_signal -1
	s_barrier_wait -1
	global_inv scope:SCOPE_SE
	ds_load_b32 v84, v80
	ds_load_b32 v83, v81
	;; [unrolled: 1-line block ×3, first 2 shown]
	v_cndmask_b32_e64 v79, v90, v93, s10
	v_cndmask_b32_e64 v81, v85, v86, s8
	;; [unrolled: 1-line block ×3, first 2 shown]
	s_add_co_i32 s15, s15, 1
	s_delay_alu instid0(SALU_CYCLE_1)
	s_cmp_eq_u32 s15, 10
	s_cbranch_scc1 .LBB35_110
.LBB35_2:                               ; =>This Loop Header: Depth=1
                                        ;     Child Loop BB35_4 Depth 2
                                        ;     Child Loop BB35_16 Depth 2
	;; [unrolled: 1-line block ×9, first 2 shown]
	s_delay_alu instid0(VALU_DEP_1)
	v_cmp_lt_i32_e64 s10, v80, v81
	v_max_i32_e32 v85, v80, v81
	s_barrier_signal -1
	s_barrier_wait -1
	s_wait_alu 0xf1ff
	v_cndmask_b32_e64 v86, v81, v80, s10
	v_cndmask_b32_e64 v80, v80, v81, s10
	v_cmp_lt_i32_e64 s8, v79, v85
	v_min_i32_e32 v81, v79, v85
	global_inv scope:SCOPE_SE
	s_wait_alu 0xf1ff
	v_cndmask_b32_e64 v85, v79, v85, s8
	v_cndmask_b32_e64 v79, v80, v79, s8
	v_cmp_lt_i32_e64 s9, v81, v86
	v_mov_b32_e32 v80, v70
	s_wait_alu 0xf1ff
	s_delay_alu instid0(VALU_DEP_2)
	v_cndmask_b32_e64 v79, v79, v86, s9
	v_cndmask_b32_e64 v81, v86, v81, s9
	ds_store_2addr_b32 v1, v81, v79 offset1:1
	ds_store_b32 v1, v85 offset:8
	s_wait_loadcnt_dscnt 0x0
	s_barrier_signal -1
	s_barrier_wait -1
	global_inv scope:SCOPE_SE
	s_and_saveexec_b32 s12, s0
	s_cbranch_execz .LBB35_6
; %bb.3:                                ;   in Loop: Header=BB35_2 Depth=1
	v_dual_mov_b32 v80, v70 :: v_dual_mov_b32 v79, v62
	s_mov_b32 s13, 0
.LBB35_4:                               ;   Parent Loop BB35_2 Depth=1
                                        ; =>  This Inner Loop Header: Depth=2
	s_delay_alu instid0(VALU_DEP_1) | instskip(NEXT) | instid1(VALU_DEP_1)
	v_sub_nc_u32_e32 v81, v79, v80
	v_lshrrev_b32_e32 v81, 1, v81
	s_delay_alu instid0(VALU_DEP_1) | instskip(NEXT) | instid1(VALU_DEP_1)
	v_add_nc_u32_e32 v81, v81, v80
	v_not_b32_e32 v85, v81
	v_lshl_add_u32 v86, v81, 2, v17
	v_add_nc_u32_e32 v87, 1, v81
	s_delay_alu instid0(VALU_DEP_3)
	v_lshl_add_u32 v85, v85, 2, v39
	ds_load_b32 v86, v86
	ds_load_b32 v85, v85 offset:12
	s_wait_dscnt 0x0
	v_cmp_lt_i32_e64 s11, v85, v86
	s_wait_alu 0xf1ff
	s_delay_alu instid0(VALU_DEP_1) | instskip(SKIP_1) | instid1(VALU_DEP_1)
	v_cndmask_b32_e64 v79, v79, v81, s11
	v_cndmask_b32_e64 v80, v87, v80, s11
	v_cmp_ge_i32_e64 s11, v80, v79
	s_wait_alu 0xfffe
	s_or_b32 s13, s11, s13
	s_wait_alu 0xfffe
	s_and_not1_b32 exec_lo, exec_lo, s13
	s_cbranch_execnz .LBB35_4
; %bb.5:                                ;   in Loop: Header=BB35_2 Depth=1
	s_or_b32 exec_lo, exec_lo, s13
.LBB35_6:                               ;   in Loop: Header=BB35_2 Depth=1
	s_wait_alu 0xfffe
	s_or_b32 exec_lo, exec_lo, s12
	v_sub_nc_u32_e32 v79, v47, v80
	v_lshl_add_u32 v88, v80, 2, v17
                                        ; implicit-def: $vgpr87
	s_delay_alu instid0(VALU_DEP_2)
	v_lshlrev_b32_e32 v81, 2, v79
	v_add_nc_u32_e32 v79, v80, v7
	v_sub_nc_u32_e32 v80, v54, v80
	ds_load_b32 v85, v88
	ds_load_b32 v86, v81 offset:12
	v_cmp_le_i32_e64 s11, v15, v79
	v_cmp_gt_i32_e64 s13, v16, v80
	s_wait_dscnt 0x0
	v_cmp_lt_i32_e64 s12, v86, v85
	s_or_b32 s11, s11, s12
	s_wait_alu 0xfffe
	s_and_b32 s11, s13, s11
	s_wait_alu 0xfffe
	s_xor_b32 s12, s11, -1
	s_wait_alu 0xfffe
	s_and_saveexec_b32 s13, s12
	s_wait_alu 0xfffe
	s_xor_b32 s12, exec_lo, s13
; %bb.7:                                ;   in Loop: Header=BB35_2 Depth=1
	ds_load_b32 v87, v88 offset:4
                                        ; implicit-def: $vgpr81
; %bb.8:                                ;   in Loop: Header=BB35_2 Depth=1
	s_wait_alu 0xfffe
	s_or_saveexec_b32 s12, s12
	v_mov_b32_e32 v88, v86
	s_wait_alu 0xfffe
	s_xor_b32 exec_lo, exec_lo, s12
	s_cbranch_execz .LBB35_10
; %bb.9:                                ;   in Loop: Header=BB35_2 Depth=1
	ds_load_b32 v88, v81 offset:16
	s_wait_dscnt 0x1
	v_mov_b32_e32 v87, v85
.LBB35_10:                              ;   in Loop: Header=BB35_2 Depth=1
	s_or_b32 exec_lo, exec_lo, s12
	v_add_nc_u32_e32 v81, 1, v79
	v_add_nc_u32_e32 v89, 1, v80
	s_wait_dscnt 0x0
	v_cmp_lt_i32_e64 s13, v88, v87
	s_delay_alu instid0(VALU_DEP_3) | instskip(NEXT) | instid1(VALU_DEP_3)
	v_cndmask_b32_e64 v90, v81, v79, s11
	v_cndmask_b32_e64 v89, v80, v89, s11
                                        ; implicit-def: $vgpr81
	s_delay_alu instid0(VALU_DEP_2) | instskip(NEXT) | instid1(VALU_DEP_2)
	v_cmp_ge_i32_e64 s12, v90, v15
	v_cmp_lt_i32_e64 s14, v89, v16
	s_or_b32 s12, s12, s13
	s_wait_alu 0xfffe
	s_and_b32 s12, s14, s12
	s_wait_alu 0xfffe
	s_xor_b32 s13, s12, -1
	s_wait_alu 0xfffe
	s_and_saveexec_b32 s14, s13
	s_delay_alu instid0(SALU_CYCLE_1)
	s_xor_b32 s13, exec_lo, s14
; %bb.11:                               ;   in Loop: Header=BB35_2 Depth=1
	v_lshlrev_b32_e32 v81, 2, v90
	ds_load_b32 v81, v81 offset:4
; %bb.12:                               ;   in Loop: Header=BB35_2 Depth=1
	s_wait_alu 0xfffe
	s_or_saveexec_b32 s13, s13
	v_mov_b32_e32 v91, v88
	s_wait_alu 0xfffe
	s_xor_b32 exec_lo, exec_lo, s13
	s_cbranch_execz .LBB35_14
; %bb.13:                               ;   in Loop: Header=BB35_2 Depth=1
	s_wait_dscnt 0x0
	v_lshlrev_b32_e32 v81, 2, v89
	ds_load_b32 v91, v81 offset:4
	v_mov_b32_e32 v81, v87
.LBB35_14:                              ;   in Loop: Header=BB35_2 Depth=1
	s_or_b32 exec_lo, exec_lo, s13
	v_add_nc_u32_e32 v92, 1, v90
	v_add_nc_u32_e32 v93, 1, v89
	v_cndmask_b32_e64 v94, v90, v89, s12
	v_cndmask_b32_e64 v79, v79, v80, s11
	v_cndmask_b32_e64 v80, v83, v84, s10
	v_cndmask_b32_e64 v90, v92, v90, s12
	v_cndmask_b32_e64 v83, v84, v83, s10
	v_cndmask_b32_e64 v84, v89, v93, s12
	s_wait_dscnt 0x0
	v_cmp_lt_i32_e64 s10, v91, v81
	v_cndmask_b32_e64 v89, v80, v82, s8
	v_cmp_ge_i32_e64 s13, v90, v15
	v_cndmask_b32_e64 v80, v82, v80, s8
	v_cmp_lt_i32_e64 s14, v84, v16
	v_lshlrev_b32_e32 v79, 2, v79
	v_cndmask_b32_e64 v82, v89, v83, s9
	s_or_b32 s8, s13, s10
	v_cndmask_b32_e64 v83, v83, v89, s9
	s_wait_alu 0xfffe
	s_and_b32 s8, s14, s8
	s_wait_loadcnt 0x0
	s_wait_alu 0xfffe
	v_cndmask_b32_e64 v89, v81, v91, s8
	v_cndmask_b32_e64 v81, v90, v84, s8
	s_barrier_signal -1
	s_barrier_wait -1
	global_inv scope:SCOPE_SE
	ds_store_2addr_b32 v1, v83, v82 offset1:1
	ds_store_b32 v1, v80 offset:8
	v_lshlrev_b32_e32 v80, 2, v94
	v_lshlrev_b32_e32 v81, 2, v81
	s_wait_loadcnt_dscnt 0x0
	s_barrier_signal -1
	s_barrier_wait -1
	global_inv scope:SCOPE_SE
	ds_load_b32 v79, v79
	ds_load_b32 v80, v80
	;; [unrolled: 1-line block ×3, first 2 shown]
	v_cndmask_b32_e64 v82, v87, v88, s12
	v_cndmask_b32_e64 v83, v85, v86, s11
	v_mov_b32_e32 v84, v71
	s_wait_loadcnt_dscnt 0x0
	s_barrier_signal -1
	s_barrier_wait -1
	global_inv scope:SCOPE_SE
	ds_store_2addr_b32 v1, v83, v82 offset1:1
	ds_store_b32 v1, v89 offset:8
	s_wait_loadcnt_dscnt 0x0
	s_barrier_signal -1
	s_barrier_wait -1
	global_inv scope:SCOPE_SE
	s_and_saveexec_b32 s9, s1
	s_cbranch_execz .LBB35_18
; %bb.15:                               ;   in Loop: Header=BB35_2 Depth=1
	v_mov_b32_e32 v84, v71
	v_mov_b32_e32 v82, v63
	s_mov_b32 s10, 0
.LBB35_16:                              ;   Parent Loop BB35_2 Depth=1
                                        ; =>  This Inner Loop Header: Depth=2
	s_delay_alu instid0(VALU_DEP_1) | instskip(NEXT) | instid1(VALU_DEP_1)
	v_sub_nc_u32_e32 v83, v82, v84
	v_lshrrev_b32_e32 v83, 1, v83
	s_delay_alu instid0(VALU_DEP_1) | instskip(NEXT) | instid1(VALU_DEP_1)
	v_add_nc_u32_e32 v83, v83, v84
	v_not_b32_e32 v85, v83
	v_lshl_add_u32 v86, v83, 2, v20
	v_add_nc_u32_e32 v87, 1, v83
	s_delay_alu instid0(VALU_DEP_3)
	v_lshl_add_u32 v85, v85, 2, v40
	ds_load_b32 v86, v86
	ds_load_b32 v85, v85 offset:24
	s_wait_dscnt 0x0
	v_cmp_lt_i32_e64 s8, v85, v86
	s_wait_alu 0xf1ff
	s_delay_alu instid0(VALU_DEP_1) | instskip(SKIP_1) | instid1(VALU_DEP_1)
	v_cndmask_b32_e64 v82, v82, v83, s8
	v_cndmask_b32_e64 v84, v87, v84, s8
	v_cmp_ge_i32_e64 s8, v84, v82
	s_wait_alu 0xfffe
	s_or_b32 s10, s8, s10
	s_wait_alu 0xfffe
	s_and_not1_b32 exec_lo, exec_lo, s10
	s_cbranch_execnz .LBB35_16
; %bb.17:                               ;   in Loop: Header=BB35_2 Depth=1
	s_or_b32 exec_lo, exec_lo, s10
.LBB35_18:                              ;   in Loop: Header=BB35_2 Depth=1
	s_wait_alu 0xfffe
	s_or_b32 exec_lo, exec_lo, s9
	v_sub_nc_u32_e32 v82, v48, v84
	v_lshl_add_u32 v85, v84, 2, v20
	v_add_nc_u32_e32 v86, v84, v8
	v_sub_nc_u32_e32 v87, v55, v84
                                        ; implicit-def: $vgpr84
	s_delay_alu instid0(VALU_DEP_4)
	v_lshlrev_b32_e32 v88, 2, v82
	ds_load_b32 v82, v85
	ds_load_b32 v83, v88 offset:24
	v_cmp_le_i32_e64 s8, v18, v86
	v_cmp_gt_i32_e64 s10, v19, v87
	s_wait_dscnt 0x0
	v_cmp_lt_i32_e64 s9, v83, v82
	s_or_b32 s8, s8, s9
	s_wait_alu 0xfffe
	s_and_b32 s8, s10, s8
	s_wait_alu 0xfffe
	s_xor_b32 s9, s8, -1
	s_wait_alu 0xfffe
	s_and_saveexec_b32 s10, s9
	s_wait_alu 0xfffe
	s_xor_b32 s9, exec_lo, s10
; %bb.19:                               ;   in Loop: Header=BB35_2 Depth=1
	ds_load_b32 v84, v85 offset:4
                                        ; implicit-def: $vgpr88
; %bb.20:                               ;   in Loop: Header=BB35_2 Depth=1
	s_wait_alu 0xfffe
	s_or_saveexec_b32 s9, s9
	v_mov_b32_e32 v85, v83
	s_wait_alu 0xfffe
	s_xor_b32 exec_lo, exec_lo, s9
	s_cbranch_execz .LBB35_22
; %bb.21:                               ;   in Loop: Header=BB35_2 Depth=1
	ds_load_b32 v85, v88 offset:28
	s_wait_dscnt 0x1
	v_mov_b32_e32 v84, v82
.LBB35_22:                              ;   in Loop: Header=BB35_2 Depth=1
	s_or_b32 exec_lo, exec_lo, s9
	v_add_nc_u32_e32 v88, 1, v86
	v_add_nc_u32_e32 v89, 1, v87
	s_wait_dscnt 0x0
	v_cmp_lt_i32_e64 s10, v85, v84
	s_delay_alu instid0(VALU_DEP_3) | instskip(NEXT) | instid1(VALU_DEP_3)
	v_cndmask_b32_e64 v90, v88, v86, s8
	v_cndmask_b32_e64 v89, v87, v89, s8
                                        ; implicit-def: $vgpr88
	s_delay_alu instid0(VALU_DEP_2) | instskip(NEXT) | instid1(VALU_DEP_2)
	v_cmp_ge_i32_e64 s9, v90, v18
	v_cmp_lt_i32_e64 s11, v89, v19
	s_or_b32 s9, s9, s10
	s_wait_alu 0xfffe
	s_and_b32 s9, s11, s9
	s_wait_alu 0xfffe
	s_xor_b32 s10, s9, -1
	s_wait_alu 0xfffe
	s_and_saveexec_b32 s11, s10
	s_wait_alu 0xfffe
	s_xor_b32 s10, exec_lo, s11
; %bb.23:                               ;   in Loop: Header=BB35_2 Depth=1
	v_lshlrev_b32_e32 v88, 2, v90
	ds_load_b32 v88, v88 offset:4
; %bb.24:                               ;   in Loop: Header=BB35_2 Depth=1
	s_wait_alu 0xfffe
	s_or_saveexec_b32 s10, s10
	v_mov_b32_e32 v91, v85
	s_wait_alu 0xfffe
	s_xor_b32 exec_lo, exec_lo, s10
	s_cbranch_execz .LBB35_26
; %bb.25:                               ;   in Loop: Header=BB35_2 Depth=1
	s_wait_dscnt 0x0
	v_lshlrev_b32_e32 v88, 2, v89
	ds_load_b32 v91, v88 offset:4
	v_mov_b32_e32 v88, v84
.LBB35_26:                              ;   in Loop: Header=BB35_2 Depth=1
	s_or_b32 exec_lo, exec_lo, s10
	v_add_nc_u32_e32 v92, 1, v90
	v_add_nc_u32_e32 v93, 1, v89
	s_wait_dscnt 0x0
	v_cmp_lt_i32_e64 s10, v91, v88
	v_cndmask_b32_e64 v86, v86, v87, s8
	s_wait_loadcnt 0x0
	v_cndmask_b32_e64 v92, v92, v90, s9
	v_cndmask_b32_e64 v90, v90, v89, s9
	;; [unrolled: 1-line block ×3, first 2 shown]
	s_barrier_signal -1
	s_barrier_wait -1
	v_cmp_ge_i32_e64 s11, v92, v18
	global_inv scope:SCOPE_SE
	v_cmp_lt_i32_e64 s12, v89, v19
	ds_store_2addr_b32 v1, v79, v80 offset1:1
	ds_store_b32 v1, v81 offset:8
	v_lshlrev_b32_e32 v79, 2, v86
	s_or_b32 s10, s11, s10
	v_lshlrev_b32_e32 v80, 2, v90
	s_wait_alu 0xfffe
	s_and_b32 s10, s12, s10
	s_wait_loadcnt_dscnt 0x0
	s_wait_alu 0xfffe
	v_cndmask_b32_e64 v87, v88, v91, s10
	v_cndmask_b32_e64 v88, v92, v89, s10
	s_barrier_signal -1
	s_barrier_wait -1
	global_inv scope:SCOPE_SE
	v_cndmask_b32_e64 v84, v84, v85, s9
	v_lshlrev_b32_e32 v81, 2, v88
	v_cndmask_b32_e64 v82, v82, v83, s8
	ds_load_b32 v79, v79
	ds_load_b32 v80, v80
	ds_load_b32 v81, v81
	s_wait_loadcnt_dscnt 0x0
	s_barrier_signal -1
	s_barrier_wait -1
	global_inv scope:SCOPE_SE
	ds_store_2addr_b32 v1, v82, v84 offset1:1
	ds_store_b32 v1, v87 offset:8
	v_mov_b32_e32 v84, v72
	s_wait_loadcnt_dscnt 0x0
	s_barrier_signal -1
	s_barrier_wait -1
	global_inv scope:SCOPE_SE
	s_and_saveexec_b32 s9, s2
	s_cbranch_execz .LBB35_30
; %bb.27:                               ;   in Loop: Header=BB35_2 Depth=1
	v_mov_b32_e32 v84, v72
	v_mov_b32_e32 v82, v64
	s_mov_b32 s10, 0
.LBB35_28:                              ;   Parent Loop BB35_2 Depth=1
                                        ; =>  This Inner Loop Header: Depth=2
	s_delay_alu instid0(VALU_DEP_1) | instskip(NEXT) | instid1(VALU_DEP_1)
	v_sub_nc_u32_e32 v83, v82, v84
	v_lshrrev_b32_e32 v83, 1, v83
	s_delay_alu instid0(VALU_DEP_1) | instskip(NEXT) | instid1(VALU_DEP_1)
	v_add_nc_u32_e32 v83, v83, v84
	v_not_b32_e32 v85, v83
	v_lshl_add_u32 v86, v83, 2, v23
	v_add_nc_u32_e32 v87, 1, v83
	s_delay_alu instid0(VALU_DEP_3)
	v_lshl_add_u32 v85, v85, 2, v41
	ds_load_b32 v86, v86
	ds_load_b32 v85, v85 offset:48
	s_wait_dscnt 0x0
	v_cmp_lt_i32_e64 s8, v85, v86
	s_wait_alu 0xf1ff
	s_delay_alu instid0(VALU_DEP_1) | instskip(SKIP_1) | instid1(VALU_DEP_1)
	v_cndmask_b32_e64 v82, v82, v83, s8
	v_cndmask_b32_e64 v84, v87, v84, s8
	v_cmp_ge_i32_e64 s8, v84, v82
	s_wait_alu 0xfffe
	s_or_b32 s10, s8, s10
	s_wait_alu 0xfffe
	s_and_not1_b32 exec_lo, exec_lo, s10
	s_cbranch_execnz .LBB35_28
; %bb.29:                               ;   in Loop: Header=BB35_2 Depth=1
	s_or_b32 exec_lo, exec_lo, s10
.LBB35_30:                              ;   in Loop: Header=BB35_2 Depth=1
	s_wait_alu 0xfffe
	s_or_b32 exec_lo, exec_lo, s9
	v_sub_nc_u32_e32 v82, v49, v84
	v_lshl_add_u32 v85, v84, 2, v23
	v_add_nc_u32_e32 v86, v84, v9
	v_sub_nc_u32_e32 v87, v56, v84
                                        ; implicit-def: $vgpr84
	s_delay_alu instid0(VALU_DEP_4)
	v_lshlrev_b32_e32 v88, 2, v82
	ds_load_b32 v82, v85
	ds_load_b32 v83, v88 offset:48
	v_cmp_le_i32_e64 s8, v21, v86
	v_cmp_gt_i32_e64 s10, v22, v87
	s_wait_dscnt 0x0
	v_cmp_lt_i32_e64 s9, v83, v82
	s_or_b32 s8, s8, s9
	s_wait_alu 0xfffe
	s_and_b32 s8, s10, s8
	s_wait_alu 0xfffe
	s_xor_b32 s9, s8, -1
	s_wait_alu 0xfffe
	s_and_saveexec_b32 s10, s9
	s_wait_alu 0xfffe
	s_xor_b32 s9, exec_lo, s10
; %bb.31:                               ;   in Loop: Header=BB35_2 Depth=1
	ds_load_b32 v84, v85 offset:4
                                        ; implicit-def: $vgpr88
; %bb.32:                               ;   in Loop: Header=BB35_2 Depth=1
	s_wait_alu 0xfffe
	s_or_saveexec_b32 s9, s9
	v_mov_b32_e32 v85, v83
	s_wait_alu 0xfffe
	s_xor_b32 exec_lo, exec_lo, s9
	s_cbranch_execz .LBB35_34
; %bb.33:                               ;   in Loop: Header=BB35_2 Depth=1
	ds_load_b32 v85, v88 offset:52
	s_wait_dscnt 0x1
	v_mov_b32_e32 v84, v82
.LBB35_34:                              ;   in Loop: Header=BB35_2 Depth=1
	s_or_b32 exec_lo, exec_lo, s9
	v_add_nc_u32_e32 v88, 1, v86
	v_add_nc_u32_e32 v89, 1, v87
	s_wait_dscnt 0x0
	v_cmp_lt_i32_e64 s10, v85, v84
	s_delay_alu instid0(VALU_DEP_3) | instskip(NEXT) | instid1(VALU_DEP_3)
	v_cndmask_b32_e64 v90, v88, v86, s8
	v_cndmask_b32_e64 v89, v87, v89, s8
                                        ; implicit-def: $vgpr88
	s_delay_alu instid0(VALU_DEP_2) | instskip(NEXT) | instid1(VALU_DEP_2)
	v_cmp_ge_i32_e64 s9, v90, v21
	v_cmp_lt_i32_e64 s11, v89, v22
	s_or_b32 s9, s9, s10
	s_wait_alu 0xfffe
	s_and_b32 s9, s11, s9
	s_wait_alu 0xfffe
	s_xor_b32 s10, s9, -1
	s_wait_alu 0xfffe
	s_and_saveexec_b32 s11, s10
	s_wait_alu 0xfffe
	s_xor_b32 s10, exec_lo, s11
; %bb.35:                               ;   in Loop: Header=BB35_2 Depth=1
	v_lshlrev_b32_e32 v88, 2, v90
	ds_load_b32 v88, v88 offset:4
; %bb.36:                               ;   in Loop: Header=BB35_2 Depth=1
	s_wait_alu 0xfffe
	s_or_saveexec_b32 s10, s10
	v_mov_b32_e32 v91, v85
	s_wait_alu 0xfffe
	s_xor_b32 exec_lo, exec_lo, s10
	s_cbranch_execz .LBB35_38
; %bb.37:                               ;   in Loop: Header=BB35_2 Depth=1
	s_wait_dscnt 0x0
	v_lshlrev_b32_e32 v88, 2, v89
	ds_load_b32 v91, v88 offset:4
	v_mov_b32_e32 v88, v84
.LBB35_38:                              ;   in Loop: Header=BB35_2 Depth=1
	s_or_b32 exec_lo, exec_lo, s10
	v_add_nc_u32_e32 v92, 1, v90
	v_add_nc_u32_e32 v93, 1, v89
	s_wait_dscnt 0x0
	v_cmp_lt_i32_e64 s10, v91, v88
	v_cndmask_b32_e64 v86, v86, v87, s8
	s_wait_loadcnt 0x0
	v_cndmask_b32_e64 v92, v92, v90, s9
	v_cndmask_b32_e64 v90, v90, v89, s9
	;; [unrolled: 1-line block ×3, first 2 shown]
	s_barrier_signal -1
	s_barrier_wait -1
	v_cmp_ge_i32_e64 s11, v92, v21
	global_inv scope:SCOPE_SE
	v_cmp_lt_i32_e64 s12, v89, v22
	ds_store_2addr_b32 v1, v79, v80 offset1:1
	ds_store_b32 v1, v81 offset:8
	v_lshlrev_b32_e32 v79, 2, v86
	s_or_b32 s10, s11, s10
	v_lshlrev_b32_e32 v80, 2, v90
	s_wait_alu 0xfffe
	s_and_b32 s10, s12, s10
	s_wait_loadcnt_dscnt 0x0
	s_wait_alu 0xfffe
	v_cndmask_b32_e64 v87, v88, v91, s10
	v_cndmask_b32_e64 v88, v92, v89, s10
	s_barrier_signal -1
	s_barrier_wait -1
	global_inv scope:SCOPE_SE
	v_cndmask_b32_e64 v84, v84, v85, s9
	v_lshlrev_b32_e32 v81, 2, v88
	v_cndmask_b32_e64 v82, v82, v83, s8
	ds_load_b32 v79, v79
	ds_load_b32 v80, v80
	;; [unrolled: 1-line block ×3, first 2 shown]
	s_wait_loadcnt_dscnt 0x0
	s_barrier_signal -1
	s_barrier_wait -1
	global_inv scope:SCOPE_SE
	ds_store_2addr_b32 v1, v82, v84 offset1:1
	ds_store_b32 v1, v87 offset:8
	v_mov_b32_e32 v84, v73
	s_wait_loadcnt_dscnt 0x0
	s_barrier_signal -1
	s_barrier_wait -1
	global_inv scope:SCOPE_SE
	s_and_saveexec_b32 s9, s3
	s_cbranch_execz .LBB35_42
; %bb.39:                               ;   in Loop: Header=BB35_2 Depth=1
	v_mov_b32_e32 v84, v73
	v_mov_b32_e32 v82, v65
	s_mov_b32 s10, 0
.LBB35_40:                              ;   Parent Loop BB35_2 Depth=1
                                        ; =>  This Inner Loop Header: Depth=2
	s_delay_alu instid0(VALU_DEP_1) | instskip(NEXT) | instid1(VALU_DEP_1)
	v_sub_nc_u32_e32 v83, v82, v84
	v_lshrrev_b32_e32 v83, 1, v83
	s_delay_alu instid0(VALU_DEP_1) | instskip(NEXT) | instid1(VALU_DEP_1)
	v_add_nc_u32_e32 v83, v83, v84
	v_not_b32_e32 v85, v83
	v_lshl_add_u32 v86, v83, 2, v26
	v_add_nc_u32_e32 v87, 1, v83
	s_delay_alu instid0(VALU_DEP_3)
	v_lshl_add_u32 v85, v85, 2, v42
	ds_load_b32 v86, v86
	ds_load_b32 v85, v85 offset:96
	s_wait_dscnt 0x0
	v_cmp_lt_i32_e64 s8, v85, v86
	s_wait_alu 0xf1ff
	s_delay_alu instid0(VALU_DEP_1) | instskip(SKIP_1) | instid1(VALU_DEP_1)
	v_cndmask_b32_e64 v82, v82, v83, s8
	v_cndmask_b32_e64 v84, v87, v84, s8
	v_cmp_ge_i32_e64 s8, v84, v82
	s_wait_alu 0xfffe
	s_or_b32 s10, s8, s10
	s_wait_alu 0xfffe
	s_and_not1_b32 exec_lo, exec_lo, s10
	s_cbranch_execnz .LBB35_40
; %bb.41:                               ;   in Loop: Header=BB35_2 Depth=1
	s_or_b32 exec_lo, exec_lo, s10
.LBB35_42:                              ;   in Loop: Header=BB35_2 Depth=1
	s_wait_alu 0xfffe
	s_or_b32 exec_lo, exec_lo, s9
	v_sub_nc_u32_e32 v82, v50, v84
	v_lshl_add_u32 v85, v84, 2, v26
	v_add_nc_u32_e32 v86, v84, v10
	v_sub_nc_u32_e32 v87, v57, v84
                                        ; implicit-def: $vgpr84
	s_delay_alu instid0(VALU_DEP_4)
	v_lshlrev_b32_e32 v88, 2, v82
	ds_load_b32 v82, v85
	ds_load_b32 v83, v88 offset:96
	v_cmp_le_i32_e64 s8, v24, v86
	v_cmp_gt_i32_e64 s10, v25, v87
	s_wait_dscnt 0x0
	v_cmp_lt_i32_e64 s9, v83, v82
	s_or_b32 s8, s8, s9
	s_wait_alu 0xfffe
	s_and_b32 s8, s10, s8
	s_wait_alu 0xfffe
	s_xor_b32 s9, s8, -1
	s_wait_alu 0xfffe
	s_and_saveexec_b32 s10, s9
	s_wait_alu 0xfffe
	s_xor_b32 s9, exec_lo, s10
; %bb.43:                               ;   in Loop: Header=BB35_2 Depth=1
	ds_load_b32 v84, v85 offset:4
                                        ; implicit-def: $vgpr88
; %bb.44:                               ;   in Loop: Header=BB35_2 Depth=1
	s_wait_alu 0xfffe
	s_or_saveexec_b32 s9, s9
	v_mov_b32_e32 v85, v83
	s_wait_alu 0xfffe
	s_xor_b32 exec_lo, exec_lo, s9
	s_cbranch_execz .LBB35_46
; %bb.45:                               ;   in Loop: Header=BB35_2 Depth=1
	ds_load_b32 v85, v88 offset:100
	s_wait_dscnt 0x1
	v_mov_b32_e32 v84, v82
.LBB35_46:                              ;   in Loop: Header=BB35_2 Depth=1
	s_or_b32 exec_lo, exec_lo, s9
	v_add_nc_u32_e32 v88, 1, v86
	v_add_nc_u32_e32 v89, 1, v87
	s_wait_dscnt 0x0
	v_cmp_lt_i32_e64 s10, v85, v84
	s_delay_alu instid0(VALU_DEP_3) | instskip(NEXT) | instid1(VALU_DEP_3)
	v_cndmask_b32_e64 v90, v88, v86, s8
	v_cndmask_b32_e64 v89, v87, v89, s8
                                        ; implicit-def: $vgpr88
	s_delay_alu instid0(VALU_DEP_2) | instskip(NEXT) | instid1(VALU_DEP_2)
	v_cmp_ge_i32_e64 s9, v90, v24
	v_cmp_lt_i32_e64 s11, v89, v25
	s_or_b32 s9, s9, s10
	s_wait_alu 0xfffe
	s_and_b32 s9, s11, s9
	s_wait_alu 0xfffe
	s_xor_b32 s10, s9, -1
	s_wait_alu 0xfffe
	s_and_saveexec_b32 s11, s10
	s_wait_alu 0xfffe
	s_xor_b32 s10, exec_lo, s11
; %bb.47:                               ;   in Loop: Header=BB35_2 Depth=1
	v_lshlrev_b32_e32 v88, 2, v90
	ds_load_b32 v88, v88 offset:4
; %bb.48:                               ;   in Loop: Header=BB35_2 Depth=1
	s_wait_alu 0xfffe
	s_or_saveexec_b32 s10, s10
	v_mov_b32_e32 v91, v85
	s_wait_alu 0xfffe
	s_xor_b32 exec_lo, exec_lo, s10
	s_cbranch_execz .LBB35_50
; %bb.49:                               ;   in Loop: Header=BB35_2 Depth=1
	s_wait_dscnt 0x0
	v_lshlrev_b32_e32 v88, 2, v89
	ds_load_b32 v91, v88 offset:4
	v_mov_b32_e32 v88, v84
.LBB35_50:                              ;   in Loop: Header=BB35_2 Depth=1
	s_or_b32 exec_lo, exec_lo, s10
	v_add_nc_u32_e32 v92, 1, v90
	v_add_nc_u32_e32 v93, 1, v89
	s_wait_dscnt 0x0
	v_cmp_lt_i32_e64 s10, v91, v88
	v_cndmask_b32_e64 v86, v86, v87, s8
	s_wait_loadcnt 0x0
	v_cndmask_b32_e64 v92, v92, v90, s9
	v_cndmask_b32_e64 v90, v90, v89, s9
	;; [unrolled: 1-line block ×3, first 2 shown]
	s_barrier_signal -1
	s_barrier_wait -1
	v_cmp_ge_i32_e64 s11, v92, v24
	global_inv scope:SCOPE_SE
	v_cmp_lt_i32_e64 s12, v89, v25
	ds_store_2addr_b32 v1, v79, v80 offset1:1
	ds_store_b32 v1, v81 offset:8
	v_lshlrev_b32_e32 v79, 2, v86
	s_or_b32 s10, s11, s10
	v_lshlrev_b32_e32 v80, 2, v90
	s_wait_alu 0xfffe
	s_and_b32 s10, s12, s10
	s_wait_loadcnt_dscnt 0x0
	s_wait_alu 0xfffe
	v_cndmask_b32_e64 v87, v88, v91, s10
	v_cndmask_b32_e64 v88, v92, v89, s10
	s_barrier_signal -1
	s_barrier_wait -1
	global_inv scope:SCOPE_SE
	v_cndmask_b32_e64 v84, v84, v85, s9
	v_lshlrev_b32_e32 v81, 2, v88
	v_cndmask_b32_e64 v82, v82, v83, s8
	ds_load_b32 v79, v79
	ds_load_b32 v80, v80
	;; [unrolled: 1-line block ×3, first 2 shown]
	s_wait_loadcnt_dscnt 0x0
	s_barrier_signal -1
	s_barrier_wait -1
	global_inv scope:SCOPE_SE
	ds_store_2addr_b32 v1, v82, v84 offset1:1
	ds_store_b32 v1, v87 offset:8
	v_mov_b32_e32 v84, v74
	s_wait_loadcnt_dscnt 0x0
	s_barrier_signal -1
	s_barrier_wait -1
	global_inv scope:SCOPE_SE
	s_and_saveexec_b32 s9, s4
	s_cbranch_execz .LBB35_54
; %bb.51:                               ;   in Loop: Header=BB35_2 Depth=1
	v_mov_b32_e32 v84, v74
	v_mov_b32_e32 v82, v66
	s_mov_b32 s10, 0
.LBB35_52:                              ;   Parent Loop BB35_2 Depth=1
                                        ; =>  This Inner Loop Header: Depth=2
	s_delay_alu instid0(VALU_DEP_1) | instskip(NEXT) | instid1(VALU_DEP_1)
	v_sub_nc_u32_e32 v83, v82, v84
	v_lshrrev_b32_e32 v83, 1, v83
	s_delay_alu instid0(VALU_DEP_1) | instskip(NEXT) | instid1(VALU_DEP_1)
	v_add_nc_u32_e32 v83, v83, v84
	v_not_b32_e32 v85, v83
	v_lshl_add_u32 v86, v83, 2, v29
	v_add_nc_u32_e32 v87, 1, v83
	s_delay_alu instid0(VALU_DEP_3)
	v_lshl_add_u32 v85, v85, 2, v43
	ds_load_b32 v86, v86
	ds_load_b32 v85, v85 offset:192
	s_wait_dscnt 0x0
	v_cmp_lt_i32_e64 s8, v85, v86
	s_wait_alu 0xf1ff
	s_delay_alu instid0(VALU_DEP_1) | instskip(SKIP_1) | instid1(VALU_DEP_1)
	v_cndmask_b32_e64 v82, v82, v83, s8
	v_cndmask_b32_e64 v84, v87, v84, s8
	v_cmp_ge_i32_e64 s8, v84, v82
	s_wait_alu 0xfffe
	s_or_b32 s10, s8, s10
	s_wait_alu 0xfffe
	s_and_not1_b32 exec_lo, exec_lo, s10
	s_cbranch_execnz .LBB35_52
; %bb.53:                               ;   in Loop: Header=BB35_2 Depth=1
	s_or_b32 exec_lo, exec_lo, s10
.LBB35_54:                              ;   in Loop: Header=BB35_2 Depth=1
	s_wait_alu 0xfffe
	s_or_b32 exec_lo, exec_lo, s9
	v_sub_nc_u32_e32 v82, v51, v84
	v_lshl_add_u32 v85, v84, 2, v29
	v_add_nc_u32_e32 v86, v84, v11
	v_sub_nc_u32_e32 v87, v58, v84
                                        ; implicit-def: $vgpr84
	s_delay_alu instid0(VALU_DEP_4)
	v_lshlrev_b32_e32 v88, 2, v82
	ds_load_b32 v82, v85
	ds_load_b32 v83, v88 offset:192
	v_cmp_le_i32_e64 s8, v27, v86
	v_cmp_gt_i32_e64 s10, v28, v87
	s_wait_dscnt 0x0
	v_cmp_lt_i32_e64 s9, v83, v82
	s_or_b32 s8, s8, s9
	s_wait_alu 0xfffe
	s_and_b32 s8, s10, s8
	s_wait_alu 0xfffe
	s_xor_b32 s9, s8, -1
	s_wait_alu 0xfffe
	s_and_saveexec_b32 s10, s9
	s_wait_alu 0xfffe
	s_xor_b32 s9, exec_lo, s10
; %bb.55:                               ;   in Loop: Header=BB35_2 Depth=1
	ds_load_b32 v84, v85 offset:4
                                        ; implicit-def: $vgpr88
; %bb.56:                               ;   in Loop: Header=BB35_2 Depth=1
	s_wait_alu 0xfffe
	s_or_saveexec_b32 s9, s9
	v_mov_b32_e32 v85, v83
	s_wait_alu 0xfffe
	s_xor_b32 exec_lo, exec_lo, s9
	s_cbranch_execz .LBB35_58
; %bb.57:                               ;   in Loop: Header=BB35_2 Depth=1
	ds_load_b32 v85, v88 offset:196
	s_wait_dscnt 0x1
	v_mov_b32_e32 v84, v82
.LBB35_58:                              ;   in Loop: Header=BB35_2 Depth=1
	s_or_b32 exec_lo, exec_lo, s9
	v_add_nc_u32_e32 v88, 1, v86
	v_add_nc_u32_e32 v89, 1, v87
	s_wait_dscnt 0x0
	v_cmp_lt_i32_e64 s10, v85, v84
	s_delay_alu instid0(VALU_DEP_3) | instskip(NEXT) | instid1(VALU_DEP_3)
	v_cndmask_b32_e64 v90, v88, v86, s8
	v_cndmask_b32_e64 v89, v87, v89, s8
                                        ; implicit-def: $vgpr88
	s_delay_alu instid0(VALU_DEP_2) | instskip(NEXT) | instid1(VALU_DEP_2)
	v_cmp_ge_i32_e64 s9, v90, v27
	v_cmp_lt_i32_e64 s11, v89, v28
	s_or_b32 s9, s9, s10
	s_wait_alu 0xfffe
	s_and_b32 s9, s11, s9
	s_wait_alu 0xfffe
	s_xor_b32 s10, s9, -1
	s_wait_alu 0xfffe
	s_and_saveexec_b32 s11, s10
	s_wait_alu 0xfffe
	s_xor_b32 s10, exec_lo, s11
; %bb.59:                               ;   in Loop: Header=BB35_2 Depth=1
	v_lshlrev_b32_e32 v88, 2, v90
	ds_load_b32 v88, v88 offset:4
; %bb.60:                               ;   in Loop: Header=BB35_2 Depth=1
	s_wait_alu 0xfffe
	s_or_saveexec_b32 s10, s10
	v_mov_b32_e32 v91, v85
	s_wait_alu 0xfffe
	s_xor_b32 exec_lo, exec_lo, s10
	s_cbranch_execz .LBB35_62
; %bb.61:                               ;   in Loop: Header=BB35_2 Depth=1
	s_wait_dscnt 0x0
	v_lshlrev_b32_e32 v88, 2, v89
	ds_load_b32 v91, v88 offset:4
	v_mov_b32_e32 v88, v84
.LBB35_62:                              ;   in Loop: Header=BB35_2 Depth=1
	s_or_b32 exec_lo, exec_lo, s10
	v_add_nc_u32_e32 v92, 1, v90
	v_add_nc_u32_e32 v93, 1, v89
	s_wait_dscnt 0x0
	v_cmp_lt_i32_e64 s10, v91, v88
	v_cndmask_b32_e64 v86, v86, v87, s8
	s_wait_loadcnt 0x0
	v_cndmask_b32_e64 v92, v92, v90, s9
	v_cndmask_b32_e64 v90, v90, v89, s9
	;; [unrolled: 1-line block ×3, first 2 shown]
	s_barrier_signal -1
	s_barrier_wait -1
	v_cmp_ge_i32_e64 s11, v92, v27
	global_inv scope:SCOPE_SE
	v_cmp_lt_i32_e64 s12, v89, v28
	ds_store_2addr_b32 v1, v79, v80 offset1:1
	ds_store_b32 v1, v81 offset:8
	v_lshlrev_b32_e32 v79, 2, v86
	s_or_b32 s10, s11, s10
	v_lshlrev_b32_e32 v80, 2, v90
	s_wait_alu 0xfffe
	s_and_b32 s10, s12, s10
	s_wait_loadcnt_dscnt 0x0
	s_wait_alu 0xfffe
	v_cndmask_b32_e64 v87, v88, v91, s10
	v_cndmask_b32_e64 v88, v92, v89, s10
	s_barrier_signal -1
	s_barrier_wait -1
	global_inv scope:SCOPE_SE
	v_cndmask_b32_e64 v84, v84, v85, s9
	v_lshlrev_b32_e32 v81, 2, v88
	v_cndmask_b32_e64 v82, v82, v83, s8
	ds_load_b32 v79, v79
	ds_load_b32 v80, v80
	;; [unrolled: 1-line block ×3, first 2 shown]
	s_wait_loadcnt_dscnt 0x0
	s_barrier_signal -1
	s_barrier_wait -1
	global_inv scope:SCOPE_SE
	ds_store_2addr_b32 v1, v82, v84 offset1:1
	ds_store_b32 v1, v87 offset:8
	v_mov_b32_e32 v84, v75
	s_wait_loadcnt_dscnt 0x0
	s_barrier_signal -1
	s_barrier_wait -1
	global_inv scope:SCOPE_SE
	s_and_saveexec_b32 s9, s5
	s_cbranch_execz .LBB35_66
; %bb.63:                               ;   in Loop: Header=BB35_2 Depth=1
	v_mov_b32_e32 v84, v75
	v_mov_b32_e32 v82, v67
	s_mov_b32 s10, 0
.LBB35_64:                              ;   Parent Loop BB35_2 Depth=1
                                        ; =>  This Inner Loop Header: Depth=2
	s_delay_alu instid0(VALU_DEP_1) | instskip(NEXT) | instid1(VALU_DEP_1)
	v_sub_nc_u32_e32 v83, v82, v84
	v_lshrrev_b32_e32 v83, 1, v83
	s_delay_alu instid0(VALU_DEP_1) | instskip(NEXT) | instid1(VALU_DEP_1)
	v_add_nc_u32_e32 v83, v83, v84
	v_not_b32_e32 v85, v83
	v_lshl_add_u32 v86, v83, 2, v32
	v_add_nc_u32_e32 v87, 1, v83
	s_delay_alu instid0(VALU_DEP_3)
	v_lshl_add_u32 v85, v85, 2, v44
	ds_load_b32 v86, v86
	ds_load_b32 v85, v85 offset:384
	s_wait_dscnt 0x0
	v_cmp_lt_i32_e64 s8, v85, v86
	s_wait_alu 0xf1ff
	s_delay_alu instid0(VALU_DEP_1) | instskip(SKIP_1) | instid1(VALU_DEP_1)
	v_cndmask_b32_e64 v82, v82, v83, s8
	v_cndmask_b32_e64 v84, v87, v84, s8
	v_cmp_ge_i32_e64 s8, v84, v82
	s_wait_alu 0xfffe
	s_or_b32 s10, s8, s10
	s_wait_alu 0xfffe
	s_and_not1_b32 exec_lo, exec_lo, s10
	s_cbranch_execnz .LBB35_64
; %bb.65:                               ;   in Loop: Header=BB35_2 Depth=1
	s_or_b32 exec_lo, exec_lo, s10
.LBB35_66:                              ;   in Loop: Header=BB35_2 Depth=1
	s_wait_alu 0xfffe
	s_or_b32 exec_lo, exec_lo, s9
	v_sub_nc_u32_e32 v82, v52, v84
	v_lshl_add_u32 v85, v84, 2, v32
	v_add_nc_u32_e32 v86, v84, v12
	v_sub_nc_u32_e32 v87, v59, v84
                                        ; implicit-def: $vgpr84
	s_delay_alu instid0(VALU_DEP_4)
	v_lshlrev_b32_e32 v88, 2, v82
	ds_load_b32 v82, v85
	ds_load_b32 v83, v88 offset:384
	v_cmp_le_i32_e64 s8, v30, v86
	v_cmp_gt_i32_e64 s10, v31, v87
	s_wait_dscnt 0x0
	v_cmp_lt_i32_e64 s9, v83, v82
	s_or_b32 s8, s8, s9
	s_wait_alu 0xfffe
	s_and_b32 s8, s10, s8
	s_wait_alu 0xfffe
	s_xor_b32 s9, s8, -1
	s_wait_alu 0xfffe
	s_and_saveexec_b32 s10, s9
	s_wait_alu 0xfffe
	s_xor_b32 s9, exec_lo, s10
; %bb.67:                               ;   in Loop: Header=BB35_2 Depth=1
	ds_load_b32 v84, v85 offset:4
                                        ; implicit-def: $vgpr88
; %bb.68:                               ;   in Loop: Header=BB35_2 Depth=1
	s_wait_alu 0xfffe
	s_or_saveexec_b32 s9, s9
	v_mov_b32_e32 v85, v83
	s_wait_alu 0xfffe
	s_xor_b32 exec_lo, exec_lo, s9
	s_cbranch_execz .LBB35_70
; %bb.69:                               ;   in Loop: Header=BB35_2 Depth=1
	ds_load_b32 v85, v88 offset:388
	s_wait_dscnt 0x1
	v_mov_b32_e32 v84, v82
.LBB35_70:                              ;   in Loop: Header=BB35_2 Depth=1
	s_or_b32 exec_lo, exec_lo, s9
	v_add_nc_u32_e32 v88, 1, v86
	v_add_nc_u32_e32 v89, 1, v87
	s_wait_dscnt 0x0
	v_cmp_lt_i32_e64 s10, v85, v84
	s_delay_alu instid0(VALU_DEP_3) | instskip(NEXT) | instid1(VALU_DEP_3)
	v_cndmask_b32_e64 v90, v88, v86, s8
	v_cndmask_b32_e64 v89, v87, v89, s8
                                        ; implicit-def: $vgpr88
	s_delay_alu instid0(VALU_DEP_2) | instskip(NEXT) | instid1(VALU_DEP_2)
	v_cmp_ge_i32_e64 s9, v90, v30
	v_cmp_lt_i32_e64 s11, v89, v31
	s_or_b32 s9, s9, s10
	s_wait_alu 0xfffe
	s_and_b32 s9, s11, s9
	s_wait_alu 0xfffe
	s_xor_b32 s10, s9, -1
	s_wait_alu 0xfffe
	s_and_saveexec_b32 s11, s10
	s_wait_alu 0xfffe
	s_xor_b32 s10, exec_lo, s11
; %bb.71:                               ;   in Loop: Header=BB35_2 Depth=1
	v_lshlrev_b32_e32 v88, 2, v90
	ds_load_b32 v88, v88 offset:4
; %bb.72:                               ;   in Loop: Header=BB35_2 Depth=1
	s_wait_alu 0xfffe
	s_or_saveexec_b32 s10, s10
	v_mov_b32_e32 v91, v85
	s_wait_alu 0xfffe
	s_xor_b32 exec_lo, exec_lo, s10
	s_cbranch_execz .LBB35_74
; %bb.73:                               ;   in Loop: Header=BB35_2 Depth=1
	s_wait_dscnt 0x0
	v_lshlrev_b32_e32 v88, 2, v89
	ds_load_b32 v91, v88 offset:4
	v_mov_b32_e32 v88, v84
.LBB35_74:                              ;   in Loop: Header=BB35_2 Depth=1
	s_or_b32 exec_lo, exec_lo, s10
	v_add_nc_u32_e32 v92, 1, v90
	v_add_nc_u32_e32 v93, 1, v89
	s_wait_dscnt 0x0
	v_cmp_lt_i32_e64 s10, v91, v88
	v_cndmask_b32_e64 v86, v86, v87, s8
	s_wait_loadcnt 0x0
	v_cndmask_b32_e64 v92, v92, v90, s9
	v_cndmask_b32_e64 v90, v90, v89, s9
	;; [unrolled: 1-line block ×3, first 2 shown]
	s_barrier_signal -1
	s_barrier_wait -1
	v_cmp_ge_i32_e64 s11, v92, v30
	global_inv scope:SCOPE_SE
	v_cmp_lt_i32_e64 s12, v89, v31
	ds_store_2addr_b32 v1, v79, v80 offset1:1
	ds_store_b32 v1, v81 offset:8
	v_lshlrev_b32_e32 v79, 2, v86
	s_or_b32 s10, s11, s10
	v_lshlrev_b32_e32 v80, 2, v90
	s_wait_alu 0xfffe
	s_and_b32 s10, s12, s10
	s_wait_loadcnt_dscnt 0x0
	s_wait_alu 0xfffe
	v_cndmask_b32_e64 v87, v88, v91, s10
	v_cndmask_b32_e64 v88, v92, v89, s10
	s_barrier_signal -1
	s_barrier_wait -1
	global_inv scope:SCOPE_SE
	v_cndmask_b32_e64 v84, v84, v85, s9
	v_lshlrev_b32_e32 v81, 2, v88
	v_cndmask_b32_e64 v82, v82, v83, s8
	ds_load_b32 v79, v79
	ds_load_b32 v80, v80
	;; [unrolled: 1-line block ×3, first 2 shown]
	s_wait_loadcnt_dscnt 0x0
	s_barrier_signal -1
	s_barrier_wait -1
	global_inv scope:SCOPE_SE
	ds_store_2addr_b32 v1, v82, v84 offset1:1
	ds_store_b32 v1, v87 offset:8
	v_mov_b32_e32 v84, v76
	s_wait_loadcnt_dscnt 0x0
	s_barrier_signal -1
	s_barrier_wait -1
	global_inv scope:SCOPE_SE
	s_and_saveexec_b32 s9, s6
	s_cbranch_execz .LBB35_78
; %bb.75:                               ;   in Loop: Header=BB35_2 Depth=1
	v_mov_b32_e32 v84, v76
	v_mov_b32_e32 v82, v68
	s_mov_b32 s10, 0
.LBB35_76:                              ;   Parent Loop BB35_2 Depth=1
                                        ; =>  This Inner Loop Header: Depth=2
	s_delay_alu instid0(VALU_DEP_1) | instskip(NEXT) | instid1(VALU_DEP_1)
	v_sub_nc_u32_e32 v83, v82, v84
	v_lshrrev_b32_e32 v83, 1, v83
	s_delay_alu instid0(VALU_DEP_1) | instskip(NEXT) | instid1(VALU_DEP_1)
	v_add_nc_u32_e32 v83, v83, v84
	v_not_b32_e32 v85, v83
	v_lshl_add_u32 v86, v83, 2, v35
	v_add_nc_u32_e32 v87, 1, v83
	s_delay_alu instid0(VALU_DEP_3)
	v_lshl_add_u32 v85, v85, 2, v45
	ds_load_b32 v86, v86
	ds_load_b32 v85, v85 offset:768
	s_wait_dscnt 0x0
	v_cmp_lt_i32_e64 s8, v85, v86
	s_wait_alu 0xf1ff
	s_delay_alu instid0(VALU_DEP_1) | instskip(SKIP_1) | instid1(VALU_DEP_1)
	v_cndmask_b32_e64 v82, v82, v83, s8
	v_cndmask_b32_e64 v84, v87, v84, s8
	v_cmp_ge_i32_e64 s8, v84, v82
	s_wait_alu 0xfffe
	s_or_b32 s10, s8, s10
	s_wait_alu 0xfffe
	s_and_not1_b32 exec_lo, exec_lo, s10
	s_cbranch_execnz .LBB35_76
; %bb.77:                               ;   in Loop: Header=BB35_2 Depth=1
	s_or_b32 exec_lo, exec_lo, s10
.LBB35_78:                              ;   in Loop: Header=BB35_2 Depth=1
	s_wait_alu 0xfffe
	s_or_b32 exec_lo, exec_lo, s9
	v_sub_nc_u32_e32 v82, v53, v84
	v_lshl_add_u32 v85, v84, 2, v35
	v_add_nc_u32_e32 v86, v84, v13
	v_sub_nc_u32_e32 v87, v60, v84
                                        ; implicit-def: $vgpr84
	s_delay_alu instid0(VALU_DEP_4)
	v_lshlrev_b32_e32 v88, 2, v82
	ds_load_b32 v82, v85
	ds_load_b32 v83, v88 offset:768
	v_cmp_le_i32_e64 s8, v33, v86
	v_cmp_gt_i32_e64 s10, v34, v87
	s_wait_dscnt 0x0
	v_cmp_lt_i32_e64 s9, v83, v82
	s_or_b32 s8, s8, s9
	s_wait_alu 0xfffe
	s_and_b32 s8, s10, s8
	s_wait_alu 0xfffe
	s_xor_b32 s9, s8, -1
	s_wait_alu 0xfffe
	s_and_saveexec_b32 s10, s9
	s_wait_alu 0xfffe
	s_xor_b32 s9, exec_lo, s10
; %bb.79:                               ;   in Loop: Header=BB35_2 Depth=1
	ds_load_b32 v84, v85 offset:4
                                        ; implicit-def: $vgpr88
; %bb.80:                               ;   in Loop: Header=BB35_2 Depth=1
	s_wait_alu 0xfffe
	s_or_saveexec_b32 s9, s9
	v_mov_b32_e32 v85, v83
	s_wait_alu 0xfffe
	s_xor_b32 exec_lo, exec_lo, s9
	s_cbranch_execz .LBB35_82
; %bb.81:                               ;   in Loop: Header=BB35_2 Depth=1
	ds_load_b32 v85, v88 offset:772
	s_wait_dscnt 0x1
	v_mov_b32_e32 v84, v82
.LBB35_82:                              ;   in Loop: Header=BB35_2 Depth=1
	s_or_b32 exec_lo, exec_lo, s9
	v_add_nc_u32_e32 v88, 1, v86
	v_add_nc_u32_e32 v89, 1, v87
	s_wait_dscnt 0x0
	v_cmp_lt_i32_e64 s10, v85, v84
	s_delay_alu instid0(VALU_DEP_3) | instskip(NEXT) | instid1(VALU_DEP_3)
	v_cndmask_b32_e64 v90, v88, v86, s8
	v_cndmask_b32_e64 v89, v87, v89, s8
                                        ; implicit-def: $vgpr88
	s_delay_alu instid0(VALU_DEP_2) | instskip(NEXT) | instid1(VALU_DEP_2)
	v_cmp_ge_i32_e64 s9, v90, v33
	v_cmp_lt_i32_e64 s11, v89, v34
	s_or_b32 s9, s9, s10
	s_wait_alu 0xfffe
	s_and_b32 s9, s11, s9
	s_wait_alu 0xfffe
	s_xor_b32 s10, s9, -1
	s_wait_alu 0xfffe
	s_and_saveexec_b32 s11, s10
	s_wait_alu 0xfffe
	s_xor_b32 s10, exec_lo, s11
; %bb.83:                               ;   in Loop: Header=BB35_2 Depth=1
	v_lshlrev_b32_e32 v88, 2, v90
	ds_load_b32 v88, v88 offset:4
; %bb.84:                               ;   in Loop: Header=BB35_2 Depth=1
	s_wait_alu 0xfffe
	s_or_saveexec_b32 s10, s10
	v_mov_b32_e32 v91, v85
	s_wait_alu 0xfffe
	s_xor_b32 exec_lo, exec_lo, s10
	s_cbranch_execz .LBB35_86
; %bb.85:                               ;   in Loop: Header=BB35_2 Depth=1
	s_wait_dscnt 0x0
	v_lshlrev_b32_e32 v88, 2, v89
	ds_load_b32 v91, v88 offset:4
	v_mov_b32_e32 v88, v84
.LBB35_86:                              ;   in Loop: Header=BB35_2 Depth=1
	s_or_b32 exec_lo, exec_lo, s10
	v_add_nc_u32_e32 v92, 1, v90
	v_add_nc_u32_e32 v93, 1, v89
	v_cndmask_b32_e64 v84, v84, v85, s9
	v_mov_b32_e32 v85, v77
	s_wait_dscnt 0x0
	v_cmp_lt_i32_e64 s10, v91, v88
	v_cndmask_b32_e64 v92, v92, v90, s9
	v_cndmask_b32_e64 v90, v90, v89, s9
	;; [unrolled: 1-line block ×4, first 2 shown]
	s_wait_loadcnt 0x0
	v_cmp_ge_i32_e64 s11, v92, v33
	s_barrier_signal -1
	v_cmp_lt_i32_e64 s12, v89, v34
	s_barrier_wait -1
	global_inv scope:SCOPE_SE
	s_or_b32 s10, s11, s10
	ds_store_2addr_b32 v1, v79, v80 offset1:1
	ds_store_b32 v1, v81 offset:8
	s_wait_alu 0xfffe
	s_and_b32 s10, s12, s10
	v_lshlrev_b32_e32 v79, 2, v86
	s_wait_alu 0xfffe
	v_cndmask_b32_e64 v87, v88, v91, s10
	v_cndmask_b32_e64 v88, v92, v89, s10
	v_lshlrev_b32_e32 v80, 2, v90
	s_wait_loadcnt_dscnt 0x0
	s_barrier_signal -1
	s_barrier_wait -1
	v_lshlrev_b32_e32 v81, 2, v88
	global_inv scope:SCOPE_SE
	ds_load_b32 v79, v79
	ds_load_b32 v80, v80
	;; [unrolled: 1-line block ×3, first 2 shown]
	v_cndmask_b32_e64 v82, v82, v83, s8
	s_wait_loadcnt_dscnt 0x0
	s_barrier_signal -1
	s_barrier_wait -1
	global_inv scope:SCOPE_SE
	ds_store_2addr_b32 v1, v82, v84 offset1:1
	ds_store_b32 v1, v87 offset:8
	s_wait_loadcnt_dscnt 0x0
	s_barrier_signal -1
	s_barrier_wait -1
	global_inv scope:SCOPE_SE
	s_and_saveexec_b32 s9, s7
	s_cbranch_execz .LBB35_90
; %bb.87:                               ;   in Loop: Header=BB35_2 Depth=1
	v_dual_mov_b32 v85, v77 :: v_dual_mov_b32 v82, v69
	s_mov_b32 s10, 0
.LBB35_88:                              ;   Parent Loop BB35_2 Depth=1
                                        ; =>  This Inner Loop Header: Depth=2
	s_delay_alu instid0(VALU_DEP_1) | instskip(NEXT) | instid1(VALU_DEP_1)
	v_sub_nc_u32_e32 v83, v82, v85
	v_lshrrev_b32_e32 v83, 1, v83
	s_delay_alu instid0(VALU_DEP_1) | instskip(NEXT) | instid1(VALU_DEP_1)
	v_add_nc_u32_e32 v83, v83, v85
	v_not_b32_e32 v84, v83
	v_lshl_add_u32 v86, v83, 2, v38
	v_add_nc_u32_e32 v87, 1, v83
	s_delay_alu instid0(VALU_DEP_3)
	v_lshl_add_u32 v84, v84, 2, v46
	ds_load_b32 v86, v86
	ds_load_b32 v84, v84 offset:1536
	s_wait_dscnt 0x0
	v_cmp_lt_i32_e64 s8, v84, v86
	s_wait_alu 0xf1ff
	s_delay_alu instid0(VALU_DEP_1) | instskip(SKIP_1) | instid1(VALU_DEP_1)
	v_cndmask_b32_e64 v82, v82, v83, s8
	v_cndmask_b32_e64 v85, v87, v85, s8
	v_cmp_ge_i32_e64 s8, v85, v82
	s_wait_alu 0xfffe
	s_or_b32 s10, s8, s10
	s_wait_alu 0xfffe
	s_and_not1_b32 exec_lo, exec_lo, s10
	s_cbranch_execnz .LBB35_88
; %bb.89:                               ;   in Loop: Header=BB35_2 Depth=1
	s_or_b32 exec_lo, exec_lo, s10
.LBB35_90:                              ;   in Loop: Header=BB35_2 Depth=1
	s_wait_alu 0xfffe
	s_or_b32 exec_lo, exec_lo, s9
	v_sub_nc_u32_e32 v82, v78, v85
	v_lshl_add_u32 v86, v85, 2, v38
	v_sub_nc_u32_e32 v87, v61, v85
	s_delay_alu instid0(VALU_DEP_3) | instskip(SKIP_1) | instid1(VALU_DEP_3)
	v_lshlrev_b32_e32 v88, 2, v82
	v_add_nc_u32_e32 v82, v85, v14
	v_cmp_gt_i32_e64 s10, v37, v87
                                        ; implicit-def: $vgpr85
	ds_load_b32 v83, v86
	ds_load_b32 v84, v88 offset:1536
	v_cmp_le_i32_e64 s8, v36, v82
	s_wait_dscnt 0x0
	v_cmp_lt_i32_e64 s9, v84, v83
	s_or_b32 s8, s8, s9
	s_wait_alu 0xfffe
	s_and_b32 s8, s10, s8
	s_wait_alu 0xfffe
	s_xor_b32 s9, s8, -1
	s_wait_alu 0xfffe
	s_and_saveexec_b32 s10, s9
	s_wait_alu 0xfffe
	s_xor_b32 s9, exec_lo, s10
; %bb.91:                               ;   in Loop: Header=BB35_2 Depth=1
	ds_load_b32 v85, v86 offset:4
                                        ; implicit-def: $vgpr88
; %bb.92:                               ;   in Loop: Header=BB35_2 Depth=1
	s_wait_alu 0xfffe
	s_or_saveexec_b32 s9, s9
	v_mov_b32_e32 v86, v84
	s_wait_alu 0xfffe
	s_xor_b32 exec_lo, exec_lo, s9
	s_cbranch_execz .LBB35_94
; %bb.93:                               ;   in Loop: Header=BB35_2 Depth=1
	ds_load_b32 v86, v88 offset:1540
	s_wait_dscnt 0x1
	v_mov_b32_e32 v85, v83
.LBB35_94:                              ;   in Loop: Header=BB35_2 Depth=1
	s_or_b32 exec_lo, exec_lo, s9
	v_add_nc_u32_e32 v88, 1, v82
	v_add_nc_u32_e32 v89, 1, v87
	s_wait_dscnt 0x0
	v_cmp_lt_i32_e64 s10, v86, v85
	s_delay_alu instid0(VALU_DEP_3) | instskip(NEXT) | instid1(VALU_DEP_3)
	v_cndmask_b32_e64 v90, v88, v82, s8
	v_cndmask_b32_e64 v89, v87, v89, s8
                                        ; implicit-def: $vgpr88
	s_delay_alu instid0(VALU_DEP_2) | instskip(NEXT) | instid1(VALU_DEP_2)
	v_cmp_ge_i32_e64 s9, v90, v36
	v_cmp_lt_i32_e64 s11, v89, v37
	s_or_b32 s9, s9, s10
	s_wait_alu 0xfffe
	s_and_b32 s9, s11, s9
	s_wait_alu 0xfffe
	s_xor_b32 s10, s9, -1
	s_wait_alu 0xfffe
	s_and_saveexec_b32 s11, s10
	s_wait_alu 0xfffe
	s_xor_b32 s10, exec_lo, s11
; %bb.95:                               ;   in Loop: Header=BB35_2 Depth=1
	v_lshlrev_b32_e32 v88, 2, v90
	ds_load_b32 v88, v88 offset:4
; %bb.96:                               ;   in Loop: Header=BB35_2 Depth=1
	s_wait_alu 0xfffe
	s_or_saveexec_b32 s10, s10
	v_mov_b32_e32 v91, v86
	s_wait_alu 0xfffe
	s_xor_b32 exec_lo, exec_lo, s10
	s_cbranch_execz .LBB35_98
; %bb.97:                               ;   in Loop: Header=BB35_2 Depth=1
	s_wait_dscnt 0x0
	v_lshlrev_b32_e32 v88, 2, v89
	ds_load_b32 v91, v88 offset:4
	v_mov_b32_e32 v88, v85
.LBB35_98:                              ;   in Loop: Header=BB35_2 Depth=1
	s_or_b32 exec_lo, exec_lo, s10
	v_add_nc_u32_e32 v92, 1, v90
	v_add_nc_u32_e32 v93, 1, v89
	s_wait_dscnt 0x0
	v_cmp_lt_i32_e64 s10, v91, v88
	v_cndmask_b32_e64 v82, v82, v87, s8
	s_wait_loadcnt 0x0
	v_cndmask_b32_e64 v92, v92, v90, s9
	v_cndmask_b32_e64 v90, v90, v89, s9
	;; [unrolled: 1-line block ×3, first 2 shown]
	s_barrier_signal -1
	s_barrier_wait -1
	v_cmp_ge_i32_e64 s11, v92, v36
	global_inv scope:SCOPE_SE
	v_cmp_lt_i32_e64 s12, v89, v37
	ds_store_2addr_b32 v1, v79, v80 offset1:1
	ds_store_b32 v1, v81 offset:8
	v_lshlrev_b32_e32 v79, 2, v82
	s_or_b32 s10, s11, s10
	v_lshlrev_b32_e32 v81, 2, v90
	s_wait_alu 0xfffe
	s_and_b32 s10, s12, s10
	s_wait_loadcnt_dscnt 0x0
	s_wait_alu 0xfffe
	v_cndmask_b32_e64 v87, v88, v91, s10
	v_cndmask_b32_e64 v88, v92, v89, s10
	s_barrier_signal -1
	s_barrier_wait -1
	global_inv scope:SCOPE_SE
	v_cndmask_b32_e64 v83, v83, v84, s8
	v_lshlrev_b32_e32 v82, 2, v88
	ds_load_b32 v80, v79
	ds_load_b32 v81, v81
	;; [unrolled: 1-line block ×3, first 2 shown]
	v_cndmask_b32_e64 v79, v85, v86, s9
	s_wait_loadcnt_dscnt 0x0
	s_barrier_signal -1
	s_barrier_wait -1
	global_inv scope:SCOPE_SE
	ds_store_2addr_b32 v1, v83, v79 offset1:1
	ds_store_b32 v1, v87 offset:8
	v_mov_b32_e32 v79, v4
	s_wait_loadcnt_dscnt 0x0
	s_barrier_signal -1
	s_barrier_wait -1
	global_inv scope:SCOPE_SE
	s_and_saveexec_b32 s9, vcc_lo
	s_cbranch_execz .LBB35_102
; %bb.99:                               ;   in Loop: Header=BB35_2 Depth=1
	v_mov_b32_e32 v79, v4
	v_mov_b32_e32 v83, v5
	s_mov_b32 s10, 0
.LBB35_100:                             ;   Parent Loop BB35_2 Depth=1
                                        ; =>  This Inner Loop Header: Depth=2
	s_delay_alu instid0(VALU_DEP_1) | instskip(NEXT) | instid1(VALU_DEP_1)
	v_sub_nc_u32_e32 v84, v83, v79
	v_lshrrev_b32_e32 v84, 1, v84
	s_delay_alu instid0(VALU_DEP_1) | instskip(NEXT) | instid1(VALU_DEP_1)
	v_add_nc_u32_e32 v84, v84, v79
	v_not_b32_e32 v85, v84
	v_lshlrev_b32_e32 v86, 2, v84
	v_add_nc_u32_e32 v87, 1, v84
	s_delay_alu instid0(VALU_DEP_3)
	v_lshl_add_u32 v85, v85, 2, v6
	ds_load_b32 v86, v86
	ds_load_b32 v85, v85 offset:3072
	s_wait_dscnt 0x0
	v_cmp_lt_i32_e64 s8, v85, v86
	s_wait_alu 0xf1ff
	s_delay_alu instid0(VALU_DEP_1) | instskip(SKIP_1) | instid1(VALU_DEP_1)
	v_cndmask_b32_e64 v83, v83, v84, s8
	v_cndmask_b32_e64 v79, v87, v79, s8
	v_cmp_ge_i32_e64 s8, v79, v83
	s_wait_alu 0xfffe
	s_or_b32 s10, s8, s10
	s_wait_alu 0xfffe
	s_and_not1_b32 exec_lo, exec_lo, s10
	s_cbranch_execnz .LBB35_100
; %bb.101:                              ;   in Loop: Header=BB35_2 Depth=1
	s_or_b32 exec_lo, exec_lo, s10
.LBB35_102:                             ;   in Loop: Header=BB35_2 Depth=1
	s_wait_alu 0xfffe
	s_or_b32 exec_lo, exec_lo, s9
	v_sub_nc_u32_e32 v83, v2, v79
	v_lshlrev_b32_e32 v88, 2, v79
	v_cmp_le_i32_e64 s8, 0x300, v79
                                        ; implicit-def: $vgpr87
	s_delay_alu instid0(VALU_DEP_3)
	v_lshlrev_b32_e32 v84, 2, v83
	v_sub_nc_u32_e32 v83, v3, v79
	ds_load_b32 v85, v88
	ds_load_b32 v86, v84 offset:3072
	v_cmp_gt_i32_e64 s10, 0x600, v83
	s_wait_dscnt 0x0
	v_cmp_lt_i32_e64 s9, v86, v85
	s_or_b32 s8, s8, s9
	s_wait_alu 0xfffe
	s_and_b32 s8, s10, s8
	s_wait_alu 0xfffe
	s_xor_b32 s9, s8, -1
	s_wait_alu 0xfffe
	s_and_saveexec_b32 s10, s9
	s_wait_alu 0xfffe
	s_xor_b32 s9, exec_lo, s10
; %bb.103:                              ;   in Loop: Header=BB35_2 Depth=1
	ds_load_b32 v87, v88 offset:4
                                        ; implicit-def: $vgpr84
; %bb.104:                              ;   in Loop: Header=BB35_2 Depth=1
	s_wait_alu 0xfffe
	s_or_saveexec_b32 s9, s9
	v_mov_b32_e32 v88, v86
	s_wait_alu 0xfffe
	s_xor_b32 exec_lo, exec_lo, s9
	s_cbranch_execz .LBB35_106
; %bb.105:                              ;   in Loop: Header=BB35_2 Depth=1
	ds_load_b32 v88, v84 offset:3076
	s_wait_dscnt 0x1
	v_mov_b32_e32 v87, v85
.LBB35_106:                             ;   in Loop: Header=BB35_2 Depth=1
	s_or_b32 exec_lo, exec_lo, s9
	v_add_nc_u32_e32 v84, 1, v79
	v_add_nc_u32_e32 v89, 1, v83
	s_wait_dscnt 0x0
	v_cmp_lt_i32_e64 s10, v88, v87
                                        ; implicit-def: $vgpr90
	s_delay_alu instid0(VALU_DEP_3) | instskip(NEXT) | instid1(VALU_DEP_3)
	v_cndmask_b32_e64 v92, v84, v79, s8
	v_cndmask_b32_e64 v84, v83, v89, s8
                                        ; implicit-def: $vgpr89
	s_delay_alu instid0(VALU_DEP_2) | instskip(NEXT) | instid1(VALU_DEP_2)
	v_cmp_le_i32_e64 s9, 0x300, v92
	v_cmp_gt_i32_e64 s11, 0x600, v84
	s_or_b32 s9, s9, s10
	s_wait_alu 0xfffe
	s_and_b32 s9, s11, s9
	s_wait_alu 0xfffe
	s_xor_b32 s10, s9, -1
	s_wait_alu 0xfffe
	s_and_saveexec_b32 s11, s10
	s_wait_alu 0xfffe
	s_xor_b32 s10, exec_lo, s11
; %bb.107:                              ;   in Loop: Header=BB35_2 Depth=1
	v_lshlrev_b32_e32 v89, 2, v92
	ds_load_b32 v90, v89 offset:4
	v_add_nc_u32_e32 v89, 1, v92
; %bb.108:                              ;   in Loop: Header=BB35_2 Depth=1
	s_wait_alu 0xfffe
	s_or_saveexec_b32 s10, s10
	v_mov_b32_e32 v91, v92
	v_mov_b32_e32 v93, v88
	s_wait_alu 0xfffe
	s_xor_b32 exec_lo, exec_lo, s10
	s_cbranch_execz .LBB35_1
; %bb.109:                              ;   in Loop: Header=BB35_2 Depth=1
	s_wait_dscnt 0x0
	v_dual_mov_b32 v91, v84 :: v_dual_add_nc_u32 v90, 1, v84
	s_delay_alu instid0(VALU_DEP_1)
	v_dual_mov_b32 v84, v90 :: v_dual_lshlrev_b32 v89, 2, v84
	v_mov_b32_e32 v90, v87
	ds_load_b32 v93, v89 offset:4
	v_mov_b32_e32 v89, v92
	s_branch .LBB35_1
.LBB35_110:
	s_wait_dscnt 0x2
	v_add_nc_u32_e32 v1, v81, v84
	v_lshlrev_b32_e32 v0, 2, v0
	s_wait_dscnt 0x1
	v_add_nc_u32_e32 v2, v80, v83
	s_wait_dscnt 0x0
	v_add_nc_u32_e32 v3, v79, v82
	s_add_nc_u64 s[0:1], s[18:19], s[20:21]
	s_clause 0x2
	global_store_b32 v0, v1, s[0:1]
	global_store_b32 v0, v2, s[0:1] offset:2048
	global_store_b32 v0, v3, s[0:1] offset:4096
	s_endpgm
	.section	.rodata,"a",@progbits
	.p2align	6, 0x0
	.amdhsa_kernel _Z17sort_pairs_kernelIiLj512ELj3EN10test_utils4lessELj10EEvPKT_PS2_T2_
		.amdhsa_group_segment_fixed_size 6148
		.amdhsa_private_segment_fixed_size 0
		.amdhsa_kernarg_size 20
		.amdhsa_user_sgpr_count 2
		.amdhsa_user_sgpr_dispatch_ptr 0
		.amdhsa_user_sgpr_queue_ptr 0
		.amdhsa_user_sgpr_kernarg_segment_ptr 1
		.amdhsa_user_sgpr_dispatch_id 0
		.amdhsa_user_sgpr_private_segment_size 0
		.amdhsa_wavefront_size32 1
		.amdhsa_uses_dynamic_stack 0
		.amdhsa_enable_private_segment 0
		.amdhsa_system_sgpr_workgroup_id_x 1
		.amdhsa_system_sgpr_workgroup_id_y 0
		.amdhsa_system_sgpr_workgroup_id_z 0
		.amdhsa_system_sgpr_workgroup_info 0
		.amdhsa_system_vgpr_workitem_id 0
		.amdhsa_next_free_vgpr 96
		.amdhsa_next_free_sgpr 22
		.amdhsa_reserve_vcc 1
		.amdhsa_float_round_mode_32 0
		.amdhsa_float_round_mode_16_64 0
		.amdhsa_float_denorm_mode_32 3
		.amdhsa_float_denorm_mode_16_64 3
		.amdhsa_fp16_overflow 0
		.amdhsa_workgroup_processor_mode 1
		.amdhsa_memory_ordered 1
		.amdhsa_forward_progress 1
		.amdhsa_inst_pref_size 65
		.amdhsa_round_robin_scheduling 0
		.amdhsa_exception_fp_ieee_invalid_op 0
		.amdhsa_exception_fp_denorm_src 0
		.amdhsa_exception_fp_ieee_div_zero 0
		.amdhsa_exception_fp_ieee_overflow 0
		.amdhsa_exception_fp_ieee_underflow 0
		.amdhsa_exception_fp_ieee_inexact 0
		.amdhsa_exception_int_div_zero 0
	.end_amdhsa_kernel
	.section	.text._Z17sort_pairs_kernelIiLj512ELj3EN10test_utils4lessELj10EEvPKT_PS2_T2_,"axG",@progbits,_Z17sort_pairs_kernelIiLj512ELj3EN10test_utils4lessELj10EEvPKT_PS2_T2_,comdat
.Lfunc_end35:
	.size	_Z17sort_pairs_kernelIiLj512ELj3EN10test_utils4lessELj10EEvPKT_PS2_T2_, .Lfunc_end35-_Z17sort_pairs_kernelIiLj512ELj3EN10test_utils4lessELj10EEvPKT_PS2_T2_
                                        ; -- End function
	.set _Z17sort_pairs_kernelIiLj512ELj3EN10test_utils4lessELj10EEvPKT_PS2_T2_.num_vgpr, 96
	.set _Z17sort_pairs_kernelIiLj512ELj3EN10test_utils4lessELj10EEvPKT_PS2_T2_.num_agpr, 0
	.set _Z17sort_pairs_kernelIiLj512ELj3EN10test_utils4lessELj10EEvPKT_PS2_T2_.numbered_sgpr, 22
	.set _Z17sort_pairs_kernelIiLj512ELj3EN10test_utils4lessELj10EEvPKT_PS2_T2_.num_named_barrier, 0
	.set _Z17sort_pairs_kernelIiLj512ELj3EN10test_utils4lessELj10EEvPKT_PS2_T2_.private_seg_size, 0
	.set _Z17sort_pairs_kernelIiLj512ELj3EN10test_utils4lessELj10EEvPKT_PS2_T2_.uses_vcc, 1
	.set _Z17sort_pairs_kernelIiLj512ELj3EN10test_utils4lessELj10EEvPKT_PS2_T2_.uses_flat_scratch, 0
	.set _Z17sort_pairs_kernelIiLj512ELj3EN10test_utils4lessELj10EEvPKT_PS2_T2_.has_dyn_sized_stack, 0
	.set _Z17sort_pairs_kernelIiLj512ELj3EN10test_utils4lessELj10EEvPKT_PS2_T2_.has_recursion, 0
	.set _Z17sort_pairs_kernelIiLj512ELj3EN10test_utils4lessELj10EEvPKT_PS2_T2_.has_indirect_call, 0
	.section	.AMDGPU.csdata,"",@progbits
; Kernel info:
; codeLenInByte = 8288
; TotalNumSgprs: 24
; NumVgprs: 96
; ScratchSize: 0
; MemoryBound: 0
; FloatMode: 240
; IeeeMode: 1
; LDSByteSize: 6148 bytes/workgroup (compile time only)
; SGPRBlocks: 0
; VGPRBlocks: 11
; NumSGPRsForWavesPerEU: 24
; NumVGPRsForWavesPerEU: 96
; Occupancy: 16
; WaveLimiterHint : 1
; COMPUTE_PGM_RSRC2:SCRATCH_EN: 0
; COMPUTE_PGM_RSRC2:USER_SGPR: 2
; COMPUTE_PGM_RSRC2:TRAP_HANDLER: 0
; COMPUTE_PGM_RSRC2:TGID_X_EN: 1
; COMPUTE_PGM_RSRC2:TGID_Y_EN: 0
; COMPUTE_PGM_RSRC2:TGID_Z_EN: 0
; COMPUTE_PGM_RSRC2:TIDIG_COMP_CNT: 0
	.section	.text._Z16sort_keys_kernelIiLj512ELj4EN10test_utils4lessELj10EEvPKT_PS2_T2_,"axG",@progbits,_Z16sort_keys_kernelIiLj512ELj4EN10test_utils4lessELj10EEvPKT_PS2_T2_,comdat
	.protected	_Z16sort_keys_kernelIiLj512ELj4EN10test_utils4lessELj10EEvPKT_PS2_T2_ ; -- Begin function _Z16sort_keys_kernelIiLj512ELj4EN10test_utils4lessELj10EEvPKT_PS2_T2_
	.globl	_Z16sort_keys_kernelIiLj512ELj4EN10test_utils4lessELj10EEvPKT_PS2_T2_
	.p2align	8
	.type	_Z16sort_keys_kernelIiLj512ELj4EN10test_utils4lessELj10EEvPKT_PS2_T2_,@function
_Z16sort_keys_kernelIiLj512ELj4EN10test_utils4lessELj10EEvPKT_PS2_T2_: ; @_Z16sort_keys_kernelIiLj512ELj4EN10test_utils4lessELj10EEvPKT_PS2_T2_
; %bb.0:
	s_load_b128 s[12:15], s[0:1], 0x0
	s_lshl_b32 s16, ttmp9, 11
	s_mov_b32 s17, 0
	v_lshlrev_b32_e32 v60, 2, v0
	s_lshl_b64 s[18:19], s[16:17], 2
	s_delay_alu instid0(VALU_DEP_1)
	v_and_b32_e32 v31, 0x700, v60
	v_and_b32_e32 v66, 0xfc, v60
	;; [unrolled: 1-line block ×5, first 2 shown]
	v_or_b32_e32 v33, 0x80, v31
	v_add_nc_u32_e32 v34, 0x100, v31
	v_and_b32_e32 v10, 0x7e0, v60
	v_and_b32_e32 v17, 0x7c0, v60
	;; [unrolled: 1-line block ×4, first 2 shown]
	v_sub_nc_u32_e32 v43, v34, v33
	s_wait_kmcnt 0x0
	s_add_nc_u64 s[0:1], s[12:13], s[18:19]
	v_add_nc_u32_e32 v45, 0x200, v40
	s_clause 0x3
	global_load_b32 v70, v60, s[0:1]
	global_load_b32 v71, v60, s[0:1] offset:2048
	global_load_b32 v72, v60, s[0:1] offset:4096
	;; [unrolled: 1-line block ×3, first 2 shown]
	v_or_b32_e32 v2, 4, v1
	v_sub_nc_u32_e32 v44, v66, v43
	v_cmp_ge_i32_e64 s4, v66, v43
	v_add_nc_u32_e32 v3, 8, v1
	v_or_b32_e32 v5, 8, v4
	v_add_nc_u32_e32 v6, 16, v4
	v_or_b32_e32 v12, 16, v10
	v_cndmask_b32_e64 v43, 0, v44, s4
	v_or_b32_e32 v44, 0x100, v40
	v_add_nc_u32_e32 v13, 32, v10
	v_or_b32_e32 v19, 32, v17
	v_add_nc_u32_e32 v20, 64, v17
	v_or_b32_e32 v26, 64, v24
	v_add_nc_u32_e32 v27, 0x80, v24
	v_or_b32_e32 v47, 0x200, v42
	v_add_nc_u32_e32 v48, 0x400, v42
	v_and_b32_e32 v67, 0x1fc, v60
	v_sub_nc_u32_e32 v50, v45, v44
	v_and_b32_e32 v61, 4, v60
	v_sub_nc_u32_e32 v7, v3, v2
	v_and_b32_e32 v62, 12, v60
	v_sub_nc_u32_e32 v14, v6, v5
	v_and_b32_e32 v63, 28, v60
	v_sub_nc_u32_e32 v21, v13, v12
	v_and_b32_e32 v64, 60, v60
	v_sub_nc_u32_e32 v28, v20, v19
	v_and_b32_e32 v65, 0x7c, v60
	v_sub_nc_u32_e32 v35, v27, v26
	v_and_b32_e32 v68, 0x3fc, v60
	v_sub_nc_u32_e32 v52, v48, v47
	v_sub_nc_u32_e32 v51, v67, v50
	v_cmp_ge_i32_e64 s5, v67, v50
	v_sub_nc_u32_e32 v8, v61, v7
	v_sub_nc_u32_e32 v9, v2, v1
	v_cmp_ge_i32_e32 vcc_lo, v61, v7
	v_sub_nc_u32_e32 v15, v62, v14
	v_sub_nc_u32_e32 v16, v5, v4
	v_cmp_ge_i32_e64 s0, v62, v14
	v_sub_nc_u32_e32 v22, v63, v21
	v_sub_nc_u32_e32 v23, v12, v10
	v_cmp_ge_i32_e64 s1, v63, v21
	;; [unrolled: 3-line block ×4, first 2 shown]
	v_sub_nc_u32_e32 v46, v33, v31
	v_sub_nc_u32_e32 v53, v44, v40
	;; [unrolled: 1-line block ×4, first 2 shown]
	s_wait_alu 0xf1ff
	v_cndmask_b32_e64 v50, 0, v51, s5
	v_cmp_ge_i32_e64 s5, v68, v52
	v_cndmask_b32_e32 v7, 0, v8, vcc_lo
	v_min_i32_e32 v8, v61, v9
	v_lshlrev_b32_e32 v9, 4, v0
	v_cndmask_b32_e64 v14, 0, v15, s0
	v_min_i32_e32 v15, v62, v16
	v_add_nc_u32_e32 v16, v2, v61
	v_cndmask_b32_e64 v21, 0, v22, s1
	v_min_i32_e32 v22, v63, v23
	v_add_nc_u32_e32 v23, v5, v62
	v_cndmask_b32_e64 v28, 0, v29, s2
	v_min_i32_e32 v29, v64, v30
	v_add_nc_u32_e32 v30, v12, v63
	v_cndmask_b32_e64 v35, 0, v36, s3
	v_min_i32_e32 v36, v65, v37
	v_add_nc_u32_e32 v37, v19, v64
	v_add_nc_u32_e32 v39, v26, v65
	v_min_i32_e32 v46, v66, v46
	v_add_nc_u32_e32 v49, v33, v66
	v_min_i32_e32 v51, v67, v53
	s_wait_alu 0xf1ff
	v_cndmask_b32_e64 v52, 0, v55, s5
	v_min_i32_e32 v53, v68, v54
	v_add_nc_u32_e32 v55, v44, v67
	v_subrev_nc_u32_e64 v57, 0x400, v60 clamp
	v_min_i32_e32 v58, 0x400, v60
	v_add_nc_u32_e32 v59, v47, v68
	v_lshlrev_b32_e32 v61, 2, v61
	v_lshlrev_b32_e32 v62, 2, v62
	;; [unrolled: 1-line block ×10, first 2 shown]
	v_cmp_lt_i32_e64 s0, v14, v15
	v_lshlrev_b32_e32 v25, 2, v10
	v_cmp_lt_i32_e64 s1, v21, v22
	v_lshlrev_b32_e32 v32, 2, v17
	;; [unrolled: 2-line block ×6, first 2 shown]
	v_cmp_lt_i32_e64 s6, v52, v53
	v_cmp_lt_i32_e64 s7, v57, v58
	v_add_nc_u32_e32 v60, 0x400, v60
	v_lshl_add_u32 v61, v2, 2, v61
	v_lshl_add_u32 v62, v5, 2, v62
	;; [unrolled: 1-line block ×8, first 2 shown]
	v_add_nc_u32_e32 v69, 0x1000, v9
	v_cmp_lt_i32_e32 vcc_lo, v7, v8
	s_branch .LBB36_2
.LBB36_1:                               ;   in Loop: Header=BB36_2 Depth=1
	s_or_b32 exec_lo, exec_lo, s11
	v_cmp_le_i32_e64 s11, 0x400, v79
	s_wait_dscnt 0x0
	v_cmp_lt_i32_e64 s12, v80, v77
	v_cmp_gt_i32_e64 s13, 0x800, v76
	v_cndmask_b32_e64 v70, v70, v71, s8
	v_cndmask_b32_e64 v71, v72, v73, s9
	;; [unrolled: 1-line block ×3, first 2 shown]
	s_or_b32 s8, s11, s12
	s_add_co_i32 s17, s17, 1
	s_wait_alu 0xfffe
	s_and_b32 s8, s13, s8
	s_cmp_eq_u32 s17, 10
	s_wait_alu 0xfffe
	v_cndmask_b32_e64 v73, v77, v80, s8
	s_cbranch_scc1 .LBB36_146
.LBB36_2:                               ; =>This Loop Header: Depth=1
                                        ;     Child Loop BB36_4 Depth 2
                                        ;     Child Loop BB36_20 Depth 2
	;; [unrolled: 1-line block ×9, first 2 shown]
	s_wait_loadcnt 0x0
	s_delay_alu instid0(VALU_DEP_1)
	v_cmp_lt_i32_e64 s8, v73, v72
	v_cmp_lt_i32_e64 s9, v71, v70
	v_max_i32_e32 v75, v71, v70
	v_min_i32_e32 v77, v73, v72
	s_wait_alu 0xf1ff
	v_cndmask_b32_e64 v76, v73, v72, s8
	v_cndmask_b32_e64 v74, v70, v71, s9
	;; [unrolled: 1-line block ×4, first 2 shown]
	v_min_i32_e32 v70, v71, v70
	v_max_i32_e32 v71, v73, v72
	v_cmp_lt_i32_e64 s8, v77, v75
	v_min_i32_e32 v73, v77, v75
	s_barrier_signal -1
	v_cmp_lt_i32_e64 s9, v77, v70
	v_cmp_gt_i32_e64 s10, v75, v71
	s_wait_alu 0xf1ff
	v_cndmask_b32_e64 v72, v78, v75, s8
	v_max_i32_e32 v78, v77, v75
	v_cndmask_b32_e64 v75, v79, v77, s8
	v_cndmask_b32_e64 v74, v74, v73, s9
	;; [unrolled: 1-line block ×3, first 2 shown]
	s_barrier_wait -1
	v_cndmask_b32_e64 v77, v78, v71, s10
	v_cndmask_b32_e64 v70, v75, v70, s9
	v_cndmask_b32_e64 v71, v72, v71, s10
	v_mov_b32_e32 v72, v7
	v_cndmask_b32_e64 v76, v76, v78, s10
	v_cmp_lt_i32_e64 s8, v77, v73
	global_inv scope:SCOPE_SE
	s_wait_alu 0xf1ff
	v_cndmask_b32_e64 v70, v70, v77, s8
	v_cndmask_b32_e64 v71, v71, v73, s8
	ds_store_2addr_b32 v9, v74, v70 offset1:1
	ds_store_2addr_b32 v9, v71, v76 offset0:2 offset1:3
	s_wait_loadcnt_dscnt 0x0
	s_barrier_signal -1
	s_barrier_wait -1
	global_inv scope:SCOPE_SE
	s_and_saveexec_b32 s9, vcc_lo
	s_cbranch_execz .LBB36_6
; %bb.3:                                ;   in Loop: Header=BB36_2 Depth=1
	v_mov_b32_e32 v72, v7
	v_mov_b32_e32 v70, v8
	s_mov_b32 s10, 0
.LBB36_4:                               ;   Parent Loop BB36_2 Depth=1
                                        ; =>  This Inner Loop Header: Depth=2
	s_delay_alu instid0(VALU_DEP_1) | instskip(NEXT) | instid1(VALU_DEP_1)
	v_sub_nc_u32_e32 v71, v70, v72
	v_lshrrev_b32_e32 v71, 1, v71
	s_delay_alu instid0(VALU_DEP_1) | instskip(NEXT) | instid1(VALU_DEP_1)
	v_add_nc_u32_e32 v71, v71, v72
	v_not_b32_e32 v73, v71
	v_lshl_add_u32 v74, v71, 2, v11
	v_add_nc_u32_e32 v75, 1, v71
	s_delay_alu instid0(VALU_DEP_3)
	v_lshl_add_u32 v73, v73, 2, v61
	ds_load_b32 v74, v74
	ds_load_b32 v73, v73
	s_wait_dscnt 0x0
	v_cmp_lt_i32_e64 s8, v73, v74
	s_wait_alu 0xf1ff
	s_delay_alu instid0(VALU_DEP_1) | instskip(SKIP_1) | instid1(VALU_DEP_1)
	v_cndmask_b32_e64 v70, v70, v71, s8
	v_cndmask_b32_e64 v72, v75, v72, s8
	v_cmp_ge_i32_e64 s8, v72, v70
	s_wait_alu 0xfffe
	s_or_b32 s10, s8, s10
	s_wait_alu 0xfffe
	s_and_not1_b32 exec_lo, exec_lo, s10
	s_cbranch_execnz .LBB36_4
; %bb.5:                                ;   in Loop: Header=BB36_2 Depth=1
	s_or_b32 exec_lo, exec_lo, s10
.LBB36_6:                               ;   in Loop: Header=BB36_2 Depth=1
	s_wait_alu 0xfffe
	s_or_b32 exec_lo, exec_lo, s9
	v_sub_nc_u32_e32 v74, v16, v72
	v_lshl_add_u32 v73, v72, 2, v11
	v_add_nc_u32_e32 v75, v72, v1
                                        ; implicit-def: $vgpr72
	s_delay_alu instid0(VALU_DEP_3) | instskip(SKIP_1) | instid1(VALU_DEP_3)
	v_lshlrev_b32_e32 v76, 2, v74
	v_cmp_gt_i32_e64 s10, v3, v74
	v_cmp_le_i32_e64 s8, v2, v75
	ds_load_b32 v70, v73
	ds_load_b32 v71, v76
	s_wait_dscnt 0x0
	v_cmp_lt_i32_e64 s9, v71, v70
	s_or_b32 s8, s8, s9
	s_wait_alu 0xfffe
	s_and_b32 s8, s10, s8
	s_wait_alu 0xfffe
	s_xor_b32 s9, s8, -1
	s_wait_alu 0xfffe
	s_and_saveexec_b32 s10, s9
	s_wait_alu 0xfffe
	s_xor_b32 s9, exec_lo, s10
; %bb.7:                                ;   in Loop: Header=BB36_2 Depth=1
	ds_load_b32 v72, v73 offset:4
                                        ; implicit-def: $vgpr76
; %bb.8:                                ;   in Loop: Header=BB36_2 Depth=1
	s_wait_alu 0xfffe
	s_or_saveexec_b32 s9, s9
	v_mov_b32_e32 v73, v71
	s_wait_alu 0xfffe
	s_xor_b32 exec_lo, exec_lo, s9
	s_cbranch_execz .LBB36_10
; %bb.9:                                ;   in Loop: Header=BB36_2 Depth=1
	ds_load_b32 v73, v76 offset:4
	s_wait_dscnt 0x1
	v_mov_b32_e32 v72, v70
.LBB36_10:                              ;   in Loop: Header=BB36_2 Depth=1
	s_or_b32 exec_lo, exec_lo, s9
	v_add_nc_u32_e32 v76, 1, v75
	v_add_nc_u32_e32 v78, 1, v74
	s_wait_dscnt 0x0
	v_cmp_lt_i32_e64 s10, v73, v72
	s_delay_alu instid0(VALU_DEP_3) | instskip(NEXT) | instid1(VALU_DEP_3)
	v_cndmask_b32_e64 v77, v76, v75, s8
	v_cndmask_b32_e64 v76, v74, v78, s8
                                        ; implicit-def: $vgpr74
	s_delay_alu instid0(VALU_DEP_2) | instskip(NEXT) | instid1(VALU_DEP_2)
	v_cmp_ge_i32_e64 s9, v77, v2
	v_cmp_lt_i32_e64 s11, v76, v3
	s_or_b32 s9, s9, s10
	s_wait_alu 0xfffe
	s_and_b32 s9, s11, s9
	s_wait_alu 0xfffe
	s_xor_b32 s10, s9, -1
	s_wait_alu 0xfffe
	s_and_saveexec_b32 s11, s10
	s_wait_alu 0xfffe
	s_xor_b32 s10, exec_lo, s11
; %bb.11:                               ;   in Loop: Header=BB36_2 Depth=1
	v_lshlrev_b32_e32 v74, 2, v77
	ds_load_b32 v74, v74 offset:4
; %bb.12:                               ;   in Loop: Header=BB36_2 Depth=1
	s_wait_alu 0xfffe
	s_or_saveexec_b32 s10, s10
	v_mov_b32_e32 v75, v73
	s_wait_alu 0xfffe
	s_xor_b32 exec_lo, exec_lo, s10
	s_cbranch_execz .LBB36_14
; %bb.13:                               ;   in Loop: Header=BB36_2 Depth=1
	s_wait_dscnt 0x0
	v_lshlrev_b32_e32 v74, 2, v76
	ds_load_b32 v75, v74 offset:4
	v_mov_b32_e32 v74, v72
.LBB36_14:                              ;   in Loop: Header=BB36_2 Depth=1
	s_or_b32 exec_lo, exec_lo, s10
	v_add_nc_u32_e32 v78, 1, v77
	v_add_nc_u32_e32 v79, 1, v76
	s_wait_dscnt 0x0
	v_cmp_lt_i32_e64 s11, v75, v74
	s_delay_alu instid0(VALU_DEP_3) | instskip(NEXT) | instid1(VALU_DEP_3)
	v_cndmask_b32_e64 v78, v78, v77, s9
	v_cndmask_b32_e64 v77, v76, v79, s9
                                        ; implicit-def: $vgpr76
	s_delay_alu instid0(VALU_DEP_2) | instskip(NEXT) | instid1(VALU_DEP_2)
	v_cmp_ge_i32_e64 s10, v78, v2
	v_cmp_lt_i32_e64 s12, v77, v3
	s_or_b32 s10, s10, s11
	s_wait_alu 0xfffe
	s_and_b32 s10, s12, s10
	s_wait_alu 0xfffe
	s_xor_b32 s11, s10, -1
	s_wait_alu 0xfffe
	s_and_saveexec_b32 s12, s11
	s_delay_alu instid0(SALU_CYCLE_1)
	s_xor_b32 s11, exec_lo, s12
; %bb.15:                               ;   in Loop: Header=BB36_2 Depth=1
	v_lshlrev_b32_e32 v76, 2, v78
	ds_load_b32 v76, v76 offset:4
; %bb.16:                               ;   in Loop: Header=BB36_2 Depth=1
	s_wait_alu 0xfffe
	s_or_saveexec_b32 s11, s11
	v_mov_b32_e32 v79, v75
	s_wait_alu 0xfffe
	s_xor_b32 exec_lo, exec_lo, s11
	s_cbranch_execz .LBB36_18
; %bb.17:                               ;   in Loop: Header=BB36_2 Depth=1
	s_wait_dscnt 0x0
	v_lshlrev_b32_e32 v76, 2, v77
	ds_load_b32 v79, v76 offset:4
	v_mov_b32_e32 v76, v74
.LBB36_18:                              ;   in Loop: Header=BB36_2 Depth=1
	s_or_b32 exec_lo, exec_lo, s11
	v_add_nc_u32_e32 v80, 1, v78
	v_add_nc_u32_e32 v81, 1, v77
	v_cndmask_b32_e64 v73, v72, v73, s9
	v_mov_b32_e32 v72, v14
	v_cndmask_b32_e64 v74, v74, v75, s10
	v_cndmask_b32_e64 v78, v80, v78, s10
	;; [unrolled: 1-line block ×3, first 2 shown]
	s_wait_dscnt 0x0
	v_cmp_lt_i32_e64 s10, v79, v76
	v_cndmask_b32_e64 v70, v70, v71, s8
	s_wait_loadcnt 0x0
	v_cmp_ge_i32_e64 s11, v78, v2
	v_cmp_lt_i32_e64 s9, v77, v3
	s_barrier_signal -1
	s_barrier_wait -1
	global_inv scope:SCOPE_SE
	s_or_b32 s8, s11, s10
	s_wait_alu 0xfffe
	s_and_b32 s8, s9, s8
	s_wait_alu 0xfffe
	v_cndmask_b32_e64 v71, v76, v79, s8
	ds_store_2addr_b32 v9, v70, v73 offset1:1
	ds_store_2addr_b32 v9, v74, v71 offset0:2 offset1:3
	s_wait_loadcnt_dscnt 0x0
	s_barrier_signal -1
	s_barrier_wait -1
	global_inv scope:SCOPE_SE
	s_and_saveexec_b32 s9, s0
	s_cbranch_execz .LBB36_22
; %bb.19:                               ;   in Loop: Header=BB36_2 Depth=1
	v_mov_b32_e32 v72, v14
	v_mov_b32_e32 v70, v15
	s_mov_b32 s10, 0
.LBB36_20:                              ;   Parent Loop BB36_2 Depth=1
                                        ; =>  This Inner Loop Header: Depth=2
	s_delay_alu instid0(VALU_DEP_1) | instskip(NEXT) | instid1(VALU_DEP_1)
	v_sub_nc_u32_e32 v71, v70, v72
	v_lshrrev_b32_e32 v71, 1, v71
	s_delay_alu instid0(VALU_DEP_1) | instskip(NEXT) | instid1(VALU_DEP_1)
	v_add_nc_u32_e32 v71, v71, v72
	v_not_b32_e32 v73, v71
	v_lshl_add_u32 v74, v71, 2, v18
	v_add_nc_u32_e32 v75, 1, v71
	s_delay_alu instid0(VALU_DEP_3)
	v_lshl_add_u32 v73, v73, 2, v62
	ds_load_b32 v74, v74
	ds_load_b32 v73, v73
	s_wait_dscnt 0x0
	v_cmp_lt_i32_e64 s8, v73, v74
	s_wait_alu 0xf1ff
	s_delay_alu instid0(VALU_DEP_1) | instskip(SKIP_1) | instid1(VALU_DEP_1)
	v_cndmask_b32_e64 v70, v70, v71, s8
	v_cndmask_b32_e64 v72, v75, v72, s8
	v_cmp_ge_i32_e64 s8, v72, v70
	s_wait_alu 0xfffe
	s_or_b32 s10, s8, s10
	s_wait_alu 0xfffe
	s_and_not1_b32 exec_lo, exec_lo, s10
	s_cbranch_execnz .LBB36_20
; %bb.21:                               ;   in Loop: Header=BB36_2 Depth=1
	s_or_b32 exec_lo, exec_lo, s10
.LBB36_22:                              ;   in Loop: Header=BB36_2 Depth=1
	s_wait_alu 0xfffe
	s_or_b32 exec_lo, exec_lo, s9
	v_sub_nc_u32_e32 v74, v23, v72
	v_lshl_add_u32 v73, v72, 2, v18
	v_add_nc_u32_e32 v75, v72, v4
                                        ; implicit-def: $vgpr72
	s_delay_alu instid0(VALU_DEP_3) | instskip(SKIP_1) | instid1(VALU_DEP_3)
	v_lshlrev_b32_e32 v76, 2, v74
	v_cmp_gt_i32_e64 s10, v6, v74
	v_cmp_le_i32_e64 s8, v5, v75
	ds_load_b32 v70, v73
	ds_load_b32 v71, v76
	s_wait_dscnt 0x0
	v_cmp_lt_i32_e64 s9, v71, v70
	s_or_b32 s8, s8, s9
	s_wait_alu 0xfffe
	s_and_b32 s8, s10, s8
	s_wait_alu 0xfffe
	s_xor_b32 s9, s8, -1
	s_wait_alu 0xfffe
	s_and_saveexec_b32 s10, s9
	s_wait_alu 0xfffe
	s_xor_b32 s9, exec_lo, s10
; %bb.23:                               ;   in Loop: Header=BB36_2 Depth=1
	ds_load_b32 v72, v73 offset:4
                                        ; implicit-def: $vgpr76
; %bb.24:                               ;   in Loop: Header=BB36_2 Depth=1
	s_wait_alu 0xfffe
	s_or_saveexec_b32 s9, s9
	v_mov_b32_e32 v73, v71
	s_wait_alu 0xfffe
	s_xor_b32 exec_lo, exec_lo, s9
	s_cbranch_execz .LBB36_26
; %bb.25:                               ;   in Loop: Header=BB36_2 Depth=1
	ds_load_b32 v73, v76 offset:4
	s_wait_dscnt 0x1
	v_mov_b32_e32 v72, v70
.LBB36_26:                              ;   in Loop: Header=BB36_2 Depth=1
	s_or_b32 exec_lo, exec_lo, s9
	v_add_nc_u32_e32 v76, 1, v75
	v_add_nc_u32_e32 v78, 1, v74
	s_wait_dscnt 0x0
	v_cmp_lt_i32_e64 s10, v73, v72
	s_delay_alu instid0(VALU_DEP_3) | instskip(NEXT) | instid1(VALU_DEP_3)
	v_cndmask_b32_e64 v77, v76, v75, s8
	v_cndmask_b32_e64 v76, v74, v78, s8
                                        ; implicit-def: $vgpr74
	s_delay_alu instid0(VALU_DEP_2) | instskip(NEXT) | instid1(VALU_DEP_2)
	v_cmp_ge_i32_e64 s9, v77, v5
	v_cmp_lt_i32_e64 s11, v76, v6
	s_or_b32 s9, s9, s10
	s_wait_alu 0xfffe
	s_and_b32 s9, s11, s9
	s_wait_alu 0xfffe
	s_xor_b32 s10, s9, -1
	s_wait_alu 0xfffe
	s_and_saveexec_b32 s11, s10
	s_wait_alu 0xfffe
	s_xor_b32 s10, exec_lo, s11
; %bb.27:                               ;   in Loop: Header=BB36_2 Depth=1
	v_lshlrev_b32_e32 v74, 2, v77
	ds_load_b32 v74, v74 offset:4
; %bb.28:                               ;   in Loop: Header=BB36_2 Depth=1
	s_wait_alu 0xfffe
	s_or_saveexec_b32 s10, s10
	v_mov_b32_e32 v75, v73
	s_wait_alu 0xfffe
	s_xor_b32 exec_lo, exec_lo, s10
	s_cbranch_execz .LBB36_30
; %bb.29:                               ;   in Loop: Header=BB36_2 Depth=1
	s_wait_dscnt 0x0
	v_lshlrev_b32_e32 v74, 2, v76
	ds_load_b32 v75, v74 offset:4
	v_mov_b32_e32 v74, v72
.LBB36_30:                              ;   in Loop: Header=BB36_2 Depth=1
	s_or_b32 exec_lo, exec_lo, s10
	v_add_nc_u32_e32 v78, 1, v77
	v_add_nc_u32_e32 v79, 1, v76
	s_wait_dscnt 0x0
	v_cmp_lt_i32_e64 s11, v75, v74
	s_delay_alu instid0(VALU_DEP_3) | instskip(NEXT) | instid1(VALU_DEP_3)
	v_cndmask_b32_e64 v78, v78, v77, s9
	v_cndmask_b32_e64 v77, v76, v79, s9
                                        ; implicit-def: $vgpr76
	s_delay_alu instid0(VALU_DEP_2) | instskip(NEXT) | instid1(VALU_DEP_2)
	v_cmp_ge_i32_e64 s10, v78, v5
	v_cmp_lt_i32_e64 s12, v77, v6
	s_or_b32 s10, s10, s11
	s_wait_alu 0xfffe
	s_and_b32 s10, s12, s10
	s_wait_alu 0xfffe
	s_xor_b32 s11, s10, -1
	s_wait_alu 0xfffe
	s_and_saveexec_b32 s12, s11
	s_delay_alu instid0(SALU_CYCLE_1)
	s_xor_b32 s11, exec_lo, s12
; %bb.31:                               ;   in Loop: Header=BB36_2 Depth=1
	v_lshlrev_b32_e32 v76, 2, v78
	ds_load_b32 v76, v76 offset:4
; %bb.32:                               ;   in Loop: Header=BB36_2 Depth=1
	s_wait_alu 0xfffe
	s_or_saveexec_b32 s11, s11
	v_mov_b32_e32 v79, v75
	s_wait_alu 0xfffe
	s_xor_b32 exec_lo, exec_lo, s11
	s_cbranch_execz .LBB36_34
; %bb.33:                               ;   in Loop: Header=BB36_2 Depth=1
	s_wait_dscnt 0x0
	v_lshlrev_b32_e32 v76, 2, v77
	ds_load_b32 v79, v76 offset:4
	v_mov_b32_e32 v76, v74
.LBB36_34:                              ;   in Loop: Header=BB36_2 Depth=1
	s_or_b32 exec_lo, exec_lo, s11
	v_add_nc_u32_e32 v80, 1, v78
	v_add_nc_u32_e32 v81, 1, v77
	v_cndmask_b32_e64 v73, v72, v73, s9
	v_mov_b32_e32 v72, v21
	v_cndmask_b32_e64 v74, v74, v75, s10
	v_cndmask_b32_e64 v78, v80, v78, s10
	;; [unrolled: 1-line block ×3, first 2 shown]
	s_wait_dscnt 0x0
	v_cmp_lt_i32_e64 s10, v79, v76
	v_cndmask_b32_e64 v70, v70, v71, s8
	s_wait_loadcnt 0x0
	v_cmp_ge_i32_e64 s11, v78, v5
	v_cmp_lt_i32_e64 s9, v77, v6
	s_barrier_signal -1
	s_barrier_wait -1
	global_inv scope:SCOPE_SE
	s_or_b32 s8, s11, s10
	s_wait_alu 0xfffe
	s_and_b32 s8, s9, s8
	s_wait_alu 0xfffe
	v_cndmask_b32_e64 v71, v76, v79, s8
	ds_store_2addr_b32 v9, v70, v73 offset1:1
	ds_store_2addr_b32 v9, v74, v71 offset0:2 offset1:3
	s_wait_loadcnt_dscnt 0x0
	s_barrier_signal -1
	s_barrier_wait -1
	global_inv scope:SCOPE_SE
	s_and_saveexec_b32 s9, s1
	s_cbranch_execz .LBB36_38
; %bb.35:                               ;   in Loop: Header=BB36_2 Depth=1
	v_mov_b32_e32 v72, v21
	v_mov_b32_e32 v70, v22
	s_mov_b32 s10, 0
.LBB36_36:                              ;   Parent Loop BB36_2 Depth=1
                                        ; =>  This Inner Loop Header: Depth=2
	s_delay_alu instid0(VALU_DEP_1) | instskip(NEXT) | instid1(VALU_DEP_1)
	v_sub_nc_u32_e32 v71, v70, v72
	v_lshrrev_b32_e32 v71, 1, v71
	s_delay_alu instid0(VALU_DEP_1) | instskip(NEXT) | instid1(VALU_DEP_1)
	v_add_nc_u32_e32 v71, v71, v72
	v_not_b32_e32 v73, v71
	v_lshl_add_u32 v74, v71, 2, v25
	v_add_nc_u32_e32 v75, 1, v71
	s_delay_alu instid0(VALU_DEP_3)
	v_lshl_add_u32 v73, v73, 2, v63
	ds_load_b32 v74, v74
	ds_load_b32 v73, v73
	s_wait_dscnt 0x0
	v_cmp_lt_i32_e64 s8, v73, v74
	s_wait_alu 0xf1ff
	s_delay_alu instid0(VALU_DEP_1) | instskip(SKIP_1) | instid1(VALU_DEP_1)
	v_cndmask_b32_e64 v70, v70, v71, s8
	v_cndmask_b32_e64 v72, v75, v72, s8
	v_cmp_ge_i32_e64 s8, v72, v70
	s_wait_alu 0xfffe
	s_or_b32 s10, s8, s10
	s_wait_alu 0xfffe
	s_and_not1_b32 exec_lo, exec_lo, s10
	s_cbranch_execnz .LBB36_36
; %bb.37:                               ;   in Loop: Header=BB36_2 Depth=1
	s_or_b32 exec_lo, exec_lo, s10
.LBB36_38:                              ;   in Loop: Header=BB36_2 Depth=1
	s_wait_alu 0xfffe
	s_or_b32 exec_lo, exec_lo, s9
	v_sub_nc_u32_e32 v74, v30, v72
	v_lshl_add_u32 v73, v72, 2, v25
	v_add_nc_u32_e32 v75, v72, v10
                                        ; implicit-def: $vgpr72
	s_delay_alu instid0(VALU_DEP_3) | instskip(SKIP_1) | instid1(VALU_DEP_3)
	v_lshlrev_b32_e32 v76, 2, v74
	v_cmp_gt_i32_e64 s10, v13, v74
	v_cmp_le_i32_e64 s8, v12, v75
	ds_load_b32 v70, v73
	ds_load_b32 v71, v76
	s_wait_dscnt 0x0
	v_cmp_lt_i32_e64 s9, v71, v70
	s_or_b32 s8, s8, s9
	s_wait_alu 0xfffe
	s_and_b32 s8, s10, s8
	s_wait_alu 0xfffe
	s_xor_b32 s9, s8, -1
	s_wait_alu 0xfffe
	s_and_saveexec_b32 s10, s9
	s_wait_alu 0xfffe
	s_xor_b32 s9, exec_lo, s10
; %bb.39:                               ;   in Loop: Header=BB36_2 Depth=1
	ds_load_b32 v72, v73 offset:4
                                        ; implicit-def: $vgpr76
; %bb.40:                               ;   in Loop: Header=BB36_2 Depth=1
	s_wait_alu 0xfffe
	s_or_saveexec_b32 s9, s9
	v_mov_b32_e32 v73, v71
	s_wait_alu 0xfffe
	s_xor_b32 exec_lo, exec_lo, s9
	s_cbranch_execz .LBB36_42
; %bb.41:                               ;   in Loop: Header=BB36_2 Depth=1
	ds_load_b32 v73, v76 offset:4
	s_wait_dscnt 0x1
	v_mov_b32_e32 v72, v70
.LBB36_42:                              ;   in Loop: Header=BB36_2 Depth=1
	s_or_b32 exec_lo, exec_lo, s9
	v_add_nc_u32_e32 v76, 1, v75
	v_add_nc_u32_e32 v78, 1, v74
	s_wait_dscnt 0x0
	v_cmp_lt_i32_e64 s10, v73, v72
	s_delay_alu instid0(VALU_DEP_3) | instskip(NEXT) | instid1(VALU_DEP_3)
	v_cndmask_b32_e64 v77, v76, v75, s8
	v_cndmask_b32_e64 v76, v74, v78, s8
                                        ; implicit-def: $vgpr74
	s_delay_alu instid0(VALU_DEP_2) | instskip(NEXT) | instid1(VALU_DEP_2)
	v_cmp_ge_i32_e64 s9, v77, v12
	v_cmp_lt_i32_e64 s11, v76, v13
	s_or_b32 s9, s9, s10
	s_wait_alu 0xfffe
	s_and_b32 s9, s11, s9
	s_wait_alu 0xfffe
	s_xor_b32 s10, s9, -1
	s_wait_alu 0xfffe
	s_and_saveexec_b32 s11, s10
	s_wait_alu 0xfffe
	s_xor_b32 s10, exec_lo, s11
; %bb.43:                               ;   in Loop: Header=BB36_2 Depth=1
	v_lshlrev_b32_e32 v74, 2, v77
	ds_load_b32 v74, v74 offset:4
; %bb.44:                               ;   in Loop: Header=BB36_2 Depth=1
	s_wait_alu 0xfffe
	s_or_saveexec_b32 s10, s10
	v_mov_b32_e32 v75, v73
	s_wait_alu 0xfffe
	s_xor_b32 exec_lo, exec_lo, s10
	s_cbranch_execz .LBB36_46
; %bb.45:                               ;   in Loop: Header=BB36_2 Depth=1
	s_wait_dscnt 0x0
	v_lshlrev_b32_e32 v74, 2, v76
	ds_load_b32 v75, v74 offset:4
	v_mov_b32_e32 v74, v72
.LBB36_46:                              ;   in Loop: Header=BB36_2 Depth=1
	s_or_b32 exec_lo, exec_lo, s10
	v_add_nc_u32_e32 v78, 1, v77
	v_add_nc_u32_e32 v79, 1, v76
	s_wait_dscnt 0x0
	v_cmp_lt_i32_e64 s11, v75, v74
	s_delay_alu instid0(VALU_DEP_3) | instskip(NEXT) | instid1(VALU_DEP_3)
	v_cndmask_b32_e64 v78, v78, v77, s9
	v_cndmask_b32_e64 v77, v76, v79, s9
                                        ; implicit-def: $vgpr76
	s_delay_alu instid0(VALU_DEP_2) | instskip(NEXT) | instid1(VALU_DEP_2)
	v_cmp_ge_i32_e64 s10, v78, v12
	v_cmp_lt_i32_e64 s12, v77, v13
	s_or_b32 s10, s10, s11
	s_wait_alu 0xfffe
	s_and_b32 s10, s12, s10
	s_wait_alu 0xfffe
	s_xor_b32 s11, s10, -1
	s_wait_alu 0xfffe
	s_and_saveexec_b32 s12, s11
	s_delay_alu instid0(SALU_CYCLE_1)
	s_xor_b32 s11, exec_lo, s12
; %bb.47:                               ;   in Loop: Header=BB36_2 Depth=1
	v_lshlrev_b32_e32 v76, 2, v78
	ds_load_b32 v76, v76 offset:4
; %bb.48:                               ;   in Loop: Header=BB36_2 Depth=1
	s_wait_alu 0xfffe
	s_or_saveexec_b32 s11, s11
	v_mov_b32_e32 v79, v75
	s_wait_alu 0xfffe
	s_xor_b32 exec_lo, exec_lo, s11
	s_cbranch_execz .LBB36_50
; %bb.49:                               ;   in Loop: Header=BB36_2 Depth=1
	s_wait_dscnt 0x0
	v_lshlrev_b32_e32 v76, 2, v77
	ds_load_b32 v79, v76 offset:4
	v_mov_b32_e32 v76, v74
.LBB36_50:                              ;   in Loop: Header=BB36_2 Depth=1
	s_or_b32 exec_lo, exec_lo, s11
	v_add_nc_u32_e32 v80, 1, v78
	v_add_nc_u32_e32 v81, 1, v77
	v_cndmask_b32_e64 v73, v72, v73, s9
	v_mov_b32_e32 v72, v28
	v_cndmask_b32_e64 v74, v74, v75, s10
	v_cndmask_b32_e64 v78, v80, v78, s10
	;; [unrolled: 1-line block ×3, first 2 shown]
	s_wait_dscnt 0x0
	v_cmp_lt_i32_e64 s10, v79, v76
	v_cndmask_b32_e64 v70, v70, v71, s8
	s_wait_loadcnt 0x0
	v_cmp_ge_i32_e64 s11, v78, v12
	v_cmp_lt_i32_e64 s9, v77, v13
	s_barrier_signal -1
	s_barrier_wait -1
	global_inv scope:SCOPE_SE
	s_or_b32 s8, s11, s10
	s_wait_alu 0xfffe
	s_and_b32 s8, s9, s8
	s_wait_alu 0xfffe
	v_cndmask_b32_e64 v71, v76, v79, s8
	ds_store_2addr_b32 v9, v70, v73 offset1:1
	ds_store_2addr_b32 v9, v74, v71 offset0:2 offset1:3
	s_wait_loadcnt_dscnt 0x0
	s_barrier_signal -1
	s_barrier_wait -1
	global_inv scope:SCOPE_SE
	s_and_saveexec_b32 s9, s2
	s_cbranch_execz .LBB36_54
; %bb.51:                               ;   in Loop: Header=BB36_2 Depth=1
	v_mov_b32_e32 v72, v28
	v_mov_b32_e32 v70, v29
	s_mov_b32 s10, 0
.LBB36_52:                              ;   Parent Loop BB36_2 Depth=1
                                        ; =>  This Inner Loop Header: Depth=2
	s_delay_alu instid0(VALU_DEP_1) | instskip(NEXT) | instid1(VALU_DEP_1)
	v_sub_nc_u32_e32 v71, v70, v72
	v_lshrrev_b32_e32 v71, 1, v71
	s_delay_alu instid0(VALU_DEP_1) | instskip(NEXT) | instid1(VALU_DEP_1)
	v_add_nc_u32_e32 v71, v71, v72
	v_not_b32_e32 v73, v71
	v_lshl_add_u32 v74, v71, 2, v32
	v_add_nc_u32_e32 v75, 1, v71
	s_delay_alu instid0(VALU_DEP_3)
	v_lshl_add_u32 v73, v73, 2, v64
	ds_load_b32 v74, v74
	ds_load_b32 v73, v73
	s_wait_dscnt 0x0
	v_cmp_lt_i32_e64 s8, v73, v74
	s_wait_alu 0xf1ff
	s_delay_alu instid0(VALU_DEP_1) | instskip(SKIP_1) | instid1(VALU_DEP_1)
	v_cndmask_b32_e64 v70, v70, v71, s8
	v_cndmask_b32_e64 v72, v75, v72, s8
	v_cmp_ge_i32_e64 s8, v72, v70
	s_wait_alu 0xfffe
	s_or_b32 s10, s8, s10
	s_wait_alu 0xfffe
	s_and_not1_b32 exec_lo, exec_lo, s10
	s_cbranch_execnz .LBB36_52
; %bb.53:                               ;   in Loop: Header=BB36_2 Depth=1
	s_or_b32 exec_lo, exec_lo, s10
.LBB36_54:                              ;   in Loop: Header=BB36_2 Depth=1
	s_wait_alu 0xfffe
	s_or_b32 exec_lo, exec_lo, s9
	v_sub_nc_u32_e32 v74, v37, v72
	v_lshl_add_u32 v73, v72, 2, v32
	v_add_nc_u32_e32 v75, v72, v17
                                        ; implicit-def: $vgpr72
	s_delay_alu instid0(VALU_DEP_3) | instskip(SKIP_1) | instid1(VALU_DEP_3)
	v_lshlrev_b32_e32 v76, 2, v74
	v_cmp_gt_i32_e64 s10, v20, v74
	v_cmp_le_i32_e64 s8, v19, v75
	ds_load_b32 v70, v73
	ds_load_b32 v71, v76
	s_wait_dscnt 0x0
	v_cmp_lt_i32_e64 s9, v71, v70
	s_or_b32 s8, s8, s9
	s_wait_alu 0xfffe
	s_and_b32 s8, s10, s8
	s_wait_alu 0xfffe
	s_xor_b32 s9, s8, -1
	s_wait_alu 0xfffe
	s_and_saveexec_b32 s10, s9
	s_wait_alu 0xfffe
	s_xor_b32 s9, exec_lo, s10
; %bb.55:                               ;   in Loop: Header=BB36_2 Depth=1
	ds_load_b32 v72, v73 offset:4
                                        ; implicit-def: $vgpr76
; %bb.56:                               ;   in Loop: Header=BB36_2 Depth=1
	s_wait_alu 0xfffe
	s_or_saveexec_b32 s9, s9
	v_mov_b32_e32 v73, v71
	s_wait_alu 0xfffe
	s_xor_b32 exec_lo, exec_lo, s9
	s_cbranch_execz .LBB36_58
; %bb.57:                               ;   in Loop: Header=BB36_2 Depth=1
	ds_load_b32 v73, v76 offset:4
	s_wait_dscnt 0x1
	v_mov_b32_e32 v72, v70
.LBB36_58:                              ;   in Loop: Header=BB36_2 Depth=1
	s_or_b32 exec_lo, exec_lo, s9
	v_add_nc_u32_e32 v76, 1, v75
	v_add_nc_u32_e32 v78, 1, v74
	s_wait_dscnt 0x0
	v_cmp_lt_i32_e64 s10, v73, v72
	s_delay_alu instid0(VALU_DEP_3) | instskip(NEXT) | instid1(VALU_DEP_3)
	v_cndmask_b32_e64 v77, v76, v75, s8
	v_cndmask_b32_e64 v76, v74, v78, s8
                                        ; implicit-def: $vgpr74
	s_delay_alu instid0(VALU_DEP_2) | instskip(NEXT) | instid1(VALU_DEP_2)
	v_cmp_ge_i32_e64 s9, v77, v19
	v_cmp_lt_i32_e64 s11, v76, v20
	s_or_b32 s9, s9, s10
	s_wait_alu 0xfffe
	s_and_b32 s9, s11, s9
	s_wait_alu 0xfffe
	s_xor_b32 s10, s9, -1
	s_wait_alu 0xfffe
	s_and_saveexec_b32 s11, s10
	s_wait_alu 0xfffe
	s_xor_b32 s10, exec_lo, s11
; %bb.59:                               ;   in Loop: Header=BB36_2 Depth=1
	v_lshlrev_b32_e32 v74, 2, v77
	ds_load_b32 v74, v74 offset:4
; %bb.60:                               ;   in Loop: Header=BB36_2 Depth=1
	s_wait_alu 0xfffe
	s_or_saveexec_b32 s10, s10
	v_mov_b32_e32 v75, v73
	s_wait_alu 0xfffe
	s_xor_b32 exec_lo, exec_lo, s10
	s_cbranch_execz .LBB36_62
; %bb.61:                               ;   in Loop: Header=BB36_2 Depth=1
	s_wait_dscnt 0x0
	v_lshlrev_b32_e32 v74, 2, v76
	ds_load_b32 v75, v74 offset:4
	v_mov_b32_e32 v74, v72
.LBB36_62:                              ;   in Loop: Header=BB36_2 Depth=1
	s_or_b32 exec_lo, exec_lo, s10
	v_add_nc_u32_e32 v78, 1, v77
	v_add_nc_u32_e32 v79, 1, v76
	s_wait_dscnt 0x0
	v_cmp_lt_i32_e64 s11, v75, v74
	s_delay_alu instid0(VALU_DEP_3) | instskip(NEXT) | instid1(VALU_DEP_3)
	v_cndmask_b32_e64 v78, v78, v77, s9
	v_cndmask_b32_e64 v77, v76, v79, s9
                                        ; implicit-def: $vgpr76
	s_delay_alu instid0(VALU_DEP_2) | instskip(NEXT) | instid1(VALU_DEP_2)
	v_cmp_ge_i32_e64 s10, v78, v19
	v_cmp_lt_i32_e64 s12, v77, v20
	s_or_b32 s10, s10, s11
	s_wait_alu 0xfffe
	s_and_b32 s10, s12, s10
	s_wait_alu 0xfffe
	s_xor_b32 s11, s10, -1
	s_wait_alu 0xfffe
	s_and_saveexec_b32 s12, s11
	s_delay_alu instid0(SALU_CYCLE_1)
	s_xor_b32 s11, exec_lo, s12
; %bb.63:                               ;   in Loop: Header=BB36_2 Depth=1
	v_lshlrev_b32_e32 v76, 2, v78
	ds_load_b32 v76, v76 offset:4
; %bb.64:                               ;   in Loop: Header=BB36_2 Depth=1
	s_wait_alu 0xfffe
	s_or_saveexec_b32 s11, s11
	v_mov_b32_e32 v79, v75
	s_wait_alu 0xfffe
	s_xor_b32 exec_lo, exec_lo, s11
	s_cbranch_execz .LBB36_66
; %bb.65:                               ;   in Loop: Header=BB36_2 Depth=1
	s_wait_dscnt 0x0
	v_lshlrev_b32_e32 v76, 2, v77
	ds_load_b32 v79, v76 offset:4
	v_mov_b32_e32 v76, v74
.LBB36_66:                              ;   in Loop: Header=BB36_2 Depth=1
	s_or_b32 exec_lo, exec_lo, s11
	v_add_nc_u32_e32 v80, 1, v78
	v_add_nc_u32_e32 v81, 1, v77
	v_cndmask_b32_e64 v73, v72, v73, s9
	v_mov_b32_e32 v72, v35
	v_cndmask_b32_e64 v74, v74, v75, s10
	v_cndmask_b32_e64 v78, v80, v78, s10
	;; [unrolled: 1-line block ×3, first 2 shown]
	s_wait_dscnt 0x0
	v_cmp_lt_i32_e64 s10, v79, v76
	v_cndmask_b32_e64 v70, v70, v71, s8
	s_wait_loadcnt 0x0
	v_cmp_ge_i32_e64 s11, v78, v19
	v_cmp_lt_i32_e64 s9, v77, v20
	s_barrier_signal -1
	s_barrier_wait -1
	global_inv scope:SCOPE_SE
	s_or_b32 s8, s11, s10
	s_wait_alu 0xfffe
	s_and_b32 s8, s9, s8
	s_wait_alu 0xfffe
	v_cndmask_b32_e64 v71, v76, v79, s8
	ds_store_2addr_b32 v9, v70, v73 offset1:1
	ds_store_2addr_b32 v9, v74, v71 offset0:2 offset1:3
	s_wait_loadcnt_dscnt 0x0
	s_barrier_signal -1
	s_barrier_wait -1
	global_inv scope:SCOPE_SE
	s_and_saveexec_b32 s9, s3
	s_cbranch_execz .LBB36_70
; %bb.67:                               ;   in Loop: Header=BB36_2 Depth=1
	v_mov_b32_e32 v72, v35
	v_mov_b32_e32 v70, v36
	s_mov_b32 s10, 0
.LBB36_68:                              ;   Parent Loop BB36_2 Depth=1
                                        ; =>  This Inner Loop Header: Depth=2
	s_delay_alu instid0(VALU_DEP_1) | instskip(NEXT) | instid1(VALU_DEP_1)
	v_sub_nc_u32_e32 v71, v70, v72
	v_lshrrev_b32_e32 v71, 1, v71
	s_delay_alu instid0(VALU_DEP_1) | instskip(NEXT) | instid1(VALU_DEP_1)
	v_add_nc_u32_e32 v71, v71, v72
	v_not_b32_e32 v73, v71
	v_lshl_add_u32 v74, v71, 2, v38
	v_add_nc_u32_e32 v75, 1, v71
	s_delay_alu instid0(VALU_DEP_3)
	v_lshl_add_u32 v73, v73, 2, v65
	ds_load_b32 v74, v74
	ds_load_b32 v73, v73
	s_wait_dscnt 0x0
	v_cmp_lt_i32_e64 s8, v73, v74
	s_wait_alu 0xf1ff
	s_delay_alu instid0(VALU_DEP_1) | instskip(SKIP_1) | instid1(VALU_DEP_1)
	v_cndmask_b32_e64 v70, v70, v71, s8
	v_cndmask_b32_e64 v72, v75, v72, s8
	v_cmp_ge_i32_e64 s8, v72, v70
	s_wait_alu 0xfffe
	s_or_b32 s10, s8, s10
	s_wait_alu 0xfffe
	s_and_not1_b32 exec_lo, exec_lo, s10
	s_cbranch_execnz .LBB36_68
; %bb.69:                               ;   in Loop: Header=BB36_2 Depth=1
	s_or_b32 exec_lo, exec_lo, s10
.LBB36_70:                              ;   in Loop: Header=BB36_2 Depth=1
	s_wait_alu 0xfffe
	s_or_b32 exec_lo, exec_lo, s9
	v_sub_nc_u32_e32 v74, v39, v72
	v_lshl_add_u32 v73, v72, 2, v38
	v_add_nc_u32_e32 v75, v72, v24
                                        ; implicit-def: $vgpr72
	s_delay_alu instid0(VALU_DEP_3) | instskip(SKIP_1) | instid1(VALU_DEP_3)
	v_lshlrev_b32_e32 v76, 2, v74
	v_cmp_gt_i32_e64 s10, v27, v74
	v_cmp_le_i32_e64 s8, v26, v75
	ds_load_b32 v70, v73
	ds_load_b32 v71, v76
	s_wait_dscnt 0x0
	v_cmp_lt_i32_e64 s9, v71, v70
	s_or_b32 s8, s8, s9
	s_wait_alu 0xfffe
	s_and_b32 s8, s10, s8
	s_wait_alu 0xfffe
	s_xor_b32 s9, s8, -1
	s_wait_alu 0xfffe
	s_and_saveexec_b32 s10, s9
	s_wait_alu 0xfffe
	s_xor_b32 s9, exec_lo, s10
; %bb.71:                               ;   in Loop: Header=BB36_2 Depth=1
	ds_load_b32 v72, v73 offset:4
                                        ; implicit-def: $vgpr76
; %bb.72:                               ;   in Loop: Header=BB36_2 Depth=1
	s_wait_alu 0xfffe
	s_or_saveexec_b32 s9, s9
	v_mov_b32_e32 v73, v71
	s_wait_alu 0xfffe
	s_xor_b32 exec_lo, exec_lo, s9
	s_cbranch_execz .LBB36_74
; %bb.73:                               ;   in Loop: Header=BB36_2 Depth=1
	ds_load_b32 v73, v76 offset:4
	s_wait_dscnt 0x1
	v_mov_b32_e32 v72, v70
.LBB36_74:                              ;   in Loop: Header=BB36_2 Depth=1
	s_or_b32 exec_lo, exec_lo, s9
	v_add_nc_u32_e32 v76, 1, v75
	v_add_nc_u32_e32 v78, 1, v74
	s_wait_dscnt 0x0
	v_cmp_lt_i32_e64 s10, v73, v72
	s_delay_alu instid0(VALU_DEP_3) | instskip(NEXT) | instid1(VALU_DEP_3)
	v_cndmask_b32_e64 v77, v76, v75, s8
	v_cndmask_b32_e64 v76, v74, v78, s8
                                        ; implicit-def: $vgpr74
	s_delay_alu instid0(VALU_DEP_2) | instskip(NEXT) | instid1(VALU_DEP_2)
	v_cmp_ge_i32_e64 s9, v77, v26
	v_cmp_lt_i32_e64 s11, v76, v27
	s_or_b32 s9, s9, s10
	s_wait_alu 0xfffe
	s_and_b32 s9, s11, s9
	s_wait_alu 0xfffe
	s_xor_b32 s10, s9, -1
	s_wait_alu 0xfffe
	s_and_saveexec_b32 s11, s10
	s_wait_alu 0xfffe
	s_xor_b32 s10, exec_lo, s11
; %bb.75:                               ;   in Loop: Header=BB36_2 Depth=1
	v_lshlrev_b32_e32 v74, 2, v77
	ds_load_b32 v74, v74 offset:4
; %bb.76:                               ;   in Loop: Header=BB36_2 Depth=1
	s_wait_alu 0xfffe
	s_or_saveexec_b32 s10, s10
	v_mov_b32_e32 v75, v73
	s_wait_alu 0xfffe
	s_xor_b32 exec_lo, exec_lo, s10
	s_cbranch_execz .LBB36_78
; %bb.77:                               ;   in Loop: Header=BB36_2 Depth=1
	s_wait_dscnt 0x0
	v_lshlrev_b32_e32 v74, 2, v76
	ds_load_b32 v75, v74 offset:4
	v_mov_b32_e32 v74, v72
.LBB36_78:                              ;   in Loop: Header=BB36_2 Depth=1
	s_or_b32 exec_lo, exec_lo, s10
	v_add_nc_u32_e32 v78, 1, v77
	v_add_nc_u32_e32 v79, 1, v76
	s_wait_dscnt 0x0
	v_cmp_lt_i32_e64 s11, v75, v74
	s_delay_alu instid0(VALU_DEP_3) | instskip(NEXT) | instid1(VALU_DEP_3)
	v_cndmask_b32_e64 v78, v78, v77, s9
	v_cndmask_b32_e64 v77, v76, v79, s9
                                        ; implicit-def: $vgpr76
	s_delay_alu instid0(VALU_DEP_2) | instskip(NEXT) | instid1(VALU_DEP_2)
	v_cmp_ge_i32_e64 s10, v78, v26
	v_cmp_lt_i32_e64 s12, v77, v27
	s_or_b32 s10, s10, s11
	s_wait_alu 0xfffe
	s_and_b32 s10, s12, s10
	s_wait_alu 0xfffe
	s_xor_b32 s11, s10, -1
	s_wait_alu 0xfffe
	s_and_saveexec_b32 s12, s11
	s_delay_alu instid0(SALU_CYCLE_1)
	s_xor_b32 s11, exec_lo, s12
; %bb.79:                               ;   in Loop: Header=BB36_2 Depth=1
	v_lshlrev_b32_e32 v76, 2, v78
	ds_load_b32 v76, v76 offset:4
; %bb.80:                               ;   in Loop: Header=BB36_2 Depth=1
	s_wait_alu 0xfffe
	s_or_saveexec_b32 s11, s11
	v_mov_b32_e32 v79, v75
	s_wait_alu 0xfffe
	s_xor_b32 exec_lo, exec_lo, s11
	s_cbranch_execz .LBB36_82
; %bb.81:                               ;   in Loop: Header=BB36_2 Depth=1
	s_wait_dscnt 0x0
	v_lshlrev_b32_e32 v76, 2, v77
	ds_load_b32 v79, v76 offset:4
	v_mov_b32_e32 v76, v74
.LBB36_82:                              ;   in Loop: Header=BB36_2 Depth=1
	s_or_b32 exec_lo, exec_lo, s11
	v_add_nc_u32_e32 v80, 1, v78
	v_add_nc_u32_e32 v81, 1, v77
	v_cndmask_b32_e64 v73, v72, v73, s9
	v_mov_b32_e32 v72, v43
	v_cndmask_b32_e64 v74, v74, v75, s10
	v_cndmask_b32_e64 v78, v80, v78, s10
	;; [unrolled: 1-line block ×3, first 2 shown]
	s_wait_dscnt 0x0
	v_cmp_lt_i32_e64 s10, v79, v76
	v_cndmask_b32_e64 v70, v70, v71, s8
	s_wait_loadcnt 0x0
	v_cmp_ge_i32_e64 s11, v78, v26
	v_cmp_lt_i32_e64 s9, v77, v27
	s_barrier_signal -1
	s_barrier_wait -1
	global_inv scope:SCOPE_SE
	s_or_b32 s8, s11, s10
	s_wait_alu 0xfffe
	s_and_b32 s8, s9, s8
	s_wait_alu 0xfffe
	v_cndmask_b32_e64 v71, v76, v79, s8
	ds_store_2addr_b32 v9, v70, v73 offset1:1
	ds_store_2addr_b32 v9, v74, v71 offset0:2 offset1:3
	s_wait_loadcnt_dscnt 0x0
	s_barrier_signal -1
	s_barrier_wait -1
	global_inv scope:SCOPE_SE
	s_and_saveexec_b32 s9, s4
	s_cbranch_execz .LBB36_86
; %bb.83:                               ;   in Loop: Header=BB36_2 Depth=1
	v_mov_b32_e32 v72, v43
	v_mov_b32_e32 v70, v46
	s_mov_b32 s10, 0
.LBB36_84:                              ;   Parent Loop BB36_2 Depth=1
                                        ; =>  This Inner Loop Header: Depth=2
	s_delay_alu instid0(VALU_DEP_1) | instskip(NEXT) | instid1(VALU_DEP_1)
	v_sub_nc_u32_e32 v71, v70, v72
	v_lshrrev_b32_e32 v71, 1, v71
	s_delay_alu instid0(VALU_DEP_1) | instskip(NEXT) | instid1(VALU_DEP_1)
	v_add_nc_u32_e32 v71, v71, v72
	v_not_b32_e32 v73, v71
	v_lshl_add_u32 v74, v71, 2, v41
	v_add_nc_u32_e32 v75, 1, v71
	s_delay_alu instid0(VALU_DEP_3)
	v_lshl_add_u32 v73, v73, 2, v66
	ds_load_b32 v74, v74
	ds_load_b32 v73, v73
	s_wait_dscnt 0x0
	v_cmp_lt_i32_e64 s8, v73, v74
	s_wait_alu 0xf1ff
	s_delay_alu instid0(VALU_DEP_1) | instskip(SKIP_1) | instid1(VALU_DEP_1)
	v_cndmask_b32_e64 v70, v70, v71, s8
	v_cndmask_b32_e64 v72, v75, v72, s8
	v_cmp_ge_i32_e64 s8, v72, v70
	s_wait_alu 0xfffe
	s_or_b32 s10, s8, s10
	s_wait_alu 0xfffe
	s_and_not1_b32 exec_lo, exec_lo, s10
	s_cbranch_execnz .LBB36_84
; %bb.85:                               ;   in Loop: Header=BB36_2 Depth=1
	s_or_b32 exec_lo, exec_lo, s10
.LBB36_86:                              ;   in Loop: Header=BB36_2 Depth=1
	s_wait_alu 0xfffe
	s_or_b32 exec_lo, exec_lo, s9
	v_sub_nc_u32_e32 v74, v49, v72
	v_lshl_add_u32 v73, v72, 2, v41
	v_add_nc_u32_e32 v75, v72, v31
                                        ; implicit-def: $vgpr72
	s_delay_alu instid0(VALU_DEP_3) | instskip(SKIP_1) | instid1(VALU_DEP_3)
	v_lshlrev_b32_e32 v76, 2, v74
	v_cmp_gt_i32_e64 s10, v34, v74
	v_cmp_le_i32_e64 s8, v33, v75
	ds_load_b32 v70, v73
	ds_load_b32 v71, v76
	s_wait_dscnt 0x0
	v_cmp_lt_i32_e64 s9, v71, v70
	s_or_b32 s8, s8, s9
	s_wait_alu 0xfffe
	s_and_b32 s8, s10, s8
	s_wait_alu 0xfffe
	s_xor_b32 s9, s8, -1
	s_wait_alu 0xfffe
	s_and_saveexec_b32 s10, s9
	s_wait_alu 0xfffe
	s_xor_b32 s9, exec_lo, s10
; %bb.87:                               ;   in Loop: Header=BB36_2 Depth=1
	ds_load_b32 v72, v73 offset:4
                                        ; implicit-def: $vgpr76
; %bb.88:                               ;   in Loop: Header=BB36_2 Depth=1
	s_wait_alu 0xfffe
	s_or_saveexec_b32 s9, s9
	v_mov_b32_e32 v73, v71
	s_wait_alu 0xfffe
	s_xor_b32 exec_lo, exec_lo, s9
	s_cbranch_execz .LBB36_90
; %bb.89:                               ;   in Loop: Header=BB36_2 Depth=1
	ds_load_b32 v73, v76 offset:4
	s_wait_dscnt 0x1
	v_mov_b32_e32 v72, v70
.LBB36_90:                              ;   in Loop: Header=BB36_2 Depth=1
	s_or_b32 exec_lo, exec_lo, s9
	v_add_nc_u32_e32 v76, 1, v75
	v_add_nc_u32_e32 v78, 1, v74
	s_wait_dscnt 0x0
	v_cmp_lt_i32_e64 s10, v73, v72
	s_delay_alu instid0(VALU_DEP_3) | instskip(NEXT) | instid1(VALU_DEP_3)
	v_cndmask_b32_e64 v77, v76, v75, s8
	v_cndmask_b32_e64 v76, v74, v78, s8
                                        ; implicit-def: $vgpr74
	s_delay_alu instid0(VALU_DEP_2) | instskip(NEXT) | instid1(VALU_DEP_2)
	v_cmp_ge_i32_e64 s9, v77, v33
	v_cmp_lt_i32_e64 s11, v76, v34
	s_or_b32 s9, s9, s10
	s_wait_alu 0xfffe
	s_and_b32 s9, s11, s9
	s_wait_alu 0xfffe
	s_xor_b32 s10, s9, -1
	s_wait_alu 0xfffe
	s_and_saveexec_b32 s11, s10
	s_wait_alu 0xfffe
	s_xor_b32 s10, exec_lo, s11
; %bb.91:                               ;   in Loop: Header=BB36_2 Depth=1
	v_lshlrev_b32_e32 v74, 2, v77
	ds_load_b32 v74, v74 offset:4
; %bb.92:                               ;   in Loop: Header=BB36_2 Depth=1
	s_wait_alu 0xfffe
	s_or_saveexec_b32 s10, s10
	v_mov_b32_e32 v75, v73
	s_wait_alu 0xfffe
	s_xor_b32 exec_lo, exec_lo, s10
	s_cbranch_execz .LBB36_94
; %bb.93:                               ;   in Loop: Header=BB36_2 Depth=1
	s_wait_dscnt 0x0
	v_lshlrev_b32_e32 v74, 2, v76
	ds_load_b32 v75, v74 offset:4
	v_mov_b32_e32 v74, v72
.LBB36_94:                              ;   in Loop: Header=BB36_2 Depth=1
	s_or_b32 exec_lo, exec_lo, s10
	v_add_nc_u32_e32 v78, 1, v77
	v_add_nc_u32_e32 v79, 1, v76
	s_wait_dscnt 0x0
	v_cmp_lt_i32_e64 s11, v75, v74
	s_delay_alu instid0(VALU_DEP_3) | instskip(NEXT) | instid1(VALU_DEP_3)
	v_cndmask_b32_e64 v78, v78, v77, s9
	v_cndmask_b32_e64 v77, v76, v79, s9
                                        ; implicit-def: $vgpr76
	s_delay_alu instid0(VALU_DEP_2) | instskip(NEXT) | instid1(VALU_DEP_2)
	v_cmp_ge_i32_e64 s10, v78, v33
	v_cmp_lt_i32_e64 s12, v77, v34
	s_or_b32 s10, s10, s11
	s_wait_alu 0xfffe
	s_and_b32 s10, s12, s10
	s_wait_alu 0xfffe
	s_xor_b32 s11, s10, -1
	s_wait_alu 0xfffe
	s_and_saveexec_b32 s12, s11
	s_delay_alu instid0(SALU_CYCLE_1)
	s_xor_b32 s11, exec_lo, s12
; %bb.95:                               ;   in Loop: Header=BB36_2 Depth=1
	v_lshlrev_b32_e32 v76, 2, v78
	ds_load_b32 v76, v76 offset:4
; %bb.96:                               ;   in Loop: Header=BB36_2 Depth=1
	s_wait_alu 0xfffe
	s_or_saveexec_b32 s11, s11
	v_mov_b32_e32 v79, v75
	s_wait_alu 0xfffe
	s_xor_b32 exec_lo, exec_lo, s11
	s_cbranch_execz .LBB36_98
; %bb.97:                               ;   in Loop: Header=BB36_2 Depth=1
	s_wait_dscnt 0x0
	v_lshlrev_b32_e32 v76, 2, v77
	ds_load_b32 v79, v76 offset:4
	v_mov_b32_e32 v76, v74
.LBB36_98:                              ;   in Loop: Header=BB36_2 Depth=1
	s_or_b32 exec_lo, exec_lo, s11
	v_add_nc_u32_e32 v80, 1, v78
	v_add_nc_u32_e32 v81, 1, v77
	v_cndmask_b32_e64 v73, v72, v73, s9
	v_mov_b32_e32 v72, v50
	v_cndmask_b32_e64 v74, v74, v75, s10
	v_cndmask_b32_e64 v78, v80, v78, s10
	;; [unrolled: 1-line block ×3, first 2 shown]
	s_wait_dscnt 0x0
	v_cmp_lt_i32_e64 s10, v79, v76
	v_cndmask_b32_e64 v70, v70, v71, s8
	s_wait_loadcnt 0x0
	v_cmp_ge_i32_e64 s11, v78, v33
	v_cmp_lt_i32_e64 s9, v77, v34
	s_barrier_signal -1
	s_barrier_wait -1
	global_inv scope:SCOPE_SE
	s_or_b32 s8, s11, s10
	s_wait_alu 0xfffe
	s_and_b32 s8, s9, s8
	s_wait_alu 0xfffe
	v_cndmask_b32_e64 v71, v76, v79, s8
	ds_store_2addr_b32 v9, v70, v73 offset1:1
	ds_store_2addr_b32 v9, v74, v71 offset0:2 offset1:3
	s_wait_loadcnt_dscnt 0x0
	s_barrier_signal -1
	s_barrier_wait -1
	global_inv scope:SCOPE_SE
	s_and_saveexec_b32 s9, s5
	s_cbranch_execz .LBB36_102
; %bb.99:                               ;   in Loop: Header=BB36_2 Depth=1
	v_mov_b32_e32 v72, v50
	v_mov_b32_e32 v70, v51
	s_mov_b32 s10, 0
.LBB36_100:                             ;   Parent Loop BB36_2 Depth=1
                                        ; =>  This Inner Loop Header: Depth=2
	s_delay_alu instid0(VALU_DEP_1) | instskip(NEXT) | instid1(VALU_DEP_1)
	v_sub_nc_u32_e32 v71, v70, v72
	v_lshrrev_b32_e32 v71, 1, v71
	s_delay_alu instid0(VALU_DEP_1) | instskip(NEXT) | instid1(VALU_DEP_1)
	v_add_nc_u32_e32 v71, v71, v72
	v_not_b32_e32 v73, v71
	v_lshl_add_u32 v74, v71, 2, v54
	v_add_nc_u32_e32 v75, 1, v71
	s_delay_alu instid0(VALU_DEP_3)
	v_lshl_add_u32 v73, v73, 2, v67
	ds_load_b32 v74, v74
	ds_load_b32 v73, v73
	s_wait_dscnt 0x0
	v_cmp_lt_i32_e64 s8, v73, v74
	s_wait_alu 0xf1ff
	s_delay_alu instid0(VALU_DEP_1) | instskip(SKIP_1) | instid1(VALU_DEP_1)
	v_cndmask_b32_e64 v70, v70, v71, s8
	v_cndmask_b32_e64 v72, v75, v72, s8
	v_cmp_ge_i32_e64 s8, v72, v70
	s_wait_alu 0xfffe
	s_or_b32 s10, s8, s10
	s_wait_alu 0xfffe
	s_and_not1_b32 exec_lo, exec_lo, s10
	s_cbranch_execnz .LBB36_100
; %bb.101:                              ;   in Loop: Header=BB36_2 Depth=1
	s_or_b32 exec_lo, exec_lo, s10
.LBB36_102:                             ;   in Loop: Header=BB36_2 Depth=1
	s_wait_alu 0xfffe
	s_or_b32 exec_lo, exec_lo, s9
	v_sub_nc_u32_e32 v74, v55, v72
	v_lshl_add_u32 v73, v72, 2, v54
	v_add_nc_u32_e32 v75, v72, v40
                                        ; implicit-def: $vgpr72
	s_delay_alu instid0(VALU_DEP_3) | instskip(SKIP_1) | instid1(VALU_DEP_3)
	v_lshlrev_b32_e32 v76, 2, v74
	v_cmp_gt_i32_e64 s10, v45, v74
	v_cmp_le_i32_e64 s8, v44, v75
	ds_load_b32 v70, v73
	ds_load_b32 v71, v76
	s_wait_dscnt 0x0
	v_cmp_lt_i32_e64 s9, v71, v70
	s_or_b32 s8, s8, s9
	s_wait_alu 0xfffe
	s_and_b32 s8, s10, s8
	s_wait_alu 0xfffe
	s_xor_b32 s9, s8, -1
	s_wait_alu 0xfffe
	s_and_saveexec_b32 s10, s9
	s_wait_alu 0xfffe
	s_xor_b32 s9, exec_lo, s10
; %bb.103:                              ;   in Loop: Header=BB36_2 Depth=1
	ds_load_b32 v72, v73 offset:4
                                        ; implicit-def: $vgpr76
; %bb.104:                              ;   in Loop: Header=BB36_2 Depth=1
	s_wait_alu 0xfffe
	s_or_saveexec_b32 s9, s9
	v_mov_b32_e32 v73, v71
	s_wait_alu 0xfffe
	s_xor_b32 exec_lo, exec_lo, s9
	s_cbranch_execz .LBB36_106
; %bb.105:                              ;   in Loop: Header=BB36_2 Depth=1
	ds_load_b32 v73, v76 offset:4
	s_wait_dscnt 0x1
	v_mov_b32_e32 v72, v70
.LBB36_106:                             ;   in Loop: Header=BB36_2 Depth=1
	s_or_b32 exec_lo, exec_lo, s9
	v_add_nc_u32_e32 v76, 1, v75
	v_add_nc_u32_e32 v78, 1, v74
	s_wait_dscnt 0x0
	v_cmp_lt_i32_e64 s10, v73, v72
	s_delay_alu instid0(VALU_DEP_3) | instskip(NEXT) | instid1(VALU_DEP_3)
	v_cndmask_b32_e64 v77, v76, v75, s8
	v_cndmask_b32_e64 v76, v74, v78, s8
                                        ; implicit-def: $vgpr74
	s_delay_alu instid0(VALU_DEP_2) | instskip(NEXT) | instid1(VALU_DEP_2)
	v_cmp_ge_i32_e64 s9, v77, v44
	v_cmp_lt_i32_e64 s11, v76, v45
	s_or_b32 s9, s9, s10
	s_wait_alu 0xfffe
	s_and_b32 s9, s11, s9
	s_wait_alu 0xfffe
	s_xor_b32 s10, s9, -1
	s_wait_alu 0xfffe
	s_and_saveexec_b32 s11, s10
	s_wait_alu 0xfffe
	s_xor_b32 s10, exec_lo, s11
; %bb.107:                              ;   in Loop: Header=BB36_2 Depth=1
	v_lshlrev_b32_e32 v74, 2, v77
	ds_load_b32 v74, v74 offset:4
; %bb.108:                              ;   in Loop: Header=BB36_2 Depth=1
	s_wait_alu 0xfffe
	s_or_saveexec_b32 s10, s10
	v_mov_b32_e32 v75, v73
	s_wait_alu 0xfffe
	s_xor_b32 exec_lo, exec_lo, s10
	s_cbranch_execz .LBB36_110
; %bb.109:                              ;   in Loop: Header=BB36_2 Depth=1
	s_wait_dscnt 0x0
	v_lshlrev_b32_e32 v74, 2, v76
	ds_load_b32 v75, v74 offset:4
	v_mov_b32_e32 v74, v72
.LBB36_110:                             ;   in Loop: Header=BB36_2 Depth=1
	s_or_b32 exec_lo, exec_lo, s10
	v_add_nc_u32_e32 v78, 1, v77
	v_add_nc_u32_e32 v79, 1, v76
	s_wait_dscnt 0x0
	v_cmp_lt_i32_e64 s11, v75, v74
	s_delay_alu instid0(VALU_DEP_3) | instskip(NEXT) | instid1(VALU_DEP_3)
	v_cndmask_b32_e64 v78, v78, v77, s9
	v_cndmask_b32_e64 v77, v76, v79, s9
                                        ; implicit-def: $vgpr76
	s_delay_alu instid0(VALU_DEP_2) | instskip(NEXT) | instid1(VALU_DEP_2)
	v_cmp_ge_i32_e64 s10, v78, v44
	v_cmp_lt_i32_e64 s12, v77, v45
	s_or_b32 s10, s10, s11
	s_wait_alu 0xfffe
	s_and_b32 s10, s12, s10
	s_wait_alu 0xfffe
	s_xor_b32 s11, s10, -1
	s_wait_alu 0xfffe
	s_and_saveexec_b32 s12, s11
	s_delay_alu instid0(SALU_CYCLE_1)
	s_xor_b32 s11, exec_lo, s12
; %bb.111:                              ;   in Loop: Header=BB36_2 Depth=1
	v_lshlrev_b32_e32 v76, 2, v78
	ds_load_b32 v76, v76 offset:4
; %bb.112:                              ;   in Loop: Header=BB36_2 Depth=1
	s_wait_alu 0xfffe
	s_or_saveexec_b32 s11, s11
	v_mov_b32_e32 v79, v75
	s_wait_alu 0xfffe
	s_xor_b32 exec_lo, exec_lo, s11
	s_cbranch_execz .LBB36_114
; %bb.113:                              ;   in Loop: Header=BB36_2 Depth=1
	s_wait_dscnt 0x0
	v_lshlrev_b32_e32 v76, 2, v77
	ds_load_b32 v79, v76 offset:4
	v_mov_b32_e32 v76, v74
.LBB36_114:                             ;   in Loop: Header=BB36_2 Depth=1
	s_or_b32 exec_lo, exec_lo, s11
	v_add_nc_u32_e32 v80, 1, v78
	v_add_nc_u32_e32 v81, 1, v77
	v_cndmask_b32_e64 v73, v72, v73, s9
	v_mov_b32_e32 v72, v52
	v_cndmask_b32_e64 v74, v74, v75, s10
	v_cndmask_b32_e64 v78, v80, v78, s10
	v_cndmask_b32_e64 v77, v77, v81, s10
	s_wait_dscnt 0x0
	v_cmp_lt_i32_e64 s10, v79, v76
	v_cndmask_b32_e64 v70, v70, v71, s8
	s_wait_loadcnt 0x0
	v_cmp_ge_i32_e64 s11, v78, v44
	v_cmp_lt_i32_e64 s9, v77, v45
	s_barrier_signal -1
	s_barrier_wait -1
	global_inv scope:SCOPE_SE
	s_or_b32 s8, s11, s10
	s_wait_alu 0xfffe
	s_and_b32 s8, s9, s8
	s_wait_alu 0xfffe
	v_cndmask_b32_e64 v71, v76, v79, s8
	ds_store_2addr_b32 v9, v70, v73 offset1:1
	ds_store_2addr_b32 v9, v74, v71 offset0:2 offset1:3
	s_wait_loadcnt_dscnt 0x0
	s_barrier_signal -1
	s_barrier_wait -1
	global_inv scope:SCOPE_SE
	s_and_saveexec_b32 s9, s6
	s_cbranch_execz .LBB36_118
; %bb.115:                              ;   in Loop: Header=BB36_2 Depth=1
	v_mov_b32_e32 v72, v52
	v_mov_b32_e32 v70, v53
	s_mov_b32 s10, 0
.LBB36_116:                             ;   Parent Loop BB36_2 Depth=1
                                        ; =>  This Inner Loop Header: Depth=2
	s_delay_alu instid0(VALU_DEP_1) | instskip(NEXT) | instid1(VALU_DEP_1)
	v_sub_nc_u32_e32 v71, v70, v72
	v_lshrrev_b32_e32 v71, 1, v71
	s_delay_alu instid0(VALU_DEP_1) | instskip(NEXT) | instid1(VALU_DEP_1)
	v_add_nc_u32_e32 v71, v71, v72
	v_not_b32_e32 v73, v71
	v_lshl_add_u32 v74, v71, 2, v56
	v_add_nc_u32_e32 v75, 1, v71
	s_delay_alu instid0(VALU_DEP_3)
	v_lshl_add_u32 v73, v73, 2, v68
	ds_load_b32 v74, v74
	ds_load_b32 v73, v73
	s_wait_dscnt 0x0
	v_cmp_lt_i32_e64 s8, v73, v74
	s_wait_alu 0xf1ff
	s_delay_alu instid0(VALU_DEP_1) | instskip(SKIP_1) | instid1(VALU_DEP_1)
	v_cndmask_b32_e64 v70, v70, v71, s8
	v_cndmask_b32_e64 v72, v75, v72, s8
	v_cmp_ge_i32_e64 s8, v72, v70
	s_wait_alu 0xfffe
	s_or_b32 s10, s8, s10
	s_wait_alu 0xfffe
	s_and_not1_b32 exec_lo, exec_lo, s10
	s_cbranch_execnz .LBB36_116
; %bb.117:                              ;   in Loop: Header=BB36_2 Depth=1
	s_or_b32 exec_lo, exec_lo, s10
.LBB36_118:                             ;   in Loop: Header=BB36_2 Depth=1
	s_wait_alu 0xfffe
	s_or_b32 exec_lo, exec_lo, s9
	v_sub_nc_u32_e32 v74, v59, v72
	v_lshl_add_u32 v73, v72, 2, v56
	v_add_nc_u32_e32 v75, v72, v42
                                        ; implicit-def: $vgpr72
	s_delay_alu instid0(VALU_DEP_3) | instskip(SKIP_1) | instid1(VALU_DEP_3)
	v_lshlrev_b32_e32 v76, 2, v74
	v_cmp_gt_i32_e64 s10, v48, v74
	v_cmp_le_i32_e64 s8, v47, v75
	ds_load_b32 v70, v73
	ds_load_b32 v71, v76
	s_wait_dscnt 0x0
	v_cmp_lt_i32_e64 s9, v71, v70
	s_or_b32 s8, s8, s9
	s_wait_alu 0xfffe
	s_and_b32 s8, s10, s8
	s_wait_alu 0xfffe
	s_xor_b32 s9, s8, -1
	s_wait_alu 0xfffe
	s_and_saveexec_b32 s10, s9
	s_wait_alu 0xfffe
	s_xor_b32 s9, exec_lo, s10
; %bb.119:                              ;   in Loop: Header=BB36_2 Depth=1
	ds_load_b32 v72, v73 offset:4
                                        ; implicit-def: $vgpr76
; %bb.120:                              ;   in Loop: Header=BB36_2 Depth=1
	s_wait_alu 0xfffe
	s_or_saveexec_b32 s9, s9
	v_mov_b32_e32 v73, v71
	s_wait_alu 0xfffe
	s_xor_b32 exec_lo, exec_lo, s9
	s_cbranch_execz .LBB36_122
; %bb.121:                              ;   in Loop: Header=BB36_2 Depth=1
	ds_load_b32 v73, v76 offset:4
	s_wait_dscnt 0x1
	v_mov_b32_e32 v72, v70
.LBB36_122:                             ;   in Loop: Header=BB36_2 Depth=1
	s_or_b32 exec_lo, exec_lo, s9
	v_add_nc_u32_e32 v76, 1, v75
	v_add_nc_u32_e32 v78, 1, v74
	s_wait_dscnt 0x0
	v_cmp_lt_i32_e64 s10, v73, v72
	s_delay_alu instid0(VALU_DEP_3) | instskip(NEXT) | instid1(VALU_DEP_3)
	v_cndmask_b32_e64 v77, v76, v75, s8
	v_cndmask_b32_e64 v76, v74, v78, s8
                                        ; implicit-def: $vgpr74
	s_delay_alu instid0(VALU_DEP_2) | instskip(NEXT) | instid1(VALU_DEP_2)
	v_cmp_ge_i32_e64 s9, v77, v47
	v_cmp_lt_i32_e64 s11, v76, v48
	s_or_b32 s9, s9, s10
	s_wait_alu 0xfffe
	s_and_b32 s9, s11, s9
	s_wait_alu 0xfffe
	s_xor_b32 s10, s9, -1
	s_wait_alu 0xfffe
	s_and_saveexec_b32 s11, s10
	s_wait_alu 0xfffe
	s_xor_b32 s10, exec_lo, s11
; %bb.123:                              ;   in Loop: Header=BB36_2 Depth=1
	v_lshlrev_b32_e32 v74, 2, v77
	ds_load_b32 v74, v74 offset:4
; %bb.124:                              ;   in Loop: Header=BB36_2 Depth=1
	s_wait_alu 0xfffe
	s_or_saveexec_b32 s10, s10
	v_mov_b32_e32 v75, v73
	s_wait_alu 0xfffe
	s_xor_b32 exec_lo, exec_lo, s10
	s_cbranch_execz .LBB36_126
; %bb.125:                              ;   in Loop: Header=BB36_2 Depth=1
	s_wait_dscnt 0x0
	v_lshlrev_b32_e32 v74, 2, v76
	ds_load_b32 v75, v74 offset:4
	v_mov_b32_e32 v74, v72
.LBB36_126:                             ;   in Loop: Header=BB36_2 Depth=1
	s_or_b32 exec_lo, exec_lo, s10
	v_add_nc_u32_e32 v78, 1, v77
	v_add_nc_u32_e32 v79, 1, v76
	s_wait_dscnt 0x0
	v_cmp_lt_i32_e64 s11, v75, v74
	s_delay_alu instid0(VALU_DEP_3) | instskip(NEXT) | instid1(VALU_DEP_3)
	v_cndmask_b32_e64 v78, v78, v77, s9
	v_cndmask_b32_e64 v77, v76, v79, s9
                                        ; implicit-def: $vgpr76
	s_delay_alu instid0(VALU_DEP_2) | instskip(NEXT) | instid1(VALU_DEP_2)
	v_cmp_ge_i32_e64 s10, v78, v47
	v_cmp_lt_i32_e64 s12, v77, v48
	s_or_b32 s10, s10, s11
	s_wait_alu 0xfffe
	s_and_b32 s10, s12, s10
	s_wait_alu 0xfffe
	s_xor_b32 s11, s10, -1
	s_wait_alu 0xfffe
	s_and_saveexec_b32 s12, s11
	s_delay_alu instid0(SALU_CYCLE_1)
	s_xor_b32 s11, exec_lo, s12
; %bb.127:                              ;   in Loop: Header=BB36_2 Depth=1
	v_lshlrev_b32_e32 v76, 2, v78
	ds_load_b32 v76, v76 offset:4
; %bb.128:                              ;   in Loop: Header=BB36_2 Depth=1
	s_wait_alu 0xfffe
	s_or_saveexec_b32 s11, s11
	v_mov_b32_e32 v79, v75
	s_wait_alu 0xfffe
	s_xor_b32 exec_lo, exec_lo, s11
	s_cbranch_execz .LBB36_130
; %bb.129:                              ;   in Loop: Header=BB36_2 Depth=1
	s_wait_dscnt 0x0
	v_lshlrev_b32_e32 v76, 2, v77
	ds_load_b32 v79, v76 offset:4
	v_mov_b32_e32 v76, v74
.LBB36_130:                             ;   in Loop: Header=BB36_2 Depth=1
	s_or_b32 exec_lo, exec_lo, s11
	v_add_nc_u32_e32 v80, 1, v78
	v_add_nc_u32_e32 v81, 1, v77
	v_cndmask_b32_e64 v75, v74, v75, s10
	v_mov_b32_e32 v74, v57
	v_cndmask_b32_e64 v72, v72, v73, s9
	v_cndmask_b32_e64 v78, v80, v78, s10
	;; [unrolled: 1-line block ×3, first 2 shown]
	s_wait_dscnt 0x0
	v_cmp_lt_i32_e64 s10, v79, v76
	v_cndmask_b32_e64 v70, v70, v71, s8
	s_wait_loadcnt 0x0
	v_cmp_ge_i32_e64 s11, v78, v47
	v_cmp_lt_i32_e64 s9, v77, v48
	s_barrier_signal -1
	s_barrier_wait -1
	global_inv scope:SCOPE_SE
	s_or_b32 s8, s11, s10
	s_wait_alu 0xfffe
	s_and_b32 s8, s9, s8
	s_wait_alu 0xfffe
	v_cndmask_b32_e64 v71, v76, v79, s8
	ds_store_2addr_b32 v9, v70, v72 offset1:1
	ds_store_2addr_b32 v9, v75, v71 offset0:2 offset1:3
	s_wait_loadcnt_dscnt 0x0
	s_barrier_signal -1
	s_barrier_wait -1
	global_inv scope:SCOPE_SE
	s_and_saveexec_b32 s9, s7
	s_cbranch_execz .LBB36_134
; %bb.131:                              ;   in Loop: Header=BB36_2 Depth=1
	v_mov_b32_e32 v74, v57
	v_mov_b32_e32 v70, v58
	s_mov_b32 s10, 0
.LBB36_132:                             ;   Parent Loop BB36_2 Depth=1
                                        ; =>  This Inner Loop Header: Depth=2
	s_delay_alu instid0(VALU_DEP_1) | instskip(NEXT) | instid1(VALU_DEP_1)
	v_sub_nc_u32_e32 v71, v70, v74
	v_lshrrev_b32_e32 v71, 1, v71
	s_delay_alu instid0(VALU_DEP_1) | instskip(NEXT) | instid1(VALU_DEP_1)
	v_add_nc_u32_e32 v71, v71, v74
	v_not_b32_e32 v72, v71
	v_lshlrev_b32_e32 v73, 2, v71
	v_add_nc_u32_e32 v75, 1, v71
	s_delay_alu instid0(VALU_DEP_3)
	v_lshl_add_u32 v72, v72, 2, v69
	ds_load_b32 v73, v73
	ds_load_b32 v72, v72
	s_wait_dscnt 0x0
	v_cmp_lt_i32_e64 s8, v72, v73
	s_wait_alu 0xf1ff
	s_delay_alu instid0(VALU_DEP_1) | instskip(SKIP_1) | instid1(VALU_DEP_1)
	v_cndmask_b32_e64 v70, v70, v71, s8
	v_cndmask_b32_e64 v74, v75, v74, s8
	v_cmp_ge_i32_e64 s8, v74, v70
	s_wait_alu 0xfffe
	s_or_b32 s10, s8, s10
	s_wait_alu 0xfffe
	s_and_not1_b32 exec_lo, exec_lo, s10
	s_cbranch_execnz .LBB36_132
; %bb.133:                              ;   in Loop: Header=BB36_2 Depth=1
	s_or_b32 exec_lo, exec_lo, s10
.LBB36_134:                             ;   in Loop: Header=BB36_2 Depth=1
	s_wait_alu 0xfffe
	s_or_b32 exec_lo, exec_lo, s9
	v_sub_nc_u32_e32 v75, v60, v74
	v_lshlrev_b32_e32 v73, 2, v74
	v_cmp_le_i32_e64 s8, 0x400, v74
                                        ; implicit-def: $vgpr72
	s_delay_alu instid0(VALU_DEP_3)
	v_lshlrev_b32_e32 v76, 2, v75
	v_cmp_gt_i32_e64 s10, 0x800, v75
	ds_load_b32 v70, v73
	ds_load_b32 v71, v76
	s_wait_dscnt 0x0
	v_cmp_lt_i32_e64 s9, v71, v70
	s_or_b32 s8, s8, s9
	s_wait_alu 0xfffe
	s_and_b32 s8, s10, s8
	s_wait_alu 0xfffe
	s_xor_b32 s9, s8, -1
	s_wait_alu 0xfffe
	s_and_saveexec_b32 s10, s9
	s_wait_alu 0xfffe
	s_xor_b32 s9, exec_lo, s10
; %bb.135:                              ;   in Loop: Header=BB36_2 Depth=1
	ds_load_b32 v72, v73 offset:4
                                        ; implicit-def: $vgpr76
; %bb.136:                              ;   in Loop: Header=BB36_2 Depth=1
	s_wait_alu 0xfffe
	s_or_saveexec_b32 s9, s9
	v_mov_b32_e32 v73, v71
	s_wait_alu 0xfffe
	s_xor_b32 exec_lo, exec_lo, s9
	s_cbranch_execz .LBB36_138
; %bb.137:                              ;   in Loop: Header=BB36_2 Depth=1
	ds_load_b32 v73, v76 offset:4
	s_wait_dscnt 0x1
	v_mov_b32_e32 v72, v70
.LBB36_138:                             ;   in Loop: Header=BB36_2 Depth=1
	s_or_b32 exec_lo, exec_lo, s9
	v_add_nc_u32_e32 v76, 1, v74
	v_add_nc_u32_e32 v78, 1, v75
	s_wait_dscnt 0x0
	v_cmp_lt_i32_e64 s10, v73, v72
	s_delay_alu instid0(VALU_DEP_3) | instskip(NEXT) | instid1(VALU_DEP_3)
	v_cndmask_b32_e64 v77, v76, v74, s8
	v_cndmask_b32_e64 v76, v75, v78, s8
                                        ; implicit-def: $vgpr74
	s_delay_alu instid0(VALU_DEP_2) | instskip(NEXT) | instid1(VALU_DEP_2)
	v_cmp_le_i32_e64 s9, 0x400, v77
	v_cmp_gt_i32_e64 s11, 0x800, v76
	s_or_b32 s9, s9, s10
	s_wait_alu 0xfffe
	s_and_b32 s9, s11, s9
	s_wait_alu 0xfffe
	s_xor_b32 s10, s9, -1
	s_wait_alu 0xfffe
	s_and_saveexec_b32 s11, s10
	s_wait_alu 0xfffe
	s_xor_b32 s10, exec_lo, s11
; %bb.139:                              ;   in Loop: Header=BB36_2 Depth=1
	v_lshlrev_b32_e32 v74, 2, v77
	ds_load_b32 v74, v74 offset:4
; %bb.140:                              ;   in Loop: Header=BB36_2 Depth=1
	s_wait_alu 0xfffe
	s_or_saveexec_b32 s10, s10
	v_mov_b32_e32 v75, v73
	s_wait_alu 0xfffe
	s_xor_b32 exec_lo, exec_lo, s10
	s_cbranch_execz .LBB36_142
; %bb.141:                              ;   in Loop: Header=BB36_2 Depth=1
	s_wait_dscnt 0x0
	v_lshlrev_b32_e32 v74, 2, v76
	ds_load_b32 v75, v74 offset:4
	v_mov_b32_e32 v74, v72
.LBB36_142:                             ;   in Loop: Header=BB36_2 Depth=1
	s_or_b32 exec_lo, exec_lo, s10
	v_add_nc_u32_e32 v78, 1, v77
	v_add_nc_u32_e32 v79, 1, v76
	s_wait_dscnt 0x0
	v_cmp_lt_i32_e64 s11, v75, v74
	s_delay_alu instid0(VALU_DEP_3) | instskip(NEXT) | instid1(VALU_DEP_3)
	v_cndmask_b32_e64 v78, v78, v77, s9
	v_cndmask_b32_e64 v76, v76, v79, s9
                                        ; implicit-def: $vgpr77
                                        ; implicit-def: $vgpr79
	s_delay_alu instid0(VALU_DEP_2) | instskip(NEXT) | instid1(VALU_DEP_2)
	v_cmp_le_i32_e64 s10, 0x400, v78
	v_cmp_gt_i32_e64 s12, 0x800, v76
	s_or_b32 s10, s10, s11
	s_wait_alu 0xfffe
	s_and_b32 s10, s12, s10
	s_wait_alu 0xfffe
	s_xor_b32 s11, s10, -1
	s_wait_alu 0xfffe
	s_and_saveexec_b32 s12, s11
	s_delay_alu instid0(SALU_CYCLE_1)
	s_xor_b32 s11, exec_lo, s12
; %bb.143:                              ;   in Loop: Header=BB36_2 Depth=1
	v_lshlrev_b32_e32 v77, 2, v78
	v_add_nc_u32_e32 v79, 1, v78
                                        ; implicit-def: $vgpr78
	ds_load_b32 v77, v77 offset:4
; %bb.144:                              ;   in Loop: Header=BB36_2 Depth=1
	s_wait_alu 0xfffe
	s_or_saveexec_b32 s11, s11
	v_mov_b32_e32 v80, v75
	s_wait_alu 0xfffe
	s_xor_b32 exec_lo, exec_lo, s11
	s_cbranch_execz .LBB36_1
; %bb.145:                              ;   in Loop: Header=BB36_2 Depth=1
	s_wait_dscnt 0x0
	v_lshlrev_b32_e32 v77, 2, v76
	v_dual_mov_b32 v79, v78 :: v_dual_add_nc_u32 v76, 1, v76
	ds_load_b32 v80, v77 offset:4
	v_mov_b32_e32 v77, v74
	s_branch .LBB36_1
.LBB36_146:
	v_lshlrev_b32_e32 v0, 2, v0
	s_add_nc_u64 s[0:1], s[14:15], s[18:19]
	s_clause 0x3
	global_store_b32 v0, v70, s[0:1]
	global_store_b32 v0, v71, s[0:1] offset:2048
	global_store_b32 v0, v72, s[0:1] offset:4096
	;; [unrolled: 1-line block ×3, first 2 shown]
	s_endpgm
	.section	.rodata,"a",@progbits
	.p2align	6, 0x0
	.amdhsa_kernel _Z16sort_keys_kernelIiLj512ELj4EN10test_utils4lessELj10EEvPKT_PS2_T2_
		.amdhsa_group_segment_fixed_size 8196
		.amdhsa_private_segment_fixed_size 0
		.amdhsa_kernarg_size 20
		.amdhsa_user_sgpr_count 2
		.amdhsa_user_sgpr_dispatch_ptr 0
		.amdhsa_user_sgpr_queue_ptr 0
		.amdhsa_user_sgpr_kernarg_segment_ptr 1
		.amdhsa_user_sgpr_dispatch_id 0
		.amdhsa_user_sgpr_private_segment_size 0
		.amdhsa_wavefront_size32 1
		.amdhsa_uses_dynamic_stack 0
		.amdhsa_enable_private_segment 0
		.amdhsa_system_sgpr_workgroup_id_x 1
		.amdhsa_system_sgpr_workgroup_id_y 0
		.amdhsa_system_sgpr_workgroup_id_z 0
		.amdhsa_system_sgpr_workgroup_info 0
		.amdhsa_system_vgpr_workitem_id 0
		.amdhsa_next_free_vgpr 82
		.amdhsa_next_free_sgpr 20
		.amdhsa_reserve_vcc 1
		.amdhsa_float_round_mode_32 0
		.amdhsa_float_round_mode_16_64 0
		.amdhsa_float_denorm_mode_32 3
		.amdhsa_float_denorm_mode_16_64 3
		.amdhsa_fp16_overflow 0
		.amdhsa_workgroup_processor_mode 1
		.amdhsa_memory_ordered 1
		.amdhsa_forward_progress 1
		.amdhsa_inst_pref_size 65
		.amdhsa_round_robin_scheduling 0
		.amdhsa_exception_fp_ieee_invalid_op 0
		.amdhsa_exception_fp_denorm_src 0
		.amdhsa_exception_fp_ieee_div_zero 0
		.amdhsa_exception_fp_ieee_overflow 0
		.amdhsa_exception_fp_ieee_underflow 0
		.amdhsa_exception_fp_ieee_inexact 0
		.amdhsa_exception_int_div_zero 0
	.end_amdhsa_kernel
	.section	.text._Z16sort_keys_kernelIiLj512ELj4EN10test_utils4lessELj10EEvPKT_PS2_T2_,"axG",@progbits,_Z16sort_keys_kernelIiLj512ELj4EN10test_utils4lessELj10EEvPKT_PS2_T2_,comdat
.Lfunc_end36:
	.size	_Z16sort_keys_kernelIiLj512ELj4EN10test_utils4lessELj10EEvPKT_PS2_T2_, .Lfunc_end36-_Z16sort_keys_kernelIiLj512ELj4EN10test_utils4lessELj10EEvPKT_PS2_T2_
                                        ; -- End function
	.set _Z16sort_keys_kernelIiLj512ELj4EN10test_utils4lessELj10EEvPKT_PS2_T2_.num_vgpr, 82
	.set _Z16sort_keys_kernelIiLj512ELj4EN10test_utils4lessELj10EEvPKT_PS2_T2_.num_agpr, 0
	.set _Z16sort_keys_kernelIiLj512ELj4EN10test_utils4lessELj10EEvPKT_PS2_T2_.numbered_sgpr, 20
	.set _Z16sort_keys_kernelIiLj512ELj4EN10test_utils4lessELj10EEvPKT_PS2_T2_.num_named_barrier, 0
	.set _Z16sort_keys_kernelIiLj512ELj4EN10test_utils4lessELj10EEvPKT_PS2_T2_.private_seg_size, 0
	.set _Z16sort_keys_kernelIiLj512ELj4EN10test_utils4lessELj10EEvPKT_PS2_T2_.uses_vcc, 1
	.set _Z16sort_keys_kernelIiLj512ELj4EN10test_utils4lessELj10EEvPKT_PS2_T2_.uses_flat_scratch, 0
	.set _Z16sort_keys_kernelIiLj512ELj4EN10test_utils4lessELj10EEvPKT_PS2_T2_.has_dyn_sized_stack, 0
	.set _Z16sort_keys_kernelIiLj512ELj4EN10test_utils4lessELj10EEvPKT_PS2_T2_.has_recursion, 0
	.set _Z16sort_keys_kernelIiLj512ELj4EN10test_utils4lessELj10EEvPKT_PS2_T2_.has_indirect_call, 0
	.section	.AMDGPU.csdata,"",@progbits
; Kernel info:
; codeLenInByte = 8272
; TotalNumSgprs: 22
; NumVgprs: 82
; ScratchSize: 0
; MemoryBound: 0
; FloatMode: 240
; IeeeMode: 1
; LDSByteSize: 8196 bytes/workgroup (compile time only)
; SGPRBlocks: 0
; VGPRBlocks: 10
; NumSGPRsForWavesPerEU: 22
; NumVGPRsForWavesPerEU: 82
; Occupancy: 16
; WaveLimiterHint : 1
; COMPUTE_PGM_RSRC2:SCRATCH_EN: 0
; COMPUTE_PGM_RSRC2:USER_SGPR: 2
; COMPUTE_PGM_RSRC2:TRAP_HANDLER: 0
; COMPUTE_PGM_RSRC2:TGID_X_EN: 1
; COMPUTE_PGM_RSRC2:TGID_Y_EN: 0
; COMPUTE_PGM_RSRC2:TGID_Z_EN: 0
; COMPUTE_PGM_RSRC2:TIDIG_COMP_CNT: 0
	.section	.text._Z17sort_pairs_kernelIiLj512ELj4EN10test_utils4lessELj10EEvPKT_PS2_T2_,"axG",@progbits,_Z17sort_pairs_kernelIiLj512ELj4EN10test_utils4lessELj10EEvPKT_PS2_T2_,comdat
	.protected	_Z17sort_pairs_kernelIiLj512ELj4EN10test_utils4lessELj10EEvPKT_PS2_T2_ ; -- Begin function _Z17sort_pairs_kernelIiLj512ELj4EN10test_utils4lessELj10EEvPKT_PS2_T2_
	.globl	_Z17sort_pairs_kernelIiLj512ELj4EN10test_utils4lessELj10EEvPKT_PS2_T2_
	.p2align	8
	.type	_Z17sort_pairs_kernelIiLj512ELj4EN10test_utils4lessELj10EEvPKT_PS2_T2_,@function
_Z17sort_pairs_kernelIiLj512ELj4EN10test_utils4lessELj10EEvPKT_PS2_T2_: ; @_Z17sort_pairs_kernelIiLj512ELj4EN10test_utils4lessELj10EEvPKT_PS2_T2_
; %bb.0:
	s_load_b128 s[20:23], s[0:1], 0x0
	s_lshl_b32 s18, ttmp9, 11
	s_mov_b32 s19, 0
	v_lshlrev_b32_e32 v12, 2, v0
	s_lshl_b64 s[24:25], s[18:19], 2
	v_lshlrev_b32_e32 v1, 4, v0
	s_delay_alu instid0(VALU_DEP_2)
	v_and_b32_e32 v2, 0x7f8, v12
	v_and_b32_e32 v3, 0x7f0, v12
	;; [unrolled: 1-line block ×5, first 2 shown]
	v_or_b32_e32 v13, 4, v2
	v_add_nc_u32_e32 v14, 8, v2
	v_or_b32_e32 v16, 8, v3
	v_add_nc_u32_e32 v17, 16, v3
	v_and_b32_e32 v5, 0x7c0, v12
	v_or_b32_e32 v19, 16, v4
	v_sub_nc_u32_e32 v69, v14, v13
	s_wait_kmcnt 0x0
	s_add_nc_u64 s[0:1], s[20:21], s[24:25]
	v_add_nc_u32_e32 v20, 32, v4
	s_clause 0x3
	global_load_b32 v76, v12, s[0:1]
	global_load_b32 v77, v12, s[0:1] offset:2048
	global_load_b32 v75, v12, s[0:1] offset:4096
	;; [unrolled: 1-line block ×3, first 2 shown]
	v_sub_nc_u32_e32 v53, v13, v2
	v_sub_nc_u32_e32 v71, v17, v16
	;; [unrolled: 1-line block ×3, first 2 shown]
	v_cmp_ge_i32_e64 s0, v61, v69
	v_and_b32_e32 v63, 28, v12
	v_and_b32_e32 v6, 0x780, v12
	v_or_b32_e32 v22, 32, v5
	v_add_nc_u32_e32 v23, 64, v5
	v_lshlrev_b32_e32 v45, 2, v61
	v_add_nc_u32_e32 v37, v13, v61
	v_sub_nc_u32_e32 v54, v16, v3
	v_sub_nc_u32_e32 v72, v20, v19
	v_min_i32_e32 v53, v61, v53
	v_sub_nc_u32_e32 v82, v62, v71
	v_cndmask_b32_e64 v61, 0, v81, s0
	v_cmp_ge_i32_e64 s0, v62, v71
	v_and_b32_e32 v64, 60, v12
	v_and_b32_e32 v7, 0x700, v12
	v_or_b32_e32 v25, 64, v6
	v_add_nc_u32_e32 v26, 0x80, v6
	v_lshlrev_b32_e32 v46, 2, v62
	v_add_nc_u32_e32 v38, v16, v62
	v_sub_nc_u32_e32 v55, v19, v4
	v_sub_nc_u32_e32 v73, v23, v22
	v_min_i32_e32 v54, v62, v54
	v_sub_nc_u32_e32 v83, v63, v72
	s_wait_alu 0xf1ff
	v_cndmask_b32_e64 v62, 0, v82, s0
	v_cmp_ge_i32_e64 s0, v63, v72
	v_and_b32_e32 v65, 0x7c, v12
	v_and_b32_e32 v8, 0x600, v12
	v_or_b32_e32 v28, 0x80, v7
	v_add_nc_u32_e32 v29, 0x100, v7
	v_lshlrev_b32_e32 v47, 2, v63
	v_add_nc_u32_e32 v39, v19, v63
	v_sub_nc_u32_e32 v56, v22, v5
	v_sub_nc_u32_e32 v74, v26, v25
	v_min_i32_e32 v55, v63, v55
	v_sub_nc_u32_e32 v84, v64, v73
	s_wait_alu 0xf1ff
	;; [unrolled: 13-line block ×3, first 2 shown]
	v_cndmask_b32_e64 v64, 0, v84, s0
	v_cmp_ge_i32_e64 s0, v65, v74
	v_and_b32_e32 v67, 0x1fc, v12
	v_or_b32_e32 v34, 0x200, v9
	v_add_nc_u32_e32 v35, 0x400, v9
	v_lshlrev_b32_e32 v49, 2, v65
	v_add_nc_u32_e32 v41, v25, v65
	v_sub_nc_u32_e32 v58, v28, v7
	v_sub_nc_u32_e32 v79, v32, v31
	v_min_i32_e32 v57, v65, v57
	v_sub_nc_u32_e32 v86, v66, v78
	s_wait_alu 0xf1ff
	v_cndmask_b32_e64 v65, 0, v85, s0
	v_cmp_ge_i32_e64 s0, v66, v78
	v_and_b32_e32 v68, 0x3fc, v12
	v_lshlrev_b32_e32 v50, 2, v66
	v_add_nc_u32_e32 v42, v28, v66
	v_sub_nc_u32_e32 v59, v31, v8
	v_sub_nc_u32_e32 v80, v35, v34
	v_min_i32_e32 v58, v66, v58
	v_sub_nc_u32_e32 v87, v67, v79
	s_wait_alu 0xf1ff
	v_cndmask_b32_e64 v66, 0, v86, s0
	v_cmp_ge_i32_e64 s0, v67, v79
	v_lshlrev_b32_e32 v51, 2, v67
	v_add_nc_u32_e32 v43, v31, v67
	v_sub_nc_u32_e32 v60, v34, v9
	v_min_i32_e32 v59, v67, v59
	v_sub_nc_u32_e32 v88, v68, v80
	s_wait_alu 0xf1ff
	v_cndmask_b32_e64 v67, 0, v87, s0
	v_cmp_ge_i32_e64 s0, v68, v80
	v_lshlrev_b32_e32 v52, 2, v68
	v_add_nc_u32_e32 v44, v34, v68
	v_min_i32_e32 v60, v68, v60
	v_subrev_nc_u32_e64 v10, 0x400, v12 clamp
	s_wait_alu 0xf1ff
	v_cndmask_b32_e64 v68, 0, v88, s0
	v_min_i32_e32 v11, 0x400, v12
	v_add_nc_u32_e32 v12, 0x400, v12
	v_lshlrev_b32_e32 v15, 2, v2
	v_lshlrev_b32_e32 v18, 2, v3
	;; [unrolled: 1-line block ×8, first 2 shown]
	v_lshl_add_u32 v45, v13, 2, v45
	v_lshl_add_u32 v46, v16, 2, v46
	;; [unrolled: 1-line block ×8, first 2 shown]
	v_cmp_lt_i32_e64 s0, v61, v53
	v_cmp_lt_i32_e64 s1, v62, v54
	;; [unrolled: 1-line block ×8, first 2 shown]
	v_add_nc_u32_e32 v69, 0x1000, v1
	v_cmp_lt_i32_e32 vcc_lo, v10, v11
	s_wait_loadcnt 0x3
	v_add_nc_u32_e32 v73, 1, v76
	s_wait_loadcnt 0x2
	v_add_nc_u32_e32 v74, 1, v77
	;; [unrolled: 2-line block ×4, first 2 shown]
	s_branch .LBB37_2
.LBB37_1:                               ;   in Loop: Header=BB37_2 Depth=1
	s_or_b32 exec_lo, exec_lo, s11
	v_cmp_le_i32_e64 s11, 0x400, v86
	s_wait_dscnt 0x0
	v_cmp_lt_i32_e64 s12, v89, v87
	v_cmp_gt_i32_e64 s13, 0x800, v84
	v_cndmask_b32_e64 v78, v70, v78, s8
	v_cndmask_b32_e64 v82, v82, v83, s9
	s_wait_loadcnt 0x0
	s_or_b32 s11, s11, s12
	s_barrier_signal -1
	s_wait_alu 0xfffe
	s_and_b32 s11, s13, s11
	s_barrier_wait -1
	s_wait_alu 0xfffe
	v_cndmask_b32_e64 v83, v86, v84, s11
	global_inv scope:SCOPE_SE
	ds_store_2addr_b32 v1, v71, v72 offset1:1
	ds_store_2addr_b32 v1, v73, v74 offset0:2 offset1:3
	v_lshlrev_b32_e32 v71, 2, v78
	v_lshlrev_b32_e32 v72, 2, v82
	;; [unrolled: 1-line block ×4, first 2 shown]
	s_wait_loadcnt_dscnt 0x0
	s_barrier_signal -1
	s_barrier_wait -1
	global_inv scope:SCOPE_SE
	ds_load_b32 v73, v71
	ds_load_b32 v74, v72
	;; [unrolled: 1-line block ×4, first 2 shown]
	v_cndmask_b32_e64 v70, v87, v89, s11
	v_cndmask_b32_e64 v76, v75, v76, s8
	;; [unrolled: 1-line block ×4, first 2 shown]
	s_add_co_i32 s19, s19, 1
	s_delay_alu instid0(SALU_CYCLE_1)
	s_cmp_eq_u32 s19, 10
	s_cbranch_scc1 .LBB37_146
.LBB37_2:                               ; =>This Loop Header: Depth=1
                                        ;     Child Loop BB37_4 Depth 2
                                        ;     Child Loop BB37_20 Depth 2
	;; [unrolled: 1-line block ×9, first 2 shown]
	v_cmp_lt_i32_e64 s9, v77, v76
	v_cmp_lt_i32_e64 s11, v70, v75
	v_min_i32_e32 v79, v70, v75
	s_barrier_signal -1
	s_wait_alu 0xf1ff
	v_cndmask_b32_e64 v78, v76, v77, s9
	v_cndmask_b32_e64 v76, v77, v76, s9
	v_cndmask_b32_e64 v77, v70, v75, s11
	v_cndmask_b32_e64 v70, v75, v70, s11
	s_barrier_wait -1
	global_inv scope:SCOPE_SE
	v_cmp_lt_i32_e64 s13, v79, v76
	v_min_i32_e32 v75, v79, v76
	s_wait_alu 0xf1ff
	s_delay_alu instid0(VALU_DEP_2) | instskip(SKIP_1) | instid1(VALU_DEP_3)
	v_cndmask_b32_e64 v70, v70, v76, s13
	v_cndmask_b32_e64 v76, v76, v79, s13
	v_cmp_lt_i32_e64 s8, v75, v78
	s_delay_alu instid0(VALU_DEP_3) | instskip(SKIP_2) | instid1(VALU_DEP_3)
	v_cmp_lt_i32_e64 s10, v77, v70
	v_min_i32_e32 v79, v77, v70
	s_wait_alu 0xf1ff
	v_cndmask_b32_e64 v76, v76, v78, s8
	v_cndmask_b32_e64 v75, v78, v75, s8
	;; [unrolled: 1-line block ×4, first 2 shown]
	s_delay_alu instid0(VALU_DEP_4) | instskip(SKIP_2) | instid1(VALU_DEP_2)
	v_cmp_lt_i32_e64 s12, v79, v76
	v_mov_b32_e32 v77, v61
	s_wait_alu 0xf1ff
	v_cndmask_b32_e64 v70, v70, v76, s12
	v_cndmask_b32_e64 v76, v76, v79, s12
	ds_store_2addr_b32 v1, v75, v76 offset1:1
	ds_store_2addr_b32 v1, v70, v78 offset0:2 offset1:3
	s_wait_loadcnt_dscnt 0x0
	s_barrier_signal -1
	s_barrier_wait -1
	global_inv scope:SCOPE_SE
	s_and_saveexec_b32 s15, s0
	s_cbranch_execz .LBB37_6
; %bb.3:                                ;   in Loop: Header=BB37_2 Depth=1
	v_dual_mov_b32 v77, v61 :: v_dual_mov_b32 v70, v53
	s_mov_b32 s16, 0
.LBB37_4:                               ;   Parent Loop BB37_2 Depth=1
                                        ; =>  This Inner Loop Header: Depth=2
	s_delay_alu instid0(VALU_DEP_1) | instskip(NEXT) | instid1(VALU_DEP_1)
	v_sub_nc_u32_e32 v75, v70, v77
	v_lshrrev_b32_e32 v75, 1, v75
	s_delay_alu instid0(VALU_DEP_1) | instskip(NEXT) | instid1(VALU_DEP_1)
	v_add_nc_u32_e32 v75, v75, v77
	v_not_b32_e32 v76, v75
	v_lshl_add_u32 v78, v75, 2, v15
	v_add_nc_u32_e32 v79, 1, v75
	s_delay_alu instid0(VALU_DEP_3)
	v_lshl_add_u32 v76, v76, 2, v45
	ds_load_b32 v78, v78
	ds_load_b32 v76, v76
	s_wait_dscnt 0x0
	v_cmp_lt_i32_e64 s14, v76, v78
	s_wait_alu 0xf1ff
	s_delay_alu instid0(VALU_DEP_1) | instskip(SKIP_1) | instid1(VALU_DEP_1)
	v_cndmask_b32_e64 v70, v70, v75, s14
	v_cndmask_b32_e64 v77, v79, v77, s14
	v_cmp_ge_i32_e64 s14, v77, v70
	s_wait_alu 0xfffe
	s_or_b32 s16, s14, s16
	s_wait_alu 0xfffe
	s_and_not1_b32 exec_lo, exec_lo, s16
	s_cbranch_execnz .LBB37_4
; %bb.5:                                ;   in Loop: Header=BB37_2 Depth=1
	s_or_b32 exec_lo, exec_lo, s16
.LBB37_6:                               ;   in Loop: Header=BB37_2 Depth=1
	s_wait_alu 0xfffe
	s_or_b32 exec_lo, exec_lo, s15
	v_sub_nc_u32_e32 v70, v37, v77
	v_lshl_add_u32 v78, v77, 2, v15
	v_add_nc_u32_e32 v79, v77, v2
                                        ; implicit-def: $vgpr77
	s_delay_alu instid0(VALU_DEP_3) | instskip(SKIP_1) | instid1(VALU_DEP_3)
	v_lshlrev_b32_e32 v80, 2, v70
	v_cmp_gt_i32_e64 s16, v14, v70
	v_cmp_le_i32_e64 s14, v13, v79
	ds_load_b32 v75, v78
	ds_load_b32 v76, v80
	s_wait_dscnt 0x0
	v_cmp_lt_i32_e64 s15, v76, v75
	s_or_b32 s14, s14, s15
	s_wait_alu 0xfffe
	s_and_b32 s14, s16, s14
	s_wait_alu 0xfffe
	s_xor_b32 s15, s14, -1
	s_wait_alu 0xfffe
	s_and_saveexec_b32 s16, s15
	s_wait_alu 0xfffe
	s_xor_b32 s15, exec_lo, s16
; %bb.7:                                ;   in Loop: Header=BB37_2 Depth=1
	ds_load_b32 v77, v78 offset:4
                                        ; implicit-def: $vgpr80
; %bb.8:                                ;   in Loop: Header=BB37_2 Depth=1
	s_wait_alu 0xfffe
	s_or_saveexec_b32 s15, s15
	v_mov_b32_e32 v78, v76
	s_wait_alu 0xfffe
	s_xor_b32 exec_lo, exec_lo, s15
	s_cbranch_execz .LBB37_10
; %bb.9:                                ;   in Loop: Header=BB37_2 Depth=1
	ds_load_b32 v78, v80 offset:4
	s_wait_dscnt 0x1
	v_mov_b32_e32 v77, v75
.LBB37_10:                              ;   in Loop: Header=BB37_2 Depth=1
	s_or_b32 exec_lo, exec_lo, s15
	v_add_nc_u32_e32 v80, 1, v79
	v_add_nc_u32_e32 v81, 1, v70
	s_wait_dscnt 0x0
	v_cmp_lt_i32_e64 s16, v78, v77
	s_delay_alu instid0(VALU_DEP_3) | instskip(NEXT) | instid1(VALU_DEP_3)
	v_cndmask_b32_e64 v82, v80, v79, s14
	v_cndmask_b32_e64 v83, v70, v81, s14
                                        ; implicit-def: $vgpr80
	s_delay_alu instid0(VALU_DEP_2) | instskip(NEXT) | instid1(VALU_DEP_2)
	v_cmp_ge_i32_e64 s15, v82, v13
	v_cmp_lt_i32_e64 s17, v83, v14
	s_or_b32 s15, s15, s16
	s_wait_alu 0xfffe
	s_and_b32 s15, s17, s15
	s_wait_alu 0xfffe
	s_xor_b32 s16, s15, -1
	s_wait_alu 0xfffe
	s_and_saveexec_b32 s17, s16
	s_wait_alu 0xfffe
	s_xor_b32 s16, exec_lo, s17
; %bb.11:                               ;   in Loop: Header=BB37_2 Depth=1
	v_lshlrev_b32_e32 v80, 2, v82
	ds_load_b32 v80, v80 offset:4
; %bb.12:                               ;   in Loop: Header=BB37_2 Depth=1
	s_wait_alu 0xfffe
	s_or_saveexec_b32 s16, s16
	v_mov_b32_e32 v81, v78
	s_wait_alu 0xfffe
	s_xor_b32 exec_lo, exec_lo, s16
	s_cbranch_execz .LBB37_14
; %bb.13:                               ;   in Loop: Header=BB37_2 Depth=1
	s_wait_dscnt 0x0
	v_lshlrev_b32_e32 v80, 2, v83
	ds_load_b32 v81, v80 offset:4
	v_mov_b32_e32 v80, v77
.LBB37_14:                              ;   in Loop: Header=BB37_2 Depth=1
	s_or_b32 exec_lo, exec_lo, s16
	v_add_nc_u32_e32 v84, 1, v82
	v_add_nc_u32_e32 v86, 1, v83
	s_wait_dscnt 0x0
	v_cmp_lt_i32_e64 s17, v81, v80
	s_delay_alu instid0(VALU_DEP_3) | instskip(NEXT) | instid1(VALU_DEP_3)
	v_cndmask_b32_e64 v85, v84, v82, s15
	v_cndmask_b32_e64 v86, v83, v86, s15
                                        ; implicit-def: $vgpr84
	s_delay_alu instid0(VALU_DEP_2) | instskip(NEXT) | instid1(VALU_DEP_2)
	v_cmp_ge_i32_e64 s16, v85, v13
	v_cmp_lt_i32_e64 s18, v86, v14
	s_or_b32 s16, s16, s17
	s_wait_alu 0xfffe
	s_and_b32 s16, s18, s16
	s_wait_alu 0xfffe
	s_xor_b32 s17, s16, -1
	s_wait_alu 0xfffe
	s_and_saveexec_b32 s18, s17
	s_delay_alu instid0(SALU_CYCLE_1)
	s_xor_b32 s17, exec_lo, s18
; %bb.15:                               ;   in Loop: Header=BB37_2 Depth=1
	v_lshlrev_b32_e32 v84, 2, v85
	ds_load_b32 v84, v84 offset:4
; %bb.16:                               ;   in Loop: Header=BB37_2 Depth=1
	s_wait_alu 0xfffe
	s_or_saveexec_b32 s17, s17
	v_mov_b32_e32 v87, v81
	s_wait_alu 0xfffe
	s_xor_b32 exec_lo, exec_lo, s17
	s_cbranch_execz .LBB37_18
; %bb.17:                               ;   in Loop: Header=BB37_2 Depth=1
	s_wait_dscnt 0x0
	v_lshlrev_b32_e32 v84, 2, v86
	ds_load_b32 v87, v84 offset:4
	v_mov_b32_e32 v84, v80
.LBB37_18:                              ;   in Loop: Header=BB37_2 Depth=1
	s_or_b32 exec_lo, exec_lo, s17
	v_add_nc_u32_e32 v89, 1, v85
	v_add_nc_u32_e32 v88, 1, v86
	v_cndmask_b32_e64 v90, v74, v73, s9
	v_cndmask_b32_e64 v91, v71, v72, s11
	;; [unrolled: 1-line block ×3, first 2 shown]
	v_mov_b32_e32 v76, v62
	v_cndmask_b32_e64 v89, v89, v85, s16
	v_cndmask_b32_e64 v88, v86, v88, s16
	;; [unrolled: 1-line block ×6, first 2 shown]
	v_cmp_ge_i32_e64 s9, v89, v13
	s_wait_dscnt 0x0
	v_cmp_lt_i32_e64 s11, v87, v84
	v_cndmask_b32_e64 v82, v82, v83, s15
	v_cndmask_b32_e64 v70, v79, v70, s14
	;; [unrolled: 1-line block ×5, first 2 shown]
	v_cmp_lt_i32_e64 s8, v88, v14
	s_or_b32 s9, s9, s11
	v_cndmask_b32_e64 v71, v71, v74, s10
	v_cndmask_b32_e64 v74, v79, v83, s12
	;; [unrolled: 1-line block ×3, first 2 shown]
	s_wait_alu 0xfffe
	s_and_b32 s8, s8, s9
	v_cndmask_b32_e64 v73, v83, v79, s12
	s_wait_alu 0xfffe
	v_cndmask_b32_e64 v83, v89, v88, s8
	v_lshlrev_b32_e32 v70, 2, v70
	s_wait_loadcnt 0x0
	s_barrier_signal -1
	s_barrier_wait -1
	global_inv scope:SCOPE_SE
	ds_store_2addr_b32 v1, v72, v74 offset1:1
	ds_store_2addr_b32 v1, v73, v71 offset0:2 offset1:3
	v_lshlrev_b32_e32 v71, 2, v82
	v_lshlrev_b32_e32 v72, 2, v85
	;; [unrolled: 1-line block ×3, first 2 shown]
	s_wait_loadcnt_dscnt 0x0
	s_barrier_signal -1
	s_barrier_wait -1
	global_inv scope:SCOPE_SE
	ds_load_b32 v70, v70
	ds_load_b32 v71, v71
	ds_load_b32 v72, v72
	ds_load_b32 v73, v73
	v_cndmask_b32_e64 v77, v77, v78, s15
	v_cndmask_b32_e64 v79, v84, v87, s8
	;; [unrolled: 1-line block ×3, first 2 shown]
	s_wait_loadcnt_dscnt 0x0
	s_barrier_signal -1
	s_barrier_wait -1
	global_inv scope:SCOPE_SE
	ds_store_2addr_b32 v1, v75, v77 offset1:1
	ds_store_2addr_b32 v1, v74, v79 offset0:2 offset1:3
	s_wait_loadcnt_dscnt 0x0
	s_barrier_signal -1
	s_barrier_wait -1
	global_inv scope:SCOPE_SE
	s_and_saveexec_b32 s9, s1
	s_cbranch_execz .LBB37_22
; %bb.19:                               ;   in Loop: Header=BB37_2 Depth=1
	v_mov_b32_e32 v76, v62
	v_mov_b32_e32 v74, v54
	s_mov_b32 s10, 0
.LBB37_20:                              ;   Parent Loop BB37_2 Depth=1
                                        ; =>  This Inner Loop Header: Depth=2
	s_delay_alu instid0(VALU_DEP_1) | instskip(NEXT) | instid1(VALU_DEP_1)
	v_sub_nc_u32_e32 v75, v74, v76
	v_lshrrev_b32_e32 v75, 1, v75
	s_delay_alu instid0(VALU_DEP_1) | instskip(NEXT) | instid1(VALU_DEP_1)
	v_add_nc_u32_e32 v75, v75, v76
	v_not_b32_e32 v77, v75
	v_lshl_add_u32 v78, v75, 2, v18
	v_add_nc_u32_e32 v79, 1, v75
	s_delay_alu instid0(VALU_DEP_3)
	v_lshl_add_u32 v77, v77, 2, v46
	ds_load_b32 v78, v78
	ds_load_b32 v77, v77
	s_wait_dscnt 0x0
	v_cmp_lt_i32_e64 s8, v77, v78
	s_wait_alu 0xf1ff
	s_delay_alu instid0(VALU_DEP_1) | instskip(SKIP_1) | instid1(VALU_DEP_1)
	v_cndmask_b32_e64 v74, v74, v75, s8
	v_cndmask_b32_e64 v76, v79, v76, s8
	v_cmp_ge_i32_e64 s8, v76, v74
	s_wait_alu 0xfffe
	s_or_b32 s10, s8, s10
	s_wait_alu 0xfffe
	s_and_not1_b32 exec_lo, exec_lo, s10
	s_cbranch_execnz .LBB37_20
; %bb.21:                               ;   in Loop: Header=BB37_2 Depth=1
	s_or_b32 exec_lo, exec_lo, s10
.LBB37_22:                              ;   in Loop: Header=BB37_2 Depth=1
	s_wait_alu 0xfffe
	s_or_b32 exec_lo, exec_lo, s9
	v_sub_nc_u32_e32 v78, v38, v76
	v_lshl_add_u32 v77, v76, 2, v18
	v_add_nc_u32_e32 v79, v76, v3
                                        ; implicit-def: $vgpr76
	s_delay_alu instid0(VALU_DEP_3) | instskip(SKIP_1) | instid1(VALU_DEP_3)
	v_lshlrev_b32_e32 v80, 2, v78
	v_cmp_gt_i32_e64 s10, v17, v78
	v_cmp_le_i32_e64 s8, v16, v79
	ds_load_b32 v74, v77
	ds_load_b32 v75, v80
	s_wait_dscnt 0x0
	v_cmp_lt_i32_e64 s9, v75, v74
	s_or_b32 s8, s8, s9
	s_wait_alu 0xfffe
	s_and_b32 s8, s10, s8
	s_wait_alu 0xfffe
	s_xor_b32 s9, s8, -1
	s_wait_alu 0xfffe
	s_and_saveexec_b32 s10, s9
	s_wait_alu 0xfffe
	s_xor_b32 s9, exec_lo, s10
; %bb.23:                               ;   in Loop: Header=BB37_2 Depth=1
	ds_load_b32 v76, v77 offset:4
                                        ; implicit-def: $vgpr80
; %bb.24:                               ;   in Loop: Header=BB37_2 Depth=1
	s_wait_alu 0xfffe
	s_or_saveexec_b32 s9, s9
	v_mov_b32_e32 v77, v75
	s_wait_alu 0xfffe
	s_xor_b32 exec_lo, exec_lo, s9
	s_cbranch_execz .LBB37_26
; %bb.25:                               ;   in Loop: Header=BB37_2 Depth=1
	ds_load_b32 v77, v80 offset:4
	s_wait_dscnt 0x1
	v_mov_b32_e32 v76, v74
.LBB37_26:                              ;   in Loop: Header=BB37_2 Depth=1
	s_or_b32 exec_lo, exec_lo, s9
	v_add_nc_u32_e32 v80, 1, v79
	v_add_nc_u32_e32 v81, 1, v78
	s_wait_dscnt 0x0
	v_cmp_lt_i32_e64 s10, v77, v76
	s_delay_alu instid0(VALU_DEP_3) | instskip(NEXT) | instid1(VALU_DEP_3)
	v_cndmask_b32_e64 v82, v80, v79, s8
	v_cndmask_b32_e64 v83, v78, v81, s8
                                        ; implicit-def: $vgpr80
	s_delay_alu instid0(VALU_DEP_2) | instskip(NEXT) | instid1(VALU_DEP_2)
	v_cmp_ge_i32_e64 s9, v82, v16
	v_cmp_lt_i32_e64 s11, v83, v17
	s_or_b32 s9, s9, s10
	s_wait_alu 0xfffe
	s_and_b32 s9, s11, s9
	s_wait_alu 0xfffe
	s_xor_b32 s10, s9, -1
	s_wait_alu 0xfffe
	s_and_saveexec_b32 s11, s10
	s_wait_alu 0xfffe
	s_xor_b32 s10, exec_lo, s11
; %bb.27:                               ;   in Loop: Header=BB37_2 Depth=1
	v_lshlrev_b32_e32 v80, 2, v82
	ds_load_b32 v80, v80 offset:4
; %bb.28:                               ;   in Loop: Header=BB37_2 Depth=1
	s_wait_alu 0xfffe
	s_or_saveexec_b32 s10, s10
	v_mov_b32_e32 v81, v77
	s_wait_alu 0xfffe
	s_xor_b32 exec_lo, exec_lo, s10
	s_cbranch_execz .LBB37_30
; %bb.29:                               ;   in Loop: Header=BB37_2 Depth=1
	s_wait_dscnt 0x0
	v_lshlrev_b32_e32 v80, 2, v83
	ds_load_b32 v81, v80 offset:4
	v_mov_b32_e32 v80, v76
.LBB37_30:                              ;   in Loop: Header=BB37_2 Depth=1
	s_or_b32 exec_lo, exec_lo, s10
	v_add_nc_u32_e32 v84, 1, v82
	v_add_nc_u32_e32 v85, 1, v83
	s_wait_dscnt 0x0
	v_cmp_lt_i32_e64 s11, v81, v80
	s_delay_alu instid0(VALU_DEP_3) | instskip(NEXT) | instid1(VALU_DEP_3)
	v_cndmask_b32_e64 v86, v84, v82, s9
	v_cndmask_b32_e64 v85, v83, v85, s9
                                        ; implicit-def: $vgpr84
	s_delay_alu instid0(VALU_DEP_2) | instskip(NEXT) | instid1(VALU_DEP_2)
	v_cmp_ge_i32_e64 s10, v86, v16
	v_cmp_lt_i32_e64 s12, v85, v17
	s_or_b32 s10, s10, s11
	s_wait_alu 0xfffe
	s_and_b32 s10, s12, s10
	s_wait_alu 0xfffe
	s_xor_b32 s11, s10, -1
	s_wait_alu 0xfffe
	s_and_saveexec_b32 s12, s11
	s_wait_alu 0xfffe
	s_xor_b32 s11, exec_lo, s12
; %bb.31:                               ;   in Loop: Header=BB37_2 Depth=1
	v_lshlrev_b32_e32 v84, 2, v86
	ds_load_b32 v84, v84 offset:4
; %bb.32:                               ;   in Loop: Header=BB37_2 Depth=1
	s_wait_alu 0xfffe
	s_or_saveexec_b32 s11, s11
	v_mov_b32_e32 v87, v81
	s_wait_alu 0xfffe
	s_xor_b32 exec_lo, exec_lo, s11
	s_cbranch_execz .LBB37_34
; %bb.33:                               ;   in Loop: Header=BB37_2 Depth=1
	s_wait_dscnt 0x0
	v_lshlrev_b32_e32 v84, 2, v85
	ds_load_b32 v87, v84 offset:4
	v_mov_b32_e32 v84, v80
.LBB37_34:                              ;   in Loop: Header=BB37_2 Depth=1
	s_or_b32 exec_lo, exec_lo, s11
	v_add_nc_u32_e32 v88, 1, v86
	v_add_nc_u32_e32 v89, 1, v85
	v_cndmask_b32_e64 v82, v82, v83, s9
	v_cndmask_b32_e64 v78, v79, v78, s8
	s_wait_dscnt 0x0
	v_cmp_lt_i32_e64 s11, v87, v84
	v_cndmask_b32_e64 v83, v88, v86, s10
	v_cndmask_b32_e64 v79, v85, v89, s10
	v_cndmask_b32_e64 v90, v86, v85, s10
	s_wait_loadcnt 0x0
	s_barrier_signal -1
	v_cmp_ge_i32_e64 s12, v83, v16
	v_cmp_lt_i32_e64 s13, v79, v17
	s_barrier_wait -1
	global_inv scope:SCOPE_SE
	ds_store_2addr_b32 v1, v70, v71 offset1:1
	ds_store_2addr_b32 v1, v72, v73 offset0:2 offset1:3
	s_or_b32 s11, s12, s11
	v_lshlrev_b32_e32 v71, 2, v78
	s_wait_alu 0xfffe
	s_and_b32 s11, s13, s11
	v_lshlrev_b32_e32 v72, 2, v82
	s_wait_alu 0xfffe
	v_cndmask_b32_e64 v70, v83, v79, s11
	v_lshlrev_b32_e32 v73, 2, v90
	s_wait_loadcnt_dscnt 0x0
	s_barrier_signal -1
	s_barrier_wait -1
	v_lshlrev_b32_e32 v78, 2, v70
	global_inv scope:SCOPE_SE
	ds_load_b32 v70, v71
	ds_load_b32 v71, v72
	;; [unrolled: 1-line block ×4, first 2 shown]
	v_cndmask_b32_e64 v76, v76, v77, s9
	v_cndmask_b32_e64 v74, v74, v75, s8
	;; [unrolled: 1-line block ×4, first 2 shown]
	s_wait_loadcnt_dscnt 0x0
	s_barrier_signal -1
	s_barrier_wait -1
	global_inv scope:SCOPE_SE
	ds_store_2addr_b32 v1, v74, v76 offset1:1
	ds_store_2addr_b32 v1, v78, v84 offset0:2 offset1:3
	v_mov_b32_e32 v76, v63
	s_wait_loadcnt_dscnt 0x0
	s_barrier_signal -1
	s_barrier_wait -1
	global_inv scope:SCOPE_SE
	s_and_saveexec_b32 s9, s2
	s_cbranch_execz .LBB37_38
; %bb.35:                               ;   in Loop: Header=BB37_2 Depth=1
	v_mov_b32_e32 v76, v63
	v_mov_b32_e32 v74, v55
	s_mov_b32 s10, 0
.LBB37_36:                              ;   Parent Loop BB37_2 Depth=1
                                        ; =>  This Inner Loop Header: Depth=2
	s_delay_alu instid0(VALU_DEP_1) | instskip(NEXT) | instid1(VALU_DEP_1)
	v_sub_nc_u32_e32 v75, v74, v76
	v_lshrrev_b32_e32 v75, 1, v75
	s_delay_alu instid0(VALU_DEP_1) | instskip(NEXT) | instid1(VALU_DEP_1)
	v_add_nc_u32_e32 v75, v75, v76
	v_not_b32_e32 v77, v75
	v_lshl_add_u32 v78, v75, 2, v21
	v_add_nc_u32_e32 v79, 1, v75
	s_delay_alu instid0(VALU_DEP_3)
	v_lshl_add_u32 v77, v77, 2, v47
	ds_load_b32 v78, v78
	ds_load_b32 v77, v77
	s_wait_dscnt 0x0
	v_cmp_lt_i32_e64 s8, v77, v78
	s_wait_alu 0xf1ff
	s_delay_alu instid0(VALU_DEP_1) | instskip(SKIP_1) | instid1(VALU_DEP_1)
	v_cndmask_b32_e64 v74, v74, v75, s8
	v_cndmask_b32_e64 v76, v79, v76, s8
	v_cmp_ge_i32_e64 s8, v76, v74
	s_wait_alu 0xfffe
	s_or_b32 s10, s8, s10
	s_wait_alu 0xfffe
	s_and_not1_b32 exec_lo, exec_lo, s10
	s_cbranch_execnz .LBB37_36
; %bb.37:                               ;   in Loop: Header=BB37_2 Depth=1
	s_or_b32 exec_lo, exec_lo, s10
.LBB37_38:                              ;   in Loop: Header=BB37_2 Depth=1
	s_wait_alu 0xfffe
	s_or_b32 exec_lo, exec_lo, s9
	v_sub_nc_u32_e32 v78, v39, v76
	v_lshl_add_u32 v77, v76, 2, v21
	v_add_nc_u32_e32 v79, v76, v4
                                        ; implicit-def: $vgpr76
	s_delay_alu instid0(VALU_DEP_3) | instskip(SKIP_1) | instid1(VALU_DEP_3)
	v_lshlrev_b32_e32 v80, 2, v78
	v_cmp_gt_i32_e64 s10, v20, v78
	v_cmp_le_i32_e64 s8, v19, v79
	ds_load_b32 v74, v77
	ds_load_b32 v75, v80
	s_wait_dscnt 0x0
	v_cmp_lt_i32_e64 s9, v75, v74
	s_or_b32 s8, s8, s9
	s_wait_alu 0xfffe
	s_and_b32 s8, s10, s8
	s_wait_alu 0xfffe
	s_xor_b32 s9, s8, -1
	s_wait_alu 0xfffe
	s_and_saveexec_b32 s10, s9
	s_wait_alu 0xfffe
	s_xor_b32 s9, exec_lo, s10
; %bb.39:                               ;   in Loop: Header=BB37_2 Depth=1
	ds_load_b32 v76, v77 offset:4
                                        ; implicit-def: $vgpr80
; %bb.40:                               ;   in Loop: Header=BB37_2 Depth=1
	s_wait_alu 0xfffe
	s_or_saveexec_b32 s9, s9
	v_mov_b32_e32 v77, v75
	s_wait_alu 0xfffe
	s_xor_b32 exec_lo, exec_lo, s9
	s_cbranch_execz .LBB37_42
; %bb.41:                               ;   in Loop: Header=BB37_2 Depth=1
	ds_load_b32 v77, v80 offset:4
	s_wait_dscnt 0x1
	v_mov_b32_e32 v76, v74
.LBB37_42:                              ;   in Loop: Header=BB37_2 Depth=1
	s_or_b32 exec_lo, exec_lo, s9
	v_add_nc_u32_e32 v80, 1, v79
	v_add_nc_u32_e32 v81, 1, v78
	s_wait_dscnt 0x0
	v_cmp_lt_i32_e64 s10, v77, v76
	s_delay_alu instid0(VALU_DEP_3) | instskip(NEXT) | instid1(VALU_DEP_3)
	v_cndmask_b32_e64 v82, v80, v79, s8
	v_cndmask_b32_e64 v83, v78, v81, s8
                                        ; implicit-def: $vgpr80
	s_delay_alu instid0(VALU_DEP_2) | instskip(NEXT) | instid1(VALU_DEP_2)
	v_cmp_ge_i32_e64 s9, v82, v19
	v_cmp_lt_i32_e64 s11, v83, v20
	s_or_b32 s9, s9, s10
	s_wait_alu 0xfffe
	s_and_b32 s9, s11, s9
	s_wait_alu 0xfffe
	s_xor_b32 s10, s9, -1
	s_wait_alu 0xfffe
	s_and_saveexec_b32 s11, s10
	s_wait_alu 0xfffe
	s_xor_b32 s10, exec_lo, s11
; %bb.43:                               ;   in Loop: Header=BB37_2 Depth=1
	v_lshlrev_b32_e32 v80, 2, v82
	ds_load_b32 v80, v80 offset:4
; %bb.44:                               ;   in Loop: Header=BB37_2 Depth=1
	s_wait_alu 0xfffe
	s_or_saveexec_b32 s10, s10
	v_mov_b32_e32 v81, v77
	s_wait_alu 0xfffe
	s_xor_b32 exec_lo, exec_lo, s10
	s_cbranch_execz .LBB37_46
; %bb.45:                               ;   in Loop: Header=BB37_2 Depth=1
	s_wait_dscnt 0x0
	v_lshlrev_b32_e32 v80, 2, v83
	ds_load_b32 v81, v80 offset:4
	v_mov_b32_e32 v80, v76
.LBB37_46:                              ;   in Loop: Header=BB37_2 Depth=1
	s_or_b32 exec_lo, exec_lo, s10
	v_add_nc_u32_e32 v84, 1, v82
	v_add_nc_u32_e32 v85, 1, v83
	s_wait_dscnt 0x0
	v_cmp_lt_i32_e64 s11, v81, v80
	s_delay_alu instid0(VALU_DEP_3) | instskip(NEXT) | instid1(VALU_DEP_3)
	v_cndmask_b32_e64 v86, v84, v82, s9
	v_cndmask_b32_e64 v85, v83, v85, s9
                                        ; implicit-def: $vgpr84
	s_delay_alu instid0(VALU_DEP_2) | instskip(NEXT) | instid1(VALU_DEP_2)
	v_cmp_ge_i32_e64 s10, v86, v19
	v_cmp_lt_i32_e64 s12, v85, v20
	s_or_b32 s10, s10, s11
	s_wait_alu 0xfffe
	s_and_b32 s10, s12, s10
	s_wait_alu 0xfffe
	s_xor_b32 s11, s10, -1
	s_wait_alu 0xfffe
	s_and_saveexec_b32 s12, s11
	s_wait_alu 0xfffe
	s_xor_b32 s11, exec_lo, s12
; %bb.47:                               ;   in Loop: Header=BB37_2 Depth=1
	v_lshlrev_b32_e32 v84, 2, v86
	ds_load_b32 v84, v84 offset:4
; %bb.48:                               ;   in Loop: Header=BB37_2 Depth=1
	s_wait_alu 0xfffe
	s_or_saveexec_b32 s11, s11
	v_mov_b32_e32 v87, v81
	s_wait_alu 0xfffe
	s_xor_b32 exec_lo, exec_lo, s11
	s_cbranch_execz .LBB37_50
; %bb.49:                               ;   in Loop: Header=BB37_2 Depth=1
	s_wait_dscnt 0x0
	v_lshlrev_b32_e32 v84, 2, v85
	ds_load_b32 v87, v84 offset:4
	v_mov_b32_e32 v84, v80
.LBB37_50:                              ;   in Loop: Header=BB37_2 Depth=1
	s_or_b32 exec_lo, exec_lo, s11
	v_add_nc_u32_e32 v88, 1, v86
	v_add_nc_u32_e32 v89, 1, v85
	v_cndmask_b32_e64 v82, v82, v83, s9
	v_cndmask_b32_e64 v78, v79, v78, s8
	s_wait_dscnt 0x0
	v_cmp_lt_i32_e64 s11, v87, v84
	v_cndmask_b32_e64 v83, v88, v86, s10
	v_cndmask_b32_e64 v79, v85, v89, s10
	;; [unrolled: 1-line block ×3, first 2 shown]
	s_wait_loadcnt 0x0
	s_barrier_signal -1
	v_cmp_ge_i32_e64 s12, v83, v19
	v_cmp_lt_i32_e64 s13, v79, v20
	s_barrier_wait -1
	global_inv scope:SCOPE_SE
	ds_store_2addr_b32 v1, v70, v71 offset1:1
	ds_store_2addr_b32 v1, v72, v73 offset0:2 offset1:3
	s_or_b32 s11, s12, s11
	v_lshlrev_b32_e32 v71, 2, v78
	s_wait_alu 0xfffe
	s_and_b32 s11, s13, s11
	v_lshlrev_b32_e32 v72, 2, v82
	s_wait_alu 0xfffe
	v_cndmask_b32_e64 v70, v83, v79, s11
	v_lshlrev_b32_e32 v73, 2, v90
	s_wait_loadcnt_dscnt 0x0
	s_barrier_signal -1
	s_barrier_wait -1
	v_lshlrev_b32_e32 v78, 2, v70
	global_inv scope:SCOPE_SE
	ds_load_b32 v70, v71
	ds_load_b32 v71, v72
	;; [unrolled: 1-line block ×4, first 2 shown]
	v_cndmask_b32_e64 v76, v76, v77, s9
	v_cndmask_b32_e64 v74, v74, v75, s8
	;; [unrolled: 1-line block ×4, first 2 shown]
	s_wait_loadcnt_dscnt 0x0
	s_barrier_signal -1
	s_barrier_wait -1
	global_inv scope:SCOPE_SE
	ds_store_2addr_b32 v1, v74, v76 offset1:1
	ds_store_2addr_b32 v1, v78, v84 offset0:2 offset1:3
	v_mov_b32_e32 v76, v64
	s_wait_loadcnt_dscnt 0x0
	s_barrier_signal -1
	s_barrier_wait -1
	global_inv scope:SCOPE_SE
	s_and_saveexec_b32 s9, s3
	s_cbranch_execz .LBB37_54
; %bb.51:                               ;   in Loop: Header=BB37_2 Depth=1
	v_mov_b32_e32 v76, v64
	v_mov_b32_e32 v74, v56
	s_mov_b32 s10, 0
.LBB37_52:                              ;   Parent Loop BB37_2 Depth=1
                                        ; =>  This Inner Loop Header: Depth=2
	s_delay_alu instid0(VALU_DEP_1) | instskip(NEXT) | instid1(VALU_DEP_1)
	v_sub_nc_u32_e32 v75, v74, v76
	v_lshrrev_b32_e32 v75, 1, v75
	s_delay_alu instid0(VALU_DEP_1) | instskip(NEXT) | instid1(VALU_DEP_1)
	v_add_nc_u32_e32 v75, v75, v76
	v_not_b32_e32 v77, v75
	v_lshl_add_u32 v78, v75, 2, v24
	v_add_nc_u32_e32 v79, 1, v75
	s_delay_alu instid0(VALU_DEP_3)
	v_lshl_add_u32 v77, v77, 2, v48
	ds_load_b32 v78, v78
	ds_load_b32 v77, v77
	s_wait_dscnt 0x0
	v_cmp_lt_i32_e64 s8, v77, v78
	s_wait_alu 0xf1ff
	s_delay_alu instid0(VALU_DEP_1) | instskip(SKIP_1) | instid1(VALU_DEP_1)
	v_cndmask_b32_e64 v74, v74, v75, s8
	v_cndmask_b32_e64 v76, v79, v76, s8
	v_cmp_ge_i32_e64 s8, v76, v74
	s_wait_alu 0xfffe
	s_or_b32 s10, s8, s10
	s_wait_alu 0xfffe
	s_and_not1_b32 exec_lo, exec_lo, s10
	s_cbranch_execnz .LBB37_52
; %bb.53:                               ;   in Loop: Header=BB37_2 Depth=1
	s_or_b32 exec_lo, exec_lo, s10
.LBB37_54:                              ;   in Loop: Header=BB37_2 Depth=1
	s_wait_alu 0xfffe
	s_or_b32 exec_lo, exec_lo, s9
	v_sub_nc_u32_e32 v78, v40, v76
	v_lshl_add_u32 v77, v76, 2, v24
	v_add_nc_u32_e32 v79, v76, v5
                                        ; implicit-def: $vgpr76
	s_delay_alu instid0(VALU_DEP_3) | instskip(SKIP_1) | instid1(VALU_DEP_3)
	v_lshlrev_b32_e32 v80, 2, v78
	v_cmp_gt_i32_e64 s10, v23, v78
	v_cmp_le_i32_e64 s8, v22, v79
	ds_load_b32 v74, v77
	ds_load_b32 v75, v80
	s_wait_dscnt 0x0
	v_cmp_lt_i32_e64 s9, v75, v74
	s_or_b32 s8, s8, s9
	s_wait_alu 0xfffe
	s_and_b32 s8, s10, s8
	s_wait_alu 0xfffe
	s_xor_b32 s9, s8, -1
	s_wait_alu 0xfffe
	s_and_saveexec_b32 s10, s9
	s_wait_alu 0xfffe
	s_xor_b32 s9, exec_lo, s10
; %bb.55:                               ;   in Loop: Header=BB37_2 Depth=1
	ds_load_b32 v76, v77 offset:4
                                        ; implicit-def: $vgpr80
; %bb.56:                               ;   in Loop: Header=BB37_2 Depth=1
	s_wait_alu 0xfffe
	s_or_saveexec_b32 s9, s9
	v_mov_b32_e32 v77, v75
	s_wait_alu 0xfffe
	s_xor_b32 exec_lo, exec_lo, s9
	s_cbranch_execz .LBB37_58
; %bb.57:                               ;   in Loop: Header=BB37_2 Depth=1
	ds_load_b32 v77, v80 offset:4
	s_wait_dscnt 0x1
	v_mov_b32_e32 v76, v74
.LBB37_58:                              ;   in Loop: Header=BB37_2 Depth=1
	s_or_b32 exec_lo, exec_lo, s9
	v_add_nc_u32_e32 v80, 1, v79
	v_add_nc_u32_e32 v81, 1, v78
	s_wait_dscnt 0x0
	v_cmp_lt_i32_e64 s10, v77, v76
	s_delay_alu instid0(VALU_DEP_3) | instskip(NEXT) | instid1(VALU_DEP_3)
	v_cndmask_b32_e64 v82, v80, v79, s8
	v_cndmask_b32_e64 v83, v78, v81, s8
                                        ; implicit-def: $vgpr80
	s_delay_alu instid0(VALU_DEP_2) | instskip(NEXT) | instid1(VALU_DEP_2)
	v_cmp_ge_i32_e64 s9, v82, v22
	v_cmp_lt_i32_e64 s11, v83, v23
	s_or_b32 s9, s9, s10
	s_wait_alu 0xfffe
	s_and_b32 s9, s11, s9
	s_wait_alu 0xfffe
	s_xor_b32 s10, s9, -1
	s_wait_alu 0xfffe
	s_and_saveexec_b32 s11, s10
	s_wait_alu 0xfffe
	s_xor_b32 s10, exec_lo, s11
; %bb.59:                               ;   in Loop: Header=BB37_2 Depth=1
	v_lshlrev_b32_e32 v80, 2, v82
	ds_load_b32 v80, v80 offset:4
; %bb.60:                               ;   in Loop: Header=BB37_2 Depth=1
	s_wait_alu 0xfffe
	s_or_saveexec_b32 s10, s10
	v_mov_b32_e32 v81, v77
	s_wait_alu 0xfffe
	s_xor_b32 exec_lo, exec_lo, s10
	s_cbranch_execz .LBB37_62
; %bb.61:                               ;   in Loop: Header=BB37_2 Depth=1
	s_wait_dscnt 0x0
	v_lshlrev_b32_e32 v80, 2, v83
	ds_load_b32 v81, v80 offset:4
	v_mov_b32_e32 v80, v76
.LBB37_62:                              ;   in Loop: Header=BB37_2 Depth=1
	s_or_b32 exec_lo, exec_lo, s10
	v_add_nc_u32_e32 v84, 1, v82
	v_add_nc_u32_e32 v85, 1, v83
	s_wait_dscnt 0x0
	v_cmp_lt_i32_e64 s11, v81, v80
	s_delay_alu instid0(VALU_DEP_3) | instskip(NEXT) | instid1(VALU_DEP_3)
	v_cndmask_b32_e64 v86, v84, v82, s9
	v_cndmask_b32_e64 v85, v83, v85, s9
                                        ; implicit-def: $vgpr84
	s_delay_alu instid0(VALU_DEP_2) | instskip(NEXT) | instid1(VALU_DEP_2)
	v_cmp_ge_i32_e64 s10, v86, v22
	v_cmp_lt_i32_e64 s12, v85, v23
	s_or_b32 s10, s10, s11
	s_wait_alu 0xfffe
	s_and_b32 s10, s12, s10
	s_wait_alu 0xfffe
	s_xor_b32 s11, s10, -1
	s_wait_alu 0xfffe
	s_and_saveexec_b32 s12, s11
	s_wait_alu 0xfffe
	s_xor_b32 s11, exec_lo, s12
; %bb.63:                               ;   in Loop: Header=BB37_2 Depth=1
	v_lshlrev_b32_e32 v84, 2, v86
	ds_load_b32 v84, v84 offset:4
; %bb.64:                               ;   in Loop: Header=BB37_2 Depth=1
	s_wait_alu 0xfffe
	s_or_saveexec_b32 s11, s11
	v_mov_b32_e32 v87, v81
	s_wait_alu 0xfffe
	s_xor_b32 exec_lo, exec_lo, s11
	s_cbranch_execz .LBB37_66
; %bb.65:                               ;   in Loop: Header=BB37_2 Depth=1
	s_wait_dscnt 0x0
	v_lshlrev_b32_e32 v84, 2, v85
	ds_load_b32 v87, v84 offset:4
	v_mov_b32_e32 v84, v80
.LBB37_66:                              ;   in Loop: Header=BB37_2 Depth=1
	s_or_b32 exec_lo, exec_lo, s11
	v_add_nc_u32_e32 v88, 1, v86
	v_add_nc_u32_e32 v89, 1, v85
	v_cndmask_b32_e64 v82, v82, v83, s9
	v_cndmask_b32_e64 v78, v79, v78, s8
	s_wait_dscnt 0x0
	v_cmp_lt_i32_e64 s11, v87, v84
	v_cndmask_b32_e64 v83, v88, v86, s10
	v_cndmask_b32_e64 v79, v85, v89, s10
	v_cndmask_b32_e64 v90, v86, v85, s10
	s_wait_loadcnt 0x0
	s_barrier_signal -1
	v_cmp_ge_i32_e64 s12, v83, v22
	v_cmp_lt_i32_e64 s13, v79, v23
	s_barrier_wait -1
	global_inv scope:SCOPE_SE
	ds_store_2addr_b32 v1, v70, v71 offset1:1
	ds_store_2addr_b32 v1, v72, v73 offset0:2 offset1:3
	s_or_b32 s11, s12, s11
	v_lshlrev_b32_e32 v71, 2, v78
	s_wait_alu 0xfffe
	s_and_b32 s11, s13, s11
	v_lshlrev_b32_e32 v72, 2, v82
	s_wait_alu 0xfffe
	v_cndmask_b32_e64 v70, v83, v79, s11
	v_lshlrev_b32_e32 v73, 2, v90
	s_wait_loadcnt_dscnt 0x0
	s_barrier_signal -1
	s_barrier_wait -1
	v_lshlrev_b32_e32 v78, 2, v70
	global_inv scope:SCOPE_SE
	ds_load_b32 v70, v71
	ds_load_b32 v71, v72
	;; [unrolled: 1-line block ×4, first 2 shown]
	v_cndmask_b32_e64 v76, v76, v77, s9
	v_cndmask_b32_e64 v74, v74, v75, s8
	;; [unrolled: 1-line block ×4, first 2 shown]
	s_wait_loadcnt_dscnt 0x0
	s_barrier_signal -1
	s_barrier_wait -1
	global_inv scope:SCOPE_SE
	ds_store_2addr_b32 v1, v74, v76 offset1:1
	ds_store_2addr_b32 v1, v78, v84 offset0:2 offset1:3
	v_mov_b32_e32 v76, v65
	s_wait_loadcnt_dscnt 0x0
	s_barrier_signal -1
	s_barrier_wait -1
	global_inv scope:SCOPE_SE
	s_and_saveexec_b32 s9, s4
	s_cbranch_execz .LBB37_70
; %bb.67:                               ;   in Loop: Header=BB37_2 Depth=1
	v_mov_b32_e32 v76, v65
	v_mov_b32_e32 v74, v57
	s_mov_b32 s10, 0
.LBB37_68:                              ;   Parent Loop BB37_2 Depth=1
                                        ; =>  This Inner Loop Header: Depth=2
	s_delay_alu instid0(VALU_DEP_1) | instskip(NEXT) | instid1(VALU_DEP_1)
	v_sub_nc_u32_e32 v75, v74, v76
	v_lshrrev_b32_e32 v75, 1, v75
	s_delay_alu instid0(VALU_DEP_1) | instskip(NEXT) | instid1(VALU_DEP_1)
	v_add_nc_u32_e32 v75, v75, v76
	v_not_b32_e32 v77, v75
	v_lshl_add_u32 v78, v75, 2, v27
	v_add_nc_u32_e32 v79, 1, v75
	s_delay_alu instid0(VALU_DEP_3)
	v_lshl_add_u32 v77, v77, 2, v49
	ds_load_b32 v78, v78
	ds_load_b32 v77, v77
	s_wait_dscnt 0x0
	v_cmp_lt_i32_e64 s8, v77, v78
	s_wait_alu 0xf1ff
	s_delay_alu instid0(VALU_DEP_1) | instskip(SKIP_1) | instid1(VALU_DEP_1)
	v_cndmask_b32_e64 v74, v74, v75, s8
	v_cndmask_b32_e64 v76, v79, v76, s8
	v_cmp_ge_i32_e64 s8, v76, v74
	s_wait_alu 0xfffe
	s_or_b32 s10, s8, s10
	s_wait_alu 0xfffe
	s_and_not1_b32 exec_lo, exec_lo, s10
	s_cbranch_execnz .LBB37_68
; %bb.69:                               ;   in Loop: Header=BB37_2 Depth=1
	s_or_b32 exec_lo, exec_lo, s10
.LBB37_70:                              ;   in Loop: Header=BB37_2 Depth=1
	s_wait_alu 0xfffe
	s_or_b32 exec_lo, exec_lo, s9
	v_sub_nc_u32_e32 v78, v41, v76
	v_lshl_add_u32 v77, v76, 2, v27
	v_add_nc_u32_e32 v79, v76, v6
                                        ; implicit-def: $vgpr76
	s_delay_alu instid0(VALU_DEP_3) | instskip(SKIP_1) | instid1(VALU_DEP_3)
	v_lshlrev_b32_e32 v80, 2, v78
	v_cmp_gt_i32_e64 s10, v26, v78
	v_cmp_le_i32_e64 s8, v25, v79
	ds_load_b32 v74, v77
	ds_load_b32 v75, v80
	s_wait_dscnt 0x0
	v_cmp_lt_i32_e64 s9, v75, v74
	s_or_b32 s8, s8, s9
	s_wait_alu 0xfffe
	s_and_b32 s8, s10, s8
	s_wait_alu 0xfffe
	s_xor_b32 s9, s8, -1
	s_wait_alu 0xfffe
	s_and_saveexec_b32 s10, s9
	s_wait_alu 0xfffe
	s_xor_b32 s9, exec_lo, s10
; %bb.71:                               ;   in Loop: Header=BB37_2 Depth=1
	ds_load_b32 v76, v77 offset:4
                                        ; implicit-def: $vgpr80
; %bb.72:                               ;   in Loop: Header=BB37_2 Depth=1
	s_wait_alu 0xfffe
	s_or_saveexec_b32 s9, s9
	v_mov_b32_e32 v77, v75
	s_wait_alu 0xfffe
	s_xor_b32 exec_lo, exec_lo, s9
	s_cbranch_execz .LBB37_74
; %bb.73:                               ;   in Loop: Header=BB37_2 Depth=1
	ds_load_b32 v77, v80 offset:4
	s_wait_dscnt 0x1
	v_mov_b32_e32 v76, v74
.LBB37_74:                              ;   in Loop: Header=BB37_2 Depth=1
	s_or_b32 exec_lo, exec_lo, s9
	v_add_nc_u32_e32 v80, 1, v79
	v_add_nc_u32_e32 v81, 1, v78
	s_wait_dscnt 0x0
	v_cmp_lt_i32_e64 s10, v77, v76
	s_delay_alu instid0(VALU_DEP_3) | instskip(NEXT) | instid1(VALU_DEP_3)
	v_cndmask_b32_e64 v82, v80, v79, s8
	v_cndmask_b32_e64 v83, v78, v81, s8
                                        ; implicit-def: $vgpr80
	s_delay_alu instid0(VALU_DEP_2) | instskip(NEXT) | instid1(VALU_DEP_2)
	v_cmp_ge_i32_e64 s9, v82, v25
	v_cmp_lt_i32_e64 s11, v83, v26
	s_or_b32 s9, s9, s10
	s_wait_alu 0xfffe
	s_and_b32 s9, s11, s9
	s_wait_alu 0xfffe
	s_xor_b32 s10, s9, -1
	s_wait_alu 0xfffe
	s_and_saveexec_b32 s11, s10
	s_wait_alu 0xfffe
	s_xor_b32 s10, exec_lo, s11
; %bb.75:                               ;   in Loop: Header=BB37_2 Depth=1
	v_lshlrev_b32_e32 v80, 2, v82
	ds_load_b32 v80, v80 offset:4
; %bb.76:                               ;   in Loop: Header=BB37_2 Depth=1
	s_wait_alu 0xfffe
	s_or_saveexec_b32 s10, s10
	v_mov_b32_e32 v81, v77
	s_wait_alu 0xfffe
	s_xor_b32 exec_lo, exec_lo, s10
	s_cbranch_execz .LBB37_78
; %bb.77:                               ;   in Loop: Header=BB37_2 Depth=1
	s_wait_dscnt 0x0
	v_lshlrev_b32_e32 v80, 2, v83
	ds_load_b32 v81, v80 offset:4
	v_mov_b32_e32 v80, v76
.LBB37_78:                              ;   in Loop: Header=BB37_2 Depth=1
	s_or_b32 exec_lo, exec_lo, s10
	v_add_nc_u32_e32 v84, 1, v82
	v_add_nc_u32_e32 v85, 1, v83
	s_wait_dscnt 0x0
	v_cmp_lt_i32_e64 s11, v81, v80
	s_delay_alu instid0(VALU_DEP_3) | instskip(NEXT) | instid1(VALU_DEP_3)
	v_cndmask_b32_e64 v86, v84, v82, s9
	v_cndmask_b32_e64 v85, v83, v85, s9
                                        ; implicit-def: $vgpr84
	s_delay_alu instid0(VALU_DEP_2) | instskip(NEXT) | instid1(VALU_DEP_2)
	v_cmp_ge_i32_e64 s10, v86, v25
	v_cmp_lt_i32_e64 s12, v85, v26
	s_or_b32 s10, s10, s11
	s_wait_alu 0xfffe
	s_and_b32 s10, s12, s10
	s_wait_alu 0xfffe
	s_xor_b32 s11, s10, -1
	s_wait_alu 0xfffe
	s_and_saveexec_b32 s12, s11
	s_wait_alu 0xfffe
	s_xor_b32 s11, exec_lo, s12
; %bb.79:                               ;   in Loop: Header=BB37_2 Depth=1
	v_lshlrev_b32_e32 v84, 2, v86
	ds_load_b32 v84, v84 offset:4
; %bb.80:                               ;   in Loop: Header=BB37_2 Depth=1
	s_wait_alu 0xfffe
	s_or_saveexec_b32 s11, s11
	v_mov_b32_e32 v87, v81
	s_wait_alu 0xfffe
	s_xor_b32 exec_lo, exec_lo, s11
	s_cbranch_execz .LBB37_82
; %bb.81:                               ;   in Loop: Header=BB37_2 Depth=1
	s_wait_dscnt 0x0
	v_lshlrev_b32_e32 v84, 2, v85
	ds_load_b32 v87, v84 offset:4
	v_mov_b32_e32 v84, v80
.LBB37_82:                              ;   in Loop: Header=BB37_2 Depth=1
	s_or_b32 exec_lo, exec_lo, s11
	v_add_nc_u32_e32 v88, 1, v86
	v_add_nc_u32_e32 v89, 1, v85
	v_cndmask_b32_e64 v82, v82, v83, s9
	v_cndmask_b32_e64 v78, v79, v78, s8
	s_wait_dscnt 0x0
	v_cmp_lt_i32_e64 s11, v87, v84
	v_cndmask_b32_e64 v83, v88, v86, s10
	v_cndmask_b32_e64 v79, v85, v89, s10
	;; [unrolled: 1-line block ×3, first 2 shown]
	s_wait_loadcnt 0x0
	s_barrier_signal -1
	v_cmp_ge_i32_e64 s12, v83, v25
	v_cmp_lt_i32_e64 s13, v79, v26
	s_barrier_wait -1
	global_inv scope:SCOPE_SE
	ds_store_2addr_b32 v1, v70, v71 offset1:1
	ds_store_2addr_b32 v1, v72, v73 offset0:2 offset1:3
	s_or_b32 s11, s12, s11
	v_lshlrev_b32_e32 v71, 2, v78
	s_wait_alu 0xfffe
	s_and_b32 s11, s13, s11
	v_lshlrev_b32_e32 v72, 2, v82
	s_wait_alu 0xfffe
	v_cndmask_b32_e64 v70, v83, v79, s11
	v_lshlrev_b32_e32 v73, 2, v90
	s_wait_loadcnt_dscnt 0x0
	s_barrier_signal -1
	s_barrier_wait -1
	v_lshlrev_b32_e32 v78, 2, v70
	global_inv scope:SCOPE_SE
	ds_load_b32 v70, v71
	ds_load_b32 v71, v72
	;; [unrolled: 1-line block ×4, first 2 shown]
	v_cndmask_b32_e64 v76, v76, v77, s9
	v_cndmask_b32_e64 v74, v74, v75, s8
	;; [unrolled: 1-line block ×4, first 2 shown]
	s_wait_loadcnt_dscnt 0x0
	s_barrier_signal -1
	s_barrier_wait -1
	global_inv scope:SCOPE_SE
	ds_store_2addr_b32 v1, v74, v76 offset1:1
	ds_store_2addr_b32 v1, v78, v84 offset0:2 offset1:3
	v_mov_b32_e32 v76, v66
	s_wait_loadcnt_dscnt 0x0
	s_barrier_signal -1
	s_barrier_wait -1
	global_inv scope:SCOPE_SE
	s_and_saveexec_b32 s9, s5
	s_cbranch_execz .LBB37_86
; %bb.83:                               ;   in Loop: Header=BB37_2 Depth=1
	v_mov_b32_e32 v76, v66
	v_mov_b32_e32 v74, v58
	s_mov_b32 s10, 0
.LBB37_84:                              ;   Parent Loop BB37_2 Depth=1
                                        ; =>  This Inner Loop Header: Depth=2
	s_delay_alu instid0(VALU_DEP_1) | instskip(NEXT) | instid1(VALU_DEP_1)
	v_sub_nc_u32_e32 v75, v74, v76
	v_lshrrev_b32_e32 v75, 1, v75
	s_delay_alu instid0(VALU_DEP_1) | instskip(NEXT) | instid1(VALU_DEP_1)
	v_add_nc_u32_e32 v75, v75, v76
	v_not_b32_e32 v77, v75
	v_lshl_add_u32 v78, v75, 2, v30
	v_add_nc_u32_e32 v79, 1, v75
	s_delay_alu instid0(VALU_DEP_3)
	v_lshl_add_u32 v77, v77, 2, v50
	ds_load_b32 v78, v78
	ds_load_b32 v77, v77
	s_wait_dscnt 0x0
	v_cmp_lt_i32_e64 s8, v77, v78
	s_wait_alu 0xf1ff
	s_delay_alu instid0(VALU_DEP_1) | instskip(SKIP_1) | instid1(VALU_DEP_1)
	v_cndmask_b32_e64 v74, v74, v75, s8
	v_cndmask_b32_e64 v76, v79, v76, s8
	v_cmp_ge_i32_e64 s8, v76, v74
	s_wait_alu 0xfffe
	s_or_b32 s10, s8, s10
	s_wait_alu 0xfffe
	s_and_not1_b32 exec_lo, exec_lo, s10
	s_cbranch_execnz .LBB37_84
; %bb.85:                               ;   in Loop: Header=BB37_2 Depth=1
	s_or_b32 exec_lo, exec_lo, s10
.LBB37_86:                              ;   in Loop: Header=BB37_2 Depth=1
	s_wait_alu 0xfffe
	s_or_b32 exec_lo, exec_lo, s9
	v_sub_nc_u32_e32 v78, v42, v76
	v_lshl_add_u32 v77, v76, 2, v30
	v_add_nc_u32_e32 v79, v76, v7
                                        ; implicit-def: $vgpr76
	s_delay_alu instid0(VALU_DEP_3) | instskip(SKIP_1) | instid1(VALU_DEP_3)
	v_lshlrev_b32_e32 v80, 2, v78
	v_cmp_gt_i32_e64 s10, v29, v78
	v_cmp_le_i32_e64 s8, v28, v79
	ds_load_b32 v74, v77
	ds_load_b32 v75, v80
	s_wait_dscnt 0x0
	v_cmp_lt_i32_e64 s9, v75, v74
	s_or_b32 s8, s8, s9
	s_wait_alu 0xfffe
	s_and_b32 s8, s10, s8
	s_wait_alu 0xfffe
	s_xor_b32 s9, s8, -1
	s_wait_alu 0xfffe
	s_and_saveexec_b32 s10, s9
	s_wait_alu 0xfffe
	s_xor_b32 s9, exec_lo, s10
; %bb.87:                               ;   in Loop: Header=BB37_2 Depth=1
	ds_load_b32 v76, v77 offset:4
                                        ; implicit-def: $vgpr80
; %bb.88:                               ;   in Loop: Header=BB37_2 Depth=1
	s_wait_alu 0xfffe
	s_or_saveexec_b32 s9, s9
	v_mov_b32_e32 v77, v75
	s_wait_alu 0xfffe
	s_xor_b32 exec_lo, exec_lo, s9
	s_cbranch_execz .LBB37_90
; %bb.89:                               ;   in Loop: Header=BB37_2 Depth=1
	ds_load_b32 v77, v80 offset:4
	s_wait_dscnt 0x1
	v_mov_b32_e32 v76, v74
.LBB37_90:                              ;   in Loop: Header=BB37_2 Depth=1
	s_or_b32 exec_lo, exec_lo, s9
	v_add_nc_u32_e32 v80, 1, v79
	v_add_nc_u32_e32 v81, 1, v78
	s_wait_dscnt 0x0
	v_cmp_lt_i32_e64 s10, v77, v76
	s_delay_alu instid0(VALU_DEP_3) | instskip(NEXT) | instid1(VALU_DEP_3)
	v_cndmask_b32_e64 v82, v80, v79, s8
	v_cndmask_b32_e64 v83, v78, v81, s8
                                        ; implicit-def: $vgpr80
	s_delay_alu instid0(VALU_DEP_2) | instskip(NEXT) | instid1(VALU_DEP_2)
	v_cmp_ge_i32_e64 s9, v82, v28
	v_cmp_lt_i32_e64 s11, v83, v29
	s_or_b32 s9, s9, s10
	s_wait_alu 0xfffe
	s_and_b32 s9, s11, s9
	s_wait_alu 0xfffe
	s_xor_b32 s10, s9, -1
	s_wait_alu 0xfffe
	s_and_saveexec_b32 s11, s10
	s_wait_alu 0xfffe
	s_xor_b32 s10, exec_lo, s11
; %bb.91:                               ;   in Loop: Header=BB37_2 Depth=1
	v_lshlrev_b32_e32 v80, 2, v82
	ds_load_b32 v80, v80 offset:4
; %bb.92:                               ;   in Loop: Header=BB37_2 Depth=1
	s_wait_alu 0xfffe
	s_or_saveexec_b32 s10, s10
	v_mov_b32_e32 v81, v77
	s_wait_alu 0xfffe
	s_xor_b32 exec_lo, exec_lo, s10
	s_cbranch_execz .LBB37_94
; %bb.93:                               ;   in Loop: Header=BB37_2 Depth=1
	s_wait_dscnt 0x0
	v_lshlrev_b32_e32 v80, 2, v83
	ds_load_b32 v81, v80 offset:4
	v_mov_b32_e32 v80, v76
.LBB37_94:                              ;   in Loop: Header=BB37_2 Depth=1
	s_or_b32 exec_lo, exec_lo, s10
	v_add_nc_u32_e32 v84, 1, v82
	v_add_nc_u32_e32 v85, 1, v83
	s_wait_dscnt 0x0
	v_cmp_lt_i32_e64 s11, v81, v80
	s_delay_alu instid0(VALU_DEP_3) | instskip(NEXT) | instid1(VALU_DEP_3)
	v_cndmask_b32_e64 v86, v84, v82, s9
	v_cndmask_b32_e64 v85, v83, v85, s9
                                        ; implicit-def: $vgpr84
	s_delay_alu instid0(VALU_DEP_2) | instskip(NEXT) | instid1(VALU_DEP_2)
	v_cmp_ge_i32_e64 s10, v86, v28
	v_cmp_lt_i32_e64 s12, v85, v29
	s_or_b32 s10, s10, s11
	s_wait_alu 0xfffe
	s_and_b32 s10, s12, s10
	s_wait_alu 0xfffe
	s_xor_b32 s11, s10, -1
	s_wait_alu 0xfffe
	s_and_saveexec_b32 s12, s11
	s_wait_alu 0xfffe
	s_xor_b32 s11, exec_lo, s12
; %bb.95:                               ;   in Loop: Header=BB37_2 Depth=1
	v_lshlrev_b32_e32 v84, 2, v86
	ds_load_b32 v84, v84 offset:4
; %bb.96:                               ;   in Loop: Header=BB37_2 Depth=1
	s_wait_alu 0xfffe
	s_or_saveexec_b32 s11, s11
	v_mov_b32_e32 v87, v81
	s_wait_alu 0xfffe
	s_xor_b32 exec_lo, exec_lo, s11
	s_cbranch_execz .LBB37_98
; %bb.97:                               ;   in Loop: Header=BB37_2 Depth=1
	s_wait_dscnt 0x0
	v_lshlrev_b32_e32 v84, 2, v85
	ds_load_b32 v87, v84 offset:4
	v_mov_b32_e32 v84, v80
.LBB37_98:                              ;   in Loop: Header=BB37_2 Depth=1
	s_or_b32 exec_lo, exec_lo, s11
	v_add_nc_u32_e32 v88, 1, v86
	v_add_nc_u32_e32 v89, 1, v85
	v_cndmask_b32_e64 v82, v82, v83, s9
	v_cndmask_b32_e64 v78, v79, v78, s8
	s_wait_dscnt 0x0
	v_cmp_lt_i32_e64 s11, v87, v84
	v_cndmask_b32_e64 v83, v88, v86, s10
	v_cndmask_b32_e64 v79, v85, v89, s10
	v_cndmask_b32_e64 v90, v86, v85, s10
	s_wait_loadcnt 0x0
	s_barrier_signal -1
	v_cmp_ge_i32_e64 s12, v83, v28
	v_cmp_lt_i32_e64 s13, v79, v29
	s_barrier_wait -1
	global_inv scope:SCOPE_SE
	ds_store_2addr_b32 v1, v70, v71 offset1:1
	ds_store_2addr_b32 v1, v72, v73 offset0:2 offset1:3
	s_or_b32 s11, s12, s11
	v_lshlrev_b32_e32 v71, 2, v78
	s_wait_alu 0xfffe
	s_and_b32 s11, s13, s11
	v_lshlrev_b32_e32 v72, 2, v82
	s_wait_alu 0xfffe
	v_cndmask_b32_e64 v70, v83, v79, s11
	v_lshlrev_b32_e32 v73, 2, v90
	s_wait_loadcnt_dscnt 0x0
	s_barrier_signal -1
	s_barrier_wait -1
	v_lshlrev_b32_e32 v78, 2, v70
	global_inv scope:SCOPE_SE
	ds_load_b32 v70, v71
	ds_load_b32 v71, v72
	;; [unrolled: 1-line block ×4, first 2 shown]
	v_cndmask_b32_e64 v76, v76, v77, s9
	v_cndmask_b32_e64 v74, v74, v75, s8
	;; [unrolled: 1-line block ×4, first 2 shown]
	s_wait_loadcnt_dscnt 0x0
	s_barrier_signal -1
	s_barrier_wait -1
	global_inv scope:SCOPE_SE
	ds_store_2addr_b32 v1, v74, v76 offset1:1
	ds_store_2addr_b32 v1, v78, v84 offset0:2 offset1:3
	v_mov_b32_e32 v76, v67
	s_wait_loadcnt_dscnt 0x0
	s_barrier_signal -1
	s_barrier_wait -1
	global_inv scope:SCOPE_SE
	s_and_saveexec_b32 s9, s6
	s_cbranch_execz .LBB37_102
; %bb.99:                               ;   in Loop: Header=BB37_2 Depth=1
	v_mov_b32_e32 v76, v67
	v_mov_b32_e32 v74, v59
	s_mov_b32 s10, 0
.LBB37_100:                             ;   Parent Loop BB37_2 Depth=1
                                        ; =>  This Inner Loop Header: Depth=2
	s_delay_alu instid0(VALU_DEP_1) | instskip(NEXT) | instid1(VALU_DEP_1)
	v_sub_nc_u32_e32 v75, v74, v76
	v_lshrrev_b32_e32 v75, 1, v75
	s_delay_alu instid0(VALU_DEP_1) | instskip(NEXT) | instid1(VALU_DEP_1)
	v_add_nc_u32_e32 v75, v75, v76
	v_not_b32_e32 v77, v75
	v_lshl_add_u32 v78, v75, 2, v33
	v_add_nc_u32_e32 v79, 1, v75
	s_delay_alu instid0(VALU_DEP_3)
	v_lshl_add_u32 v77, v77, 2, v51
	ds_load_b32 v78, v78
	ds_load_b32 v77, v77
	s_wait_dscnt 0x0
	v_cmp_lt_i32_e64 s8, v77, v78
	s_wait_alu 0xf1ff
	s_delay_alu instid0(VALU_DEP_1) | instskip(SKIP_1) | instid1(VALU_DEP_1)
	v_cndmask_b32_e64 v74, v74, v75, s8
	v_cndmask_b32_e64 v76, v79, v76, s8
	v_cmp_ge_i32_e64 s8, v76, v74
	s_wait_alu 0xfffe
	s_or_b32 s10, s8, s10
	s_wait_alu 0xfffe
	s_and_not1_b32 exec_lo, exec_lo, s10
	s_cbranch_execnz .LBB37_100
; %bb.101:                              ;   in Loop: Header=BB37_2 Depth=1
	s_or_b32 exec_lo, exec_lo, s10
.LBB37_102:                             ;   in Loop: Header=BB37_2 Depth=1
	s_wait_alu 0xfffe
	s_or_b32 exec_lo, exec_lo, s9
	v_sub_nc_u32_e32 v78, v43, v76
	v_lshl_add_u32 v77, v76, 2, v33
	v_add_nc_u32_e32 v79, v76, v8
                                        ; implicit-def: $vgpr76
	s_delay_alu instid0(VALU_DEP_3) | instskip(SKIP_1) | instid1(VALU_DEP_3)
	v_lshlrev_b32_e32 v80, 2, v78
	v_cmp_gt_i32_e64 s10, v32, v78
	v_cmp_le_i32_e64 s8, v31, v79
	ds_load_b32 v74, v77
	ds_load_b32 v75, v80
	s_wait_dscnt 0x0
	v_cmp_lt_i32_e64 s9, v75, v74
	s_or_b32 s8, s8, s9
	s_wait_alu 0xfffe
	s_and_b32 s8, s10, s8
	s_wait_alu 0xfffe
	s_xor_b32 s9, s8, -1
	s_wait_alu 0xfffe
	s_and_saveexec_b32 s10, s9
	s_wait_alu 0xfffe
	s_xor_b32 s9, exec_lo, s10
; %bb.103:                              ;   in Loop: Header=BB37_2 Depth=1
	ds_load_b32 v76, v77 offset:4
                                        ; implicit-def: $vgpr80
; %bb.104:                              ;   in Loop: Header=BB37_2 Depth=1
	s_wait_alu 0xfffe
	s_or_saveexec_b32 s9, s9
	v_mov_b32_e32 v77, v75
	s_wait_alu 0xfffe
	s_xor_b32 exec_lo, exec_lo, s9
	s_cbranch_execz .LBB37_106
; %bb.105:                              ;   in Loop: Header=BB37_2 Depth=1
	ds_load_b32 v77, v80 offset:4
	s_wait_dscnt 0x1
	v_mov_b32_e32 v76, v74
.LBB37_106:                             ;   in Loop: Header=BB37_2 Depth=1
	s_or_b32 exec_lo, exec_lo, s9
	v_add_nc_u32_e32 v80, 1, v79
	v_add_nc_u32_e32 v81, 1, v78
	s_wait_dscnt 0x0
	v_cmp_lt_i32_e64 s10, v77, v76
	s_delay_alu instid0(VALU_DEP_3) | instskip(NEXT) | instid1(VALU_DEP_3)
	v_cndmask_b32_e64 v82, v80, v79, s8
	v_cndmask_b32_e64 v83, v78, v81, s8
                                        ; implicit-def: $vgpr80
	s_delay_alu instid0(VALU_DEP_2) | instskip(NEXT) | instid1(VALU_DEP_2)
	v_cmp_ge_i32_e64 s9, v82, v31
	v_cmp_lt_i32_e64 s11, v83, v32
	s_or_b32 s9, s9, s10
	s_wait_alu 0xfffe
	s_and_b32 s9, s11, s9
	s_wait_alu 0xfffe
	s_xor_b32 s10, s9, -1
	s_wait_alu 0xfffe
	s_and_saveexec_b32 s11, s10
	s_wait_alu 0xfffe
	s_xor_b32 s10, exec_lo, s11
; %bb.107:                              ;   in Loop: Header=BB37_2 Depth=1
	v_lshlrev_b32_e32 v80, 2, v82
	ds_load_b32 v80, v80 offset:4
; %bb.108:                              ;   in Loop: Header=BB37_2 Depth=1
	s_wait_alu 0xfffe
	s_or_saveexec_b32 s10, s10
	v_mov_b32_e32 v81, v77
	s_wait_alu 0xfffe
	s_xor_b32 exec_lo, exec_lo, s10
	s_cbranch_execz .LBB37_110
; %bb.109:                              ;   in Loop: Header=BB37_2 Depth=1
	s_wait_dscnt 0x0
	v_lshlrev_b32_e32 v80, 2, v83
	ds_load_b32 v81, v80 offset:4
	v_mov_b32_e32 v80, v76
.LBB37_110:                             ;   in Loop: Header=BB37_2 Depth=1
	s_or_b32 exec_lo, exec_lo, s10
	v_add_nc_u32_e32 v84, 1, v82
	v_add_nc_u32_e32 v85, 1, v83
	s_wait_dscnt 0x0
	v_cmp_lt_i32_e64 s11, v81, v80
	s_delay_alu instid0(VALU_DEP_3) | instskip(NEXT) | instid1(VALU_DEP_3)
	v_cndmask_b32_e64 v86, v84, v82, s9
	v_cndmask_b32_e64 v85, v83, v85, s9
                                        ; implicit-def: $vgpr84
	s_delay_alu instid0(VALU_DEP_2) | instskip(NEXT) | instid1(VALU_DEP_2)
	v_cmp_ge_i32_e64 s10, v86, v31
	v_cmp_lt_i32_e64 s12, v85, v32
	s_or_b32 s10, s10, s11
	s_wait_alu 0xfffe
	s_and_b32 s10, s12, s10
	s_wait_alu 0xfffe
	s_xor_b32 s11, s10, -1
	s_wait_alu 0xfffe
	s_and_saveexec_b32 s12, s11
	s_wait_alu 0xfffe
	s_xor_b32 s11, exec_lo, s12
; %bb.111:                              ;   in Loop: Header=BB37_2 Depth=1
	v_lshlrev_b32_e32 v84, 2, v86
	ds_load_b32 v84, v84 offset:4
; %bb.112:                              ;   in Loop: Header=BB37_2 Depth=1
	s_wait_alu 0xfffe
	s_or_saveexec_b32 s11, s11
	v_mov_b32_e32 v87, v81
	s_wait_alu 0xfffe
	s_xor_b32 exec_lo, exec_lo, s11
	s_cbranch_execz .LBB37_114
; %bb.113:                              ;   in Loop: Header=BB37_2 Depth=1
	s_wait_dscnt 0x0
	v_lshlrev_b32_e32 v84, 2, v85
	ds_load_b32 v87, v84 offset:4
	v_mov_b32_e32 v84, v80
.LBB37_114:                             ;   in Loop: Header=BB37_2 Depth=1
	s_or_b32 exec_lo, exec_lo, s11
	v_add_nc_u32_e32 v88, 1, v86
	v_add_nc_u32_e32 v89, 1, v85
	v_cndmask_b32_e64 v82, v82, v83, s9
	v_cndmask_b32_e64 v76, v76, v77, s9
	v_mov_b32_e32 v77, v68
	v_cndmask_b32_e64 v83, v88, v86, s10
	v_cndmask_b32_e64 v78, v79, v78, s8
	;; [unrolled: 1-line block ×3, first 2 shown]
	s_wait_dscnt 0x0
	v_cmp_lt_i32_e64 s11, v87, v84
	v_cndmask_b32_e64 v90, v86, v85, s10
	v_cmp_ge_i32_e64 s12, v83, v31
	s_wait_loadcnt 0x0
	v_cmp_lt_i32_e64 s13, v79, v32
	s_barrier_signal -1
	s_barrier_wait -1
	s_or_b32 s11, s12, s11
	global_inv scope:SCOPE_SE
	s_wait_alu 0xfffe
	s_and_b32 s11, s13, s11
	ds_store_2addr_b32 v1, v70, v71 offset1:1
	ds_store_2addr_b32 v1, v72, v73 offset0:2 offset1:3
	s_wait_alu 0xfffe
	v_cndmask_b32_e64 v70, v83, v79, s11
	v_lshlrev_b32_e32 v71, 2, v78
	v_lshlrev_b32_e32 v72, 2, v82
	;; [unrolled: 1-line block ×3, first 2 shown]
	s_wait_loadcnt_dscnt 0x0
	v_lshlrev_b32_e32 v78, 2, v70
	s_barrier_signal -1
	s_barrier_wait -1
	global_inv scope:SCOPE_SE
	ds_load_b32 v70, v71
	ds_load_b32 v71, v72
	;; [unrolled: 1-line block ×4, first 2 shown]
	v_cndmask_b32_e64 v74, v74, v75, s8
	v_cndmask_b32_e64 v84, v84, v87, s11
	;; [unrolled: 1-line block ×3, first 2 shown]
	s_wait_loadcnt_dscnt 0x0
	s_barrier_signal -1
	s_barrier_wait -1
	global_inv scope:SCOPE_SE
	ds_store_2addr_b32 v1, v74, v76 offset1:1
	ds_store_2addr_b32 v1, v78, v84 offset0:2 offset1:3
	s_wait_loadcnt_dscnt 0x0
	s_barrier_signal -1
	s_barrier_wait -1
	global_inv scope:SCOPE_SE
	s_and_saveexec_b32 s9, s7
	s_cbranch_execz .LBB37_118
; %bb.115:                              ;   in Loop: Header=BB37_2 Depth=1
	v_dual_mov_b32 v77, v68 :: v_dual_mov_b32 v74, v60
	s_mov_b32 s10, 0
.LBB37_116:                             ;   Parent Loop BB37_2 Depth=1
                                        ; =>  This Inner Loop Header: Depth=2
	s_delay_alu instid0(VALU_DEP_1) | instskip(NEXT) | instid1(VALU_DEP_1)
	v_sub_nc_u32_e32 v75, v74, v77
	v_lshrrev_b32_e32 v75, 1, v75
	s_delay_alu instid0(VALU_DEP_1) | instskip(NEXT) | instid1(VALU_DEP_1)
	v_add_nc_u32_e32 v75, v75, v77
	v_not_b32_e32 v76, v75
	v_lshl_add_u32 v78, v75, 2, v36
	v_add_nc_u32_e32 v79, 1, v75
	s_delay_alu instid0(VALU_DEP_3)
	v_lshl_add_u32 v76, v76, 2, v52
	ds_load_b32 v78, v78
	ds_load_b32 v76, v76
	s_wait_dscnt 0x0
	v_cmp_lt_i32_e64 s8, v76, v78
	s_wait_alu 0xf1ff
	s_delay_alu instid0(VALU_DEP_1) | instskip(SKIP_1) | instid1(VALU_DEP_1)
	v_cndmask_b32_e64 v74, v74, v75, s8
	v_cndmask_b32_e64 v77, v79, v77, s8
	v_cmp_ge_i32_e64 s8, v77, v74
	s_wait_alu 0xfffe
	s_or_b32 s10, s8, s10
	s_wait_alu 0xfffe
	s_and_not1_b32 exec_lo, exec_lo, s10
	s_cbranch_execnz .LBB37_116
; %bb.117:                              ;   in Loop: Header=BB37_2 Depth=1
	s_or_b32 exec_lo, exec_lo, s10
.LBB37_118:                             ;   in Loop: Header=BB37_2 Depth=1
	s_wait_alu 0xfffe
	s_or_b32 exec_lo, exec_lo, s9
	v_sub_nc_u32_e32 v74, v44, v77
	v_lshl_add_u32 v78, v77, 2, v36
	v_add_nc_u32_e32 v79, v77, v9
                                        ; implicit-def: $vgpr77
	s_delay_alu instid0(VALU_DEP_3) | instskip(SKIP_1) | instid1(VALU_DEP_3)
	v_lshlrev_b32_e32 v80, 2, v74
	v_cmp_gt_i32_e64 s10, v35, v74
	v_cmp_le_i32_e64 s8, v34, v79
	ds_load_b32 v75, v78
	ds_load_b32 v76, v80
	s_wait_dscnt 0x0
	v_cmp_lt_i32_e64 s9, v76, v75
	s_or_b32 s8, s8, s9
	s_wait_alu 0xfffe
	s_and_b32 s8, s10, s8
	s_wait_alu 0xfffe
	s_xor_b32 s9, s8, -1
	s_wait_alu 0xfffe
	s_and_saveexec_b32 s10, s9
	s_wait_alu 0xfffe
	s_xor_b32 s9, exec_lo, s10
; %bb.119:                              ;   in Loop: Header=BB37_2 Depth=1
	ds_load_b32 v77, v78 offset:4
                                        ; implicit-def: $vgpr80
; %bb.120:                              ;   in Loop: Header=BB37_2 Depth=1
	s_wait_alu 0xfffe
	s_or_saveexec_b32 s9, s9
	v_mov_b32_e32 v78, v76
	s_wait_alu 0xfffe
	s_xor_b32 exec_lo, exec_lo, s9
	s_cbranch_execz .LBB37_122
; %bb.121:                              ;   in Loop: Header=BB37_2 Depth=1
	ds_load_b32 v78, v80 offset:4
	s_wait_dscnt 0x1
	v_mov_b32_e32 v77, v75
.LBB37_122:                             ;   in Loop: Header=BB37_2 Depth=1
	s_or_b32 exec_lo, exec_lo, s9
	v_add_nc_u32_e32 v80, 1, v79
	v_add_nc_u32_e32 v81, 1, v74
	s_wait_dscnt 0x0
	v_cmp_lt_i32_e64 s10, v78, v77
	s_delay_alu instid0(VALU_DEP_3) | instskip(NEXT) | instid1(VALU_DEP_3)
	v_cndmask_b32_e64 v82, v80, v79, s8
	v_cndmask_b32_e64 v83, v74, v81, s8
                                        ; implicit-def: $vgpr80
	s_delay_alu instid0(VALU_DEP_2) | instskip(NEXT) | instid1(VALU_DEP_2)
	v_cmp_ge_i32_e64 s9, v82, v34
	v_cmp_lt_i32_e64 s11, v83, v35
	s_or_b32 s9, s9, s10
	s_wait_alu 0xfffe
	s_and_b32 s9, s11, s9
	s_wait_alu 0xfffe
	s_xor_b32 s10, s9, -1
	s_wait_alu 0xfffe
	s_and_saveexec_b32 s11, s10
	s_wait_alu 0xfffe
	s_xor_b32 s10, exec_lo, s11
; %bb.123:                              ;   in Loop: Header=BB37_2 Depth=1
	v_lshlrev_b32_e32 v80, 2, v82
	ds_load_b32 v80, v80 offset:4
; %bb.124:                              ;   in Loop: Header=BB37_2 Depth=1
	s_wait_alu 0xfffe
	s_or_saveexec_b32 s10, s10
	v_mov_b32_e32 v81, v78
	s_wait_alu 0xfffe
	s_xor_b32 exec_lo, exec_lo, s10
	s_cbranch_execz .LBB37_126
; %bb.125:                              ;   in Loop: Header=BB37_2 Depth=1
	s_wait_dscnt 0x0
	v_lshlrev_b32_e32 v80, 2, v83
	ds_load_b32 v81, v80 offset:4
	v_mov_b32_e32 v80, v77
.LBB37_126:                             ;   in Loop: Header=BB37_2 Depth=1
	s_or_b32 exec_lo, exec_lo, s10
	v_add_nc_u32_e32 v84, 1, v82
	v_add_nc_u32_e32 v85, 1, v83
	s_wait_dscnt 0x0
	v_cmp_lt_i32_e64 s11, v81, v80
	s_delay_alu instid0(VALU_DEP_3) | instskip(NEXT) | instid1(VALU_DEP_3)
	v_cndmask_b32_e64 v86, v84, v82, s9
	v_cndmask_b32_e64 v85, v83, v85, s9
                                        ; implicit-def: $vgpr84
	s_delay_alu instid0(VALU_DEP_2) | instskip(NEXT) | instid1(VALU_DEP_2)
	v_cmp_ge_i32_e64 s10, v86, v34
	v_cmp_lt_i32_e64 s12, v85, v35
	s_or_b32 s10, s10, s11
	s_wait_alu 0xfffe
	s_and_b32 s10, s12, s10
	s_wait_alu 0xfffe
	s_xor_b32 s11, s10, -1
	s_wait_alu 0xfffe
	s_and_saveexec_b32 s12, s11
	s_wait_alu 0xfffe
	s_xor_b32 s11, exec_lo, s12
; %bb.127:                              ;   in Loop: Header=BB37_2 Depth=1
	v_lshlrev_b32_e32 v84, 2, v86
	ds_load_b32 v84, v84 offset:4
; %bb.128:                              ;   in Loop: Header=BB37_2 Depth=1
	s_wait_alu 0xfffe
	s_or_saveexec_b32 s11, s11
	v_mov_b32_e32 v87, v81
	s_wait_alu 0xfffe
	s_xor_b32 exec_lo, exec_lo, s11
	s_cbranch_execz .LBB37_130
; %bb.129:                              ;   in Loop: Header=BB37_2 Depth=1
	s_wait_dscnt 0x0
	v_lshlrev_b32_e32 v84, 2, v85
	ds_load_b32 v87, v84 offset:4
	v_mov_b32_e32 v84, v80
.LBB37_130:                             ;   in Loop: Header=BB37_2 Depth=1
	s_or_b32 exec_lo, exec_lo, s11
	v_add_nc_u32_e32 v88, 1, v86
	v_add_nc_u32_e32 v89, 1, v85
	v_cndmask_b32_e64 v82, v82, v83, s9
	v_cndmask_b32_e64 v74, v79, v74, s8
	s_wait_dscnt 0x0
	v_cmp_lt_i32_e64 s11, v87, v84
	v_cndmask_b32_e64 v83, v88, v86, s10
	v_cndmask_b32_e64 v79, v85, v89, s10
	;; [unrolled: 1-line block ×3, first 2 shown]
	s_wait_loadcnt 0x0
	s_barrier_signal -1
	v_cmp_ge_i32_e64 s12, v83, v34
	v_cmp_lt_i32_e64 s13, v79, v35
	s_barrier_wait -1
	global_inv scope:SCOPE_SE
	ds_store_2addr_b32 v1, v70, v71 offset1:1
	ds_store_2addr_b32 v1, v72, v73 offset0:2 offset1:3
	s_or_b32 s11, s12, s11
	v_lshlrev_b32_e32 v72, 2, v74
	s_wait_alu 0xfffe
	s_and_b32 s11, s13, s11
	v_lshlrev_b32_e32 v73, 2, v82
	s_wait_alu 0xfffe
	v_cndmask_b32_e64 v71, v83, v79, s11
	v_lshlrev_b32_e32 v74, 2, v90
	s_wait_loadcnt_dscnt 0x0
	s_barrier_signal -1
	s_barrier_wait -1
	v_lshlrev_b32_e32 v79, 2, v71
	global_inv scope:SCOPE_SE
	ds_load_b32 v71, v72
	ds_load_b32 v72, v73
	;; [unrolled: 1-line block ×4, first 2 shown]
	v_cndmask_b32_e64 v77, v77, v78, s9
	v_cndmask_b32_e64 v75, v75, v76, s8
	;; [unrolled: 1-line block ×4, first 2 shown]
	s_wait_loadcnt_dscnt 0x0
	s_barrier_signal -1
	s_barrier_wait -1
	global_inv scope:SCOPE_SE
	ds_store_2addr_b32 v1, v75, v77 offset1:1
	ds_store_2addr_b32 v1, v79, v70 offset0:2 offset1:3
	v_mov_b32_e32 v70, v10
	s_wait_loadcnt_dscnt 0x0
	s_barrier_signal -1
	s_barrier_wait -1
	global_inv scope:SCOPE_SE
	s_and_saveexec_b32 s9, vcc_lo
	s_cbranch_execz .LBB37_134
; %bb.131:                              ;   in Loop: Header=BB37_2 Depth=1
	v_dual_mov_b32 v70, v10 :: v_dual_mov_b32 v75, v11
	s_mov_b32 s10, 0
.LBB37_132:                             ;   Parent Loop BB37_2 Depth=1
                                        ; =>  This Inner Loop Header: Depth=2
	s_delay_alu instid0(VALU_DEP_1) | instskip(NEXT) | instid1(VALU_DEP_1)
	v_sub_nc_u32_e32 v76, v75, v70
	v_lshrrev_b32_e32 v76, 1, v76
	s_delay_alu instid0(VALU_DEP_1) | instskip(NEXT) | instid1(VALU_DEP_1)
	v_add_nc_u32_e32 v76, v76, v70
	v_not_b32_e32 v77, v76
	v_lshlrev_b32_e32 v78, 2, v76
	v_add_nc_u32_e32 v79, 1, v76
	s_delay_alu instid0(VALU_DEP_3)
	v_lshl_add_u32 v77, v77, 2, v69
	ds_load_b32 v78, v78
	ds_load_b32 v77, v77
	s_wait_dscnt 0x0
	v_cmp_lt_i32_e64 s8, v77, v78
	s_wait_alu 0xf1ff
	s_delay_alu instid0(VALU_DEP_1) | instskip(SKIP_1) | instid1(VALU_DEP_1)
	v_cndmask_b32_e64 v75, v75, v76, s8
	v_cndmask_b32_e64 v70, v79, v70, s8
	v_cmp_ge_i32_e64 s8, v70, v75
	s_wait_alu 0xfffe
	s_or_b32 s10, s8, s10
	s_wait_alu 0xfffe
	s_and_not1_b32 exec_lo, exec_lo, s10
	s_cbranch_execnz .LBB37_132
; %bb.133:                              ;   in Loop: Header=BB37_2 Depth=1
	s_or_b32 exec_lo, exec_lo, s10
.LBB37_134:                             ;   in Loop: Header=BB37_2 Depth=1
	s_wait_alu 0xfffe
	s_or_b32 exec_lo, exec_lo, s9
	v_sub_nc_u32_e32 v78, v12, v70
	v_lshlrev_b32_e32 v79, 2, v70
	v_cmp_le_i32_e64 s8, 0x400, v70
                                        ; implicit-def: $vgpr77
	s_delay_alu instid0(VALU_DEP_3)
	v_lshlrev_b32_e32 v80, 2, v78
	v_cmp_gt_i32_e64 s10, 0x800, v78
	ds_load_b32 v75, v79
	ds_load_b32 v76, v80
	s_wait_dscnt 0x0
	v_cmp_lt_i32_e64 s9, v76, v75
	s_or_b32 s8, s8, s9
	s_wait_alu 0xfffe
	s_and_b32 s8, s10, s8
	s_wait_alu 0xfffe
	s_xor_b32 s9, s8, -1
	s_wait_alu 0xfffe
	s_and_saveexec_b32 s10, s9
	s_wait_alu 0xfffe
	s_xor_b32 s9, exec_lo, s10
; %bb.135:                              ;   in Loop: Header=BB37_2 Depth=1
	ds_load_b32 v77, v79 offset:4
                                        ; implicit-def: $vgpr80
; %bb.136:                              ;   in Loop: Header=BB37_2 Depth=1
	s_wait_alu 0xfffe
	s_or_saveexec_b32 s9, s9
	v_mov_b32_e32 v79, v76
	s_wait_alu 0xfffe
	s_xor_b32 exec_lo, exec_lo, s9
	s_cbranch_execz .LBB37_138
; %bb.137:                              ;   in Loop: Header=BB37_2 Depth=1
	ds_load_b32 v79, v80 offset:4
	s_wait_dscnt 0x1
	v_mov_b32_e32 v77, v75
.LBB37_138:                             ;   in Loop: Header=BB37_2 Depth=1
	s_or_b32 exec_lo, exec_lo, s9
	v_add_nc_u32_e32 v80, 1, v70
	v_add_nc_u32_e32 v81, 1, v78
	s_wait_dscnt 0x0
	v_cmp_lt_i32_e64 s10, v79, v77
	s_delay_alu instid0(VALU_DEP_3) | instskip(NEXT) | instid1(VALU_DEP_3)
	v_cndmask_b32_e64 v82, v80, v70, s8
	v_cndmask_b32_e64 v83, v78, v81, s8
                                        ; implicit-def: $vgpr80
	s_delay_alu instid0(VALU_DEP_2) | instskip(NEXT) | instid1(VALU_DEP_2)
	v_cmp_le_i32_e64 s9, 0x400, v82
	v_cmp_gt_i32_e64 s11, 0x800, v83
	s_or_b32 s9, s9, s10
	s_wait_alu 0xfffe
	s_and_b32 s9, s11, s9
	s_wait_alu 0xfffe
	s_xor_b32 s10, s9, -1
	s_wait_alu 0xfffe
	s_and_saveexec_b32 s11, s10
	s_wait_alu 0xfffe
	s_xor_b32 s10, exec_lo, s11
; %bb.139:                              ;   in Loop: Header=BB37_2 Depth=1
	v_lshlrev_b32_e32 v80, 2, v82
	ds_load_b32 v80, v80 offset:4
; %bb.140:                              ;   in Loop: Header=BB37_2 Depth=1
	s_wait_alu 0xfffe
	s_or_saveexec_b32 s10, s10
	v_mov_b32_e32 v81, v79
	s_wait_alu 0xfffe
	s_xor_b32 exec_lo, exec_lo, s10
	s_cbranch_execz .LBB37_142
; %bb.141:                              ;   in Loop: Header=BB37_2 Depth=1
	s_wait_dscnt 0x0
	v_lshlrev_b32_e32 v80, 2, v83
	ds_load_b32 v81, v80 offset:4
	v_mov_b32_e32 v80, v77
.LBB37_142:                             ;   in Loop: Header=BB37_2 Depth=1
	s_or_b32 exec_lo, exec_lo, s10
	v_add_nc_u32_e32 v84, 1, v82
	v_add_nc_u32_e32 v85, 1, v83
	s_wait_dscnt 0x0
	v_cmp_lt_i32_e64 s11, v81, v80
                                        ; implicit-def: $vgpr87
                                        ; implicit-def: $vgpr86
	s_delay_alu instid0(VALU_DEP_3) | instskip(NEXT) | instid1(VALU_DEP_3)
	v_cndmask_b32_e64 v88, v84, v82, s9
	v_cndmask_b32_e64 v84, v83, v85, s9
	s_delay_alu instid0(VALU_DEP_2) | instskip(NEXT) | instid1(VALU_DEP_2)
	v_cmp_le_i32_e64 s10, 0x400, v88
	v_cmp_gt_i32_e64 s12, 0x800, v84
	s_or_b32 s10, s10, s11
	s_wait_alu 0xfffe
	s_and_b32 s10, s12, s10
	s_wait_alu 0xfffe
	s_xor_b32 s11, s10, -1
	s_wait_alu 0xfffe
	s_and_saveexec_b32 s12, s11
	s_wait_alu 0xfffe
	s_xor_b32 s11, exec_lo, s12
; %bb.143:                              ;   in Loop: Header=BB37_2 Depth=1
	v_lshlrev_b32_e32 v85, 2, v88
	v_add_nc_u32_e32 v86, 1, v88
	ds_load_b32 v87, v85 offset:4
; %bb.144:                              ;   in Loop: Header=BB37_2 Depth=1
	s_wait_alu 0xfffe
	s_or_saveexec_b32 s11, s11
	v_mov_b32_e32 v85, v88
	v_mov_b32_e32 v89, v81
	s_wait_alu 0xfffe
	s_xor_b32 exec_lo, exec_lo, s11
	s_cbranch_execz .LBB37_1
; %bb.145:                              ;   in Loop: Header=BB37_2 Depth=1
	v_dual_mov_b32 v86, v88 :: v_dual_lshlrev_b32 v85, 2, v84
	s_wait_dscnt 0x0
	v_add_nc_u32_e32 v87, 1, v84
	ds_load_b32 v89, v85 offset:4
	v_dual_mov_b32 v85, v84 :: v_dual_mov_b32 v84, v87
	v_mov_b32_e32 v87, v80
	s_branch .LBB37_1
.LBB37_146:
	s_wait_dscnt 0x3
	v_add_nc_u32_e32 v1, v76, v73
	v_lshlrev_b32_e32 v0, 2, v0
	s_wait_dscnt 0x2
	v_add_nc_u32_e32 v2, v77, v74
	s_wait_dscnt 0x1
	v_add_nc_u32_e32 v3, v75, v71
	;; [unrolled: 2-line block ×3, first 2 shown]
	s_add_nc_u64 s[0:1], s[22:23], s[24:25]
	s_clause 0x3
	global_store_b32 v0, v1, s[0:1]
	global_store_b32 v0, v2, s[0:1] offset:2048
	global_store_b32 v0, v3, s[0:1] offset:4096
	;; [unrolled: 1-line block ×3, first 2 shown]
	s_endpgm
	.section	.rodata,"a",@progbits
	.p2align	6, 0x0
	.amdhsa_kernel _Z17sort_pairs_kernelIiLj512ELj4EN10test_utils4lessELj10EEvPKT_PS2_T2_
		.amdhsa_group_segment_fixed_size 8196
		.amdhsa_private_segment_fixed_size 0
		.amdhsa_kernarg_size 20
		.amdhsa_user_sgpr_count 2
		.amdhsa_user_sgpr_dispatch_ptr 0
		.amdhsa_user_sgpr_queue_ptr 0
		.amdhsa_user_sgpr_kernarg_segment_ptr 1
		.amdhsa_user_sgpr_dispatch_id 0
		.amdhsa_user_sgpr_private_segment_size 0
		.amdhsa_wavefront_size32 1
		.amdhsa_uses_dynamic_stack 0
		.amdhsa_enable_private_segment 0
		.amdhsa_system_sgpr_workgroup_id_x 1
		.amdhsa_system_sgpr_workgroup_id_y 0
		.amdhsa_system_sgpr_workgroup_id_z 0
		.amdhsa_system_sgpr_workgroup_info 0
		.amdhsa_system_vgpr_workitem_id 0
		.amdhsa_next_free_vgpr 92
		.amdhsa_next_free_sgpr 26
		.amdhsa_reserve_vcc 1
		.amdhsa_float_round_mode_32 0
		.amdhsa_float_round_mode_16_64 0
		.amdhsa_float_denorm_mode_32 3
		.amdhsa_float_denorm_mode_16_64 3
		.amdhsa_fp16_overflow 0
		.amdhsa_workgroup_processor_mode 1
		.amdhsa_memory_ordered 1
		.amdhsa_forward_progress 1
		.amdhsa_inst_pref_size 77
		.amdhsa_round_robin_scheduling 0
		.amdhsa_exception_fp_ieee_invalid_op 0
		.amdhsa_exception_fp_denorm_src 0
		.amdhsa_exception_fp_ieee_div_zero 0
		.amdhsa_exception_fp_ieee_overflow 0
		.amdhsa_exception_fp_ieee_underflow 0
		.amdhsa_exception_fp_ieee_inexact 0
		.amdhsa_exception_int_div_zero 0
	.end_amdhsa_kernel
	.section	.text._Z17sort_pairs_kernelIiLj512ELj4EN10test_utils4lessELj10EEvPKT_PS2_T2_,"axG",@progbits,_Z17sort_pairs_kernelIiLj512ELj4EN10test_utils4lessELj10EEvPKT_PS2_T2_,comdat
.Lfunc_end37:
	.size	_Z17sort_pairs_kernelIiLj512ELj4EN10test_utils4lessELj10EEvPKT_PS2_T2_, .Lfunc_end37-_Z17sort_pairs_kernelIiLj512ELj4EN10test_utils4lessELj10EEvPKT_PS2_T2_
                                        ; -- End function
	.set _Z17sort_pairs_kernelIiLj512ELj4EN10test_utils4lessELj10EEvPKT_PS2_T2_.num_vgpr, 92
	.set _Z17sort_pairs_kernelIiLj512ELj4EN10test_utils4lessELj10EEvPKT_PS2_T2_.num_agpr, 0
	.set _Z17sort_pairs_kernelIiLj512ELj4EN10test_utils4lessELj10EEvPKT_PS2_T2_.numbered_sgpr, 26
	.set _Z17sort_pairs_kernelIiLj512ELj4EN10test_utils4lessELj10EEvPKT_PS2_T2_.num_named_barrier, 0
	.set _Z17sort_pairs_kernelIiLj512ELj4EN10test_utils4lessELj10EEvPKT_PS2_T2_.private_seg_size, 0
	.set _Z17sort_pairs_kernelIiLj512ELj4EN10test_utils4lessELj10EEvPKT_PS2_T2_.uses_vcc, 1
	.set _Z17sort_pairs_kernelIiLj512ELj4EN10test_utils4lessELj10EEvPKT_PS2_T2_.uses_flat_scratch, 0
	.set _Z17sort_pairs_kernelIiLj512ELj4EN10test_utils4lessELj10EEvPKT_PS2_T2_.has_dyn_sized_stack, 0
	.set _Z17sort_pairs_kernelIiLj512ELj4EN10test_utils4lessELj10EEvPKT_PS2_T2_.has_recursion, 0
	.set _Z17sort_pairs_kernelIiLj512ELj4EN10test_utils4lessELj10EEvPKT_PS2_T2_.has_indirect_call, 0
	.section	.AMDGPU.csdata,"",@progbits
; Kernel info:
; codeLenInByte = 9744
; TotalNumSgprs: 28
; NumVgprs: 92
; ScratchSize: 0
; MemoryBound: 0
; FloatMode: 240
; IeeeMode: 1
; LDSByteSize: 8196 bytes/workgroup (compile time only)
; SGPRBlocks: 0
; VGPRBlocks: 11
; NumSGPRsForWavesPerEU: 28
; NumVGPRsForWavesPerEU: 92
; Occupancy: 16
; WaveLimiterHint : 1
; COMPUTE_PGM_RSRC2:SCRATCH_EN: 0
; COMPUTE_PGM_RSRC2:USER_SGPR: 2
; COMPUTE_PGM_RSRC2:TRAP_HANDLER: 0
; COMPUTE_PGM_RSRC2:TGID_X_EN: 1
; COMPUTE_PGM_RSRC2:TGID_Y_EN: 0
; COMPUTE_PGM_RSRC2:TGID_Z_EN: 0
; COMPUTE_PGM_RSRC2:TIDIG_COMP_CNT: 0
	.section	.text._Z16sort_keys_kernelIiLj512ELj8EN10test_utils4lessELj10EEvPKT_PS2_T2_,"axG",@progbits,_Z16sort_keys_kernelIiLj512ELj8EN10test_utils4lessELj10EEvPKT_PS2_T2_,comdat
	.protected	_Z16sort_keys_kernelIiLj512ELj8EN10test_utils4lessELj10EEvPKT_PS2_T2_ ; -- Begin function _Z16sort_keys_kernelIiLj512ELj8EN10test_utils4lessELj10EEvPKT_PS2_T2_
	.globl	_Z16sort_keys_kernelIiLj512ELj8EN10test_utils4lessELj10EEvPKT_PS2_T2_
	.p2align	8
	.type	_Z16sort_keys_kernelIiLj512ELj8EN10test_utils4lessELj10EEvPKT_PS2_T2_,@function
_Z16sort_keys_kernelIiLj512ELj8EN10test_utils4lessELj10EEvPKT_PS2_T2_: ; @_Z16sort_keys_kernelIiLj512ELj8EN10test_utils4lessELj10EEvPKT_PS2_T2_
; %bb.0:
	s_load_b128 s[16:19], s[0:1], 0x0
	s_lshl_b32 s20, ttmp9, 12
	s_mov_b32 s21, 0
	v_lshlrev_b32_e32 v1, 2, v0
	s_lshl_b64 s[22:23], s[20:21], 2
	v_lshlrev_b32_e32 v60, 3, v0
	s_delay_alu instid0(VALU_DEP_1)
	v_and_b32_e32 v31, 0xe00, v60
	v_and_b32_e32 v66, 0x1f8, v60
	;; [unrolled: 1-line block ×5, first 2 shown]
	v_or_b32_e32 v33, 0x100, v31
	v_add_nc_u32_e32 v34, 0x200, v31
	v_and_b32_e32 v17, 0xf80, v60
	v_and_b32_e32 v24, 0xf00, v60
	;; [unrolled: 1-line block ×3, first 2 shown]
	s_wait_kmcnt 0x0
	s_add_nc_u64 s[0:1], s[16:17], s[22:23]
	v_sub_nc_u32_e32 v43, v34, v33
	s_clause 0x7
	global_load_b32 v75, v1, s[0:1]
	global_load_b32 v76, v1, s[0:1] offset:2048
	global_load_b32 v72, v1, s[0:1] offset:4096
	;; [unrolled: 1-line block ×7, first 2 shown]
	v_and_b32_e32 v1, 0xff0, v60
	v_add_nc_u32_e32 v45, 0x400, v40
	v_or_b32_e32 v5, 16, v4
	v_sub_nc_u32_e32 v44, v66, v43
	v_cmp_ge_i32_e64 s4, v66, v43
	v_or_b32_e32 v2, 8, v1
	v_add_nc_u32_e32 v3, 16, v1
	v_add_nc_u32_e32 v6, 32, v4
	v_or_b32_e32 v12, 32, v10
	v_cndmask_b32_e64 v43, 0, v44, s4
	v_or_b32_e32 v44, 0x200, v40
	v_add_nc_u32_e32 v13, 64, v10
	v_or_b32_e32 v19, 64, v17
	v_add_nc_u32_e32 v20, 0x80, v17
	;; [unrolled: 2-line block ×4, first 2 shown]
	v_and_b32_e32 v67, 0x3f8, v60
	v_sub_nc_u32_e32 v50, v45, v44
	v_and_b32_e32 v61, 8, v60
	v_sub_nc_u32_e32 v7, v3, v2
	;; [unrolled: 2-line block ×7, first 2 shown]
	v_sub_nc_u32_e32 v51, v67, v50
	v_cmp_ge_i32_e64 s5, v67, v50
	v_sub_nc_u32_e32 v8, v61, v7
	v_sub_nc_u32_e32 v9, v2, v1
	v_cmp_ge_i32_e32 vcc_lo, v61, v7
	v_sub_nc_u32_e32 v15, v62, v14
	v_sub_nc_u32_e32 v16, v5, v4
	v_cmp_ge_i32_e64 s0, v62, v14
	v_sub_nc_u32_e32 v22, v63, v21
	v_sub_nc_u32_e32 v23, v12, v10
	v_cmp_ge_i32_e64 s1, v63, v21
	;; [unrolled: 3-line block ×4, first 2 shown]
	v_sub_nc_u32_e32 v46, v33, v31
	v_sub_nc_u32_e32 v53, v44, v40
	v_sub_nc_u32_e32 v54, v47, v42
	v_sub_nc_u32_e32 v55, v68, v52
	s_wait_alu 0xf1ff
	v_cndmask_b32_e64 v50, 0, v51, s5
	v_cmp_ge_i32_e64 s5, v68, v52
	v_cndmask_b32_e32 v7, 0, v8, vcc_lo
	v_min_i32_e32 v8, v61, v9
	v_lshlrev_b32_e32 v9, 5, v0
	v_cndmask_b32_e64 v14, 0, v15, s0
	v_min_i32_e32 v15, v62, v16
	v_add_nc_u32_e32 v16, v2, v61
	v_cndmask_b32_e64 v21, 0, v22, s1
	v_min_i32_e32 v22, v63, v23
	v_add_nc_u32_e32 v23, v5, v62
	;; [unrolled: 3-line block ×4, first 2 shown]
	v_add_nc_u32_e32 v39, v26, v65
	v_min_i32_e32 v46, v66, v46
	v_add_nc_u32_e32 v49, v33, v66
	v_min_i32_e32 v51, v67, v53
	s_wait_alu 0xf1ff
	v_cndmask_b32_e64 v52, 0, v55, s5
	v_min_i32_e32 v53, v68, v54
	v_add_nc_u32_e32 v55, v44, v67
	v_subrev_nc_u32_e64 v57, 0x800, v60 clamp
	v_min_i32_e32 v58, 0x800, v60
	v_add_nc_u32_e32 v59, v47, v68
	v_lshlrev_b32_e32 v61, 2, v61
	v_lshlrev_b32_e32 v62, 2, v62
	;; [unrolled: 1-line block ×10, first 2 shown]
	v_cmp_lt_i32_e64 s0, v14, v15
	v_lshlrev_b32_e32 v25, 2, v10
	v_cmp_lt_i32_e64 s1, v21, v22
	v_lshlrev_b32_e32 v32, 2, v17
	;; [unrolled: 2-line block ×6, first 2 shown]
	v_cmp_lt_i32_e64 s6, v52, v53
	v_cmp_lt_i32_e64 s7, v57, v58
	v_add_nc_u32_e32 v60, 0x800, v60
	v_lshl_add_u32 v61, v2, 2, v61
	v_lshl_add_u32 v62, v5, 2, v62
	;; [unrolled: 1-line block ×8, first 2 shown]
	v_add_nc_u32_e32 v69, 0x2000, v9
	v_cmp_lt_i32_e32 vcc_lo, v7, v8
	s_branch .LBB38_2
.LBB38_1:                               ;   in Loop: Header=BB38_2 Depth=1
	s_or_b32 exec_lo, exec_lo, s15
	v_cndmask_b32_e64 v75, v70, v71, s8
	v_cndmask_b32_e64 v76, v72, v73, s9
	v_cmp_le_i32_e64 s8, 0x800, v88
	s_wait_dscnt 0x0
	v_cmp_lt_i32_e64 s9, v89, v87
	v_cndmask_b32_e64 v72, v74, v77, s10
	v_cmp_gt_i32_e64 s10, 0x1000, v86
	v_cndmask_b32_e64 v77, v78, v79, s11
	v_cndmask_b32_e64 v73, v80, v81, s12
	s_or_b32 s8, s8, s9
	v_cndmask_b32_e64 v74, v82, v83, s13
	s_wait_alu 0xfffe
	s_and_b32 s8, s10, s8
	v_cndmask_b32_e64 v70, v84, v85, s14
	s_wait_alu 0xfffe
	v_cndmask_b32_e64 v71, v87, v89, s8
	s_add_co_i32 s21, s21, 1
	s_delay_alu instid0(SALU_CYCLE_1)
	s_cmp_eq_u32 s21, 10
	s_cbranch_scc1 .LBB38_290
.LBB38_2:                               ; =>This Loop Header: Depth=1
                                        ;     Child Loop BB38_4 Depth 2
                                        ;     Child Loop BB38_36 Depth 2
	;; [unrolled: 1-line block ×9, first 2 shown]
	s_wait_loadcnt 0x6
	v_cmp_lt_i32_e64 s8, v76, v75
	v_min_i32_e32 v79, v76, v75
	s_wait_loadcnt 0x4
	v_cmp_lt_i32_e64 s9, v77, v72
	v_max_i32_e32 v80, v76, v75
	v_max_i32_e32 v82, v77, v72
	s_wait_alu 0xf1ff
	v_cndmask_b32_e64 v78, v75, v76, s8
	v_cndmask_b32_e64 v75, v76, v75, s8
	s_wait_loadcnt 0x2
	v_cmp_lt_i32_e64 s8, v74, v73
	v_cndmask_b32_e64 v76, v77, v72, s9
	v_cndmask_b32_e64 v81, v72, v77, s9
	v_min_i32_e32 v72, v77, v72
	v_max_i32_e32 v84, v74, v73
	s_wait_alu 0xf1ff
	v_cndmask_b32_e64 v77, v74, v73, s8
	v_cndmask_b32_e64 v83, v73, v74, s8
	s_wait_loadcnt 0x0
	v_cmp_lt_i32_e64 s8, v71, v70
	v_min_i32_e32 v73, v74, v73
	v_cmp_lt_i32_e64 s9, v72, v80
	v_max_i32_e32 v86, v71, v70
	s_wait_alu 0xf1ff
	v_cndmask_b32_e64 v74, v71, v70, s8
	v_cndmask_b32_e64 v85, v70, v71, s8
	v_min_i32_e32 v70, v71, v70
	v_cmp_lt_i32_e64 s8, v73, v82
	v_cndmask_b32_e64 v71, v81, v80, s9
	v_cndmask_b32_e64 v75, v75, v72, s9
	v_max_i32_e32 v81, v72, v80
	v_cmp_lt_i32_e64 s9, v70, v84
	s_wait_alu 0xf1ff
	v_cndmask_b32_e64 v76, v76, v73, s8
	v_max_i32_e32 v87, v73, v82
	v_min_i32_e32 v73, v73, v82
	v_min_i32_e32 v80, v72, v80
	v_cndmask_b32_e64 v83, v83, v82, s8
	v_cndmask_b32_e64 v77, v77, v70, s9
	v_cmp_lt_i32_e64 s8, v72, v79
	v_max_i32_e32 v72, v70, v84
	v_min_i32_e32 v70, v70, v84
	v_cndmask_b32_e64 v82, v85, v84, s9
	v_cmp_lt_i32_e64 s9, v73, v81
	s_wait_alu 0xf1ff
	v_cndmask_b32_e64 v78, v78, v80, s8
	v_cndmask_b32_e64 v75, v75, v79, s8
	;; [unrolled: 1-line block ×4, first 2 shown]
	v_cmp_lt_i32_e64 s8, v70, v87
	v_cndmask_b32_e64 v76, v76, v81, s9
	v_cndmask_b32_e64 v71, v71, v73, s9
	v_max_i32_e32 v80, v73, v81
	v_min_i32_e32 v73, v73, v81
	v_cmp_gt_i32_e64 s9, v84, v86
	s_wait_alu 0xf1ff
	v_cndmask_b32_e64 v81, v83, v70, s8
	v_max_i32_e32 v83, v70, v87
	v_min_i32_e32 v70, v70, v87
	v_cndmask_b32_e64 v77, v77, v87, s8
	v_cndmask_b32_e64 v74, v74, v72, s9
	v_cmp_lt_i32_e64 s8, v73, v79
	v_cndmask_b32_e64 v84, v86, v72, s9
	v_cndmask_b32_e64 v72, v72, v86, s9
	;; [unrolled: 1-line block ×3, first 2 shown]
	v_cmp_lt_i32_e64 s9, v70, v80
	s_wait_alu 0xf1ff
	v_cndmask_b32_e64 v71, v71, v79, s8
	v_cndmask_b32_e64 v75, v75, v73, s8
	v_max_i32_e32 v86, v73, v79
	v_min_i32_e32 v73, v73, v79
	v_cmp_lt_i32_e64 s8, v72, v83
	v_cndmask_b32_e64 v79, v81, v80, s9
	v_cndmask_b32_e64 v76, v76, v70, s9
	v_max_i32_e32 v81, v70, v80
	v_min_i32_e32 v70, v70, v80
	s_wait_alu 0xf1ff
	v_cndmask_b32_e64 v80, v82, v83, s8
	v_cmp_lt_i32_e64 s9, v73, v85
	v_cndmask_b32_e64 v77, v77, v72, s8
	v_max_i32_e32 v82, v72, v83
	v_min_i32_e32 v72, v72, v83
	v_cmp_lt_i32_e64 s8, v70, v86
	s_wait_alu 0xf1ff
	v_cndmask_b32_e64 v78, v78, v73, s9
	v_cndmask_b32_e64 v75, v75, v85, s9
	v_min_i32_e32 v83, v73, v85
	v_cmp_lt_i32_e64 s9, v72, v81
	v_max_i32_e32 v73, v73, v85
	v_cndmask_b32_e64 v76, v76, v86, s8
	v_cndmask_b32_e64 v71, v71, v70, s8
	v_max_i32_e32 v85, v70, v86
	v_min_i32_e32 v70, v70, v86
	v_cmp_lt_i32_e64 s8, v84, v82
	s_wait_alu 0xf1ff
	v_cndmask_b32_e64 v79, v79, v72, s9
	v_max_i32_e32 v86, v72, v81
	v_min_i32_e32 v72, v72, v81
	v_cndmask_b32_e64 v77, v77, v81, s9
	v_cndmask_b32_e64 v74, v74, v82, s8
	v_cmp_lt_i32_e64 s9, v70, v73
	v_max_i32_e32 v81, v84, v82
	v_min_i32_e32 v82, v84, v82
	v_cndmask_b32_e64 v80, v80, v84, s8
	v_cmp_lt_i32_e64 s8, v72, v85
	s_wait_alu 0xf1ff
	v_cndmask_b32_e64 v75, v75, v70, s9
	v_cndmask_b32_e64 v71, v71, v73, s9
	v_cmp_lt_i32_e64 s9, v82, v86
	v_max_i32_e32 v84, v70, v73
	v_cndmask_b32_e64 v76, v76, v72, s8
	v_max_i32_e32 v87, v72, v85
	v_min_i32_e32 v72, v72, v85
	v_min_i32_e32 v73, v70, v73
	v_cndmask_b32_e64 v79, v79, v85, s8
	s_wait_alu 0xf1ff
	v_cndmask_b32_e64 v77, v77, v82, s9
	v_cmp_lt_i32_e64 s8, v70, v83
	v_max_i32_e32 v70, v82, v86
	v_min_i32_e32 v82, v82, v86
	v_cndmask_b32_e64 v80, v80, v86, s9
	v_cmp_lt_i32_e64 s9, v72, v84
	s_wait_alu 0xf1ff
	v_cndmask_b32_e64 v78, v78, v73, s8
	v_cndmask_b32_e64 v75, v75, v83, s8
	;; [unrolled: 1-line block ×3, first 2 shown]
	v_cmp_lt_i32_e64 s8, v82, v87
	v_cndmask_b32_e64 v71, v71, v72, s9
	v_cndmask_b32_e64 v76, v76, v84, s9
	v_cmp_gt_i32_e64 s9, v86, v81
	v_max_i32_e32 v83, v72, v84
	v_min_i32_e32 v72, v72, v84
	s_wait_alu 0xf1ff
	v_cndmask_b32_e64 v79, v79, v82, s8
	v_max_i32_e32 v84, v82, v87
	v_min_i32_e32 v82, v82, v87
	v_cndmask_b32_e64 v74, v74, v70, s9
	v_cndmask_b32_e64 v70, v70, v81, s9
	;; [unrolled: 1-line block ×3, first 2 shown]
	v_cmp_lt_i32_e64 s8, v72, v73
	v_cndmask_b32_e64 v80, v80, v81, s9
	v_cmp_lt_i32_e64 s9, v82, v83
	v_cmp_lt_i32_e64 s10, v70, v84
	s_barrier_signal -1
	s_wait_alu 0xf1ff
	v_cndmask_b32_e64 v72, v75, v72, s8
	v_cndmask_b32_e64 v71, v71, v73, s8
	;; [unrolled: 1-line block ×6, first 2 shown]
	s_barrier_wait -1
	global_inv scope:SCOPE_SE
	ds_store_2addr_b32 v9, v78, v72 offset1:1
	ds_store_2addr_b32 v9, v71, v75 offset0:2 offset1:3
	ds_store_2addr_b32 v9, v73, v70 offset0:4 offset1:5
	;; [unrolled: 1-line block ×3, first 2 shown]
	v_mov_b32_e32 v72, v7
	s_wait_loadcnt_dscnt 0x0
	s_barrier_signal -1
	s_barrier_wait -1
	global_inv scope:SCOPE_SE
	s_and_saveexec_b32 s9, vcc_lo
	s_cbranch_execz .LBB38_6
; %bb.3:                                ;   in Loop: Header=BB38_2 Depth=1
	v_mov_b32_e32 v72, v7
	v_mov_b32_e32 v70, v8
	s_mov_b32 s10, 0
.LBB38_4:                               ;   Parent Loop BB38_2 Depth=1
                                        ; =>  This Inner Loop Header: Depth=2
	s_delay_alu instid0(VALU_DEP_1) | instskip(NEXT) | instid1(VALU_DEP_1)
	v_sub_nc_u32_e32 v71, v70, v72
	v_lshrrev_b32_e32 v71, 1, v71
	s_delay_alu instid0(VALU_DEP_1) | instskip(NEXT) | instid1(VALU_DEP_1)
	v_add_nc_u32_e32 v71, v71, v72
	v_not_b32_e32 v73, v71
	v_lshl_add_u32 v74, v71, 2, v11
	v_add_nc_u32_e32 v75, 1, v71
	s_delay_alu instid0(VALU_DEP_3)
	v_lshl_add_u32 v73, v73, 2, v61
	ds_load_b32 v74, v74
	ds_load_b32 v73, v73
	s_wait_dscnt 0x0
	v_cmp_lt_i32_e64 s8, v73, v74
	s_wait_alu 0xf1ff
	s_delay_alu instid0(VALU_DEP_1) | instskip(SKIP_1) | instid1(VALU_DEP_1)
	v_cndmask_b32_e64 v70, v70, v71, s8
	v_cndmask_b32_e64 v72, v75, v72, s8
	v_cmp_ge_i32_e64 s8, v72, v70
	s_wait_alu 0xfffe
	s_or_b32 s10, s8, s10
	s_wait_alu 0xfffe
	s_and_not1_b32 exec_lo, exec_lo, s10
	s_cbranch_execnz .LBB38_4
; %bb.5:                                ;   in Loop: Header=BB38_2 Depth=1
	s_or_b32 exec_lo, exec_lo, s10
.LBB38_6:                               ;   in Loop: Header=BB38_2 Depth=1
	s_wait_alu 0xfffe
	s_or_b32 exec_lo, exec_lo, s9
	v_sub_nc_u32_e32 v74, v16, v72
	v_lshl_add_u32 v73, v72, 2, v11
	v_add_nc_u32_e32 v75, v72, v1
                                        ; implicit-def: $vgpr72
	s_delay_alu instid0(VALU_DEP_3) | instskip(SKIP_1) | instid1(VALU_DEP_3)
	v_lshlrev_b32_e32 v76, 2, v74
	v_cmp_gt_i32_e64 s10, v3, v74
	v_cmp_le_i32_e64 s8, v2, v75
	ds_load_b32 v70, v73
	ds_load_b32 v71, v76
	s_wait_dscnt 0x0
	v_cmp_lt_i32_e64 s9, v71, v70
	s_or_b32 s8, s8, s9
	s_wait_alu 0xfffe
	s_and_b32 s8, s10, s8
	s_wait_alu 0xfffe
	s_xor_b32 s9, s8, -1
	s_wait_alu 0xfffe
	s_and_saveexec_b32 s10, s9
	s_wait_alu 0xfffe
	s_xor_b32 s9, exec_lo, s10
; %bb.7:                                ;   in Loop: Header=BB38_2 Depth=1
	ds_load_b32 v72, v73 offset:4
                                        ; implicit-def: $vgpr76
; %bb.8:                                ;   in Loop: Header=BB38_2 Depth=1
	s_wait_alu 0xfffe
	s_or_saveexec_b32 s9, s9
	v_mov_b32_e32 v73, v71
	s_wait_alu 0xfffe
	s_xor_b32 exec_lo, exec_lo, s9
	s_cbranch_execz .LBB38_10
; %bb.9:                                ;   in Loop: Header=BB38_2 Depth=1
	ds_load_b32 v73, v76 offset:4
	s_wait_dscnt 0x1
	v_mov_b32_e32 v72, v70
.LBB38_10:                              ;   in Loop: Header=BB38_2 Depth=1
	s_or_b32 exec_lo, exec_lo, s9
	v_add_nc_u32_e32 v76, 1, v75
	v_add_nc_u32_e32 v78, 1, v74
	s_wait_dscnt 0x0
	v_cmp_lt_i32_e64 s10, v73, v72
	s_delay_alu instid0(VALU_DEP_3) | instskip(NEXT) | instid1(VALU_DEP_3)
	v_cndmask_b32_e64 v77, v76, v75, s8
	v_cndmask_b32_e64 v76, v74, v78, s8
                                        ; implicit-def: $vgpr74
	s_delay_alu instid0(VALU_DEP_2) | instskip(NEXT) | instid1(VALU_DEP_2)
	v_cmp_ge_i32_e64 s9, v77, v2
	v_cmp_lt_i32_e64 s11, v76, v3
	s_or_b32 s9, s9, s10
	s_wait_alu 0xfffe
	s_and_b32 s9, s11, s9
	s_wait_alu 0xfffe
	s_xor_b32 s10, s9, -1
	s_wait_alu 0xfffe
	s_and_saveexec_b32 s11, s10
	s_wait_alu 0xfffe
	s_xor_b32 s10, exec_lo, s11
; %bb.11:                               ;   in Loop: Header=BB38_2 Depth=1
	v_lshlrev_b32_e32 v74, 2, v77
	ds_load_b32 v74, v74 offset:4
; %bb.12:                               ;   in Loop: Header=BB38_2 Depth=1
	s_wait_alu 0xfffe
	s_or_saveexec_b32 s10, s10
	v_mov_b32_e32 v75, v73
	s_wait_alu 0xfffe
	s_xor_b32 exec_lo, exec_lo, s10
	s_cbranch_execz .LBB38_14
; %bb.13:                               ;   in Loop: Header=BB38_2 Depth=1
	s_wait_dscnt 0x0
	v_lshlrev_b32_e32 v74, 2, v76
	ds_load_b32 v75, v74 offset:4
	v_mov_b32_e32 v74, v72
.LBB38_14:                              ;   in Loop: Header=BB38_2 Depth=1
	s_or_b32 exec_lo, exec_lo, s10
	v_add_nc_u32_e32 v78, 1, v77
	v_add_nc_u32_e32 v80, 1, v76
	s_wait_dscnt 0x0
	v_cmp_lt_i32_e64 s11, v75, v74
	s_delay_alu instid0(VALU_DEP_3) | instskip(NEXT) | instid1(VALU_DEP_3)
	v_cndmask_b32_e64 v79, v78, v77, s9
	v_cndmask_b32_e64 v78, v76, v80, s9
                                        ; implicit-def: $vgpr76
	s_delay_alu instid0(VALU_DEP_2) | instskip(NEXT) | instid1(VALU_DEP_2)
	v_cmp_ge_i32_e64 s10, v79, v2
	v_cmp_lt_i32_e64 s12, v78, v3
	s_or_b32 s10, s10, s11
	s_wait_alu 0xfffe
	s_and_b32 s10, s12, s10
	s_wait_alu 0xfffe
	s_xor_b32 s11, s10, -1
	s_wait_alu 0xfffe
	s_and_saveexec_b32 s12, s11
	s_wait_alu 0xfffe
	s_xor_b32 s11, exec_lo, s12
; %bb.15:                               ;   in Loop: Header=BB38_2 Depth=1
	v_lshlrev_b32_e32 v76, 2, v79
	ds_load_b32 v76, v76 offset:4
; %bb.16:                               ;   in Loop: Header=BB38_2 Depth=1
	s_wait_alu 0xfffe
	s_or_saveexec_b32 s11, s11
	v_mov_b32_e32 v77, v75
	s_wait_alu 0xfffe
	s_xor_b32 exec_lo, exec_lo, s11
	s_cbranch_execz .LBB38_18
; %bb.17:                               ;   in Loop: Header=BB38_2 Depth=1
	s_wait_dscnt 0x0
	v_lshlrev_b32_e32 v76, 2, v78
	ds_load_b32 v77, v76 offset:4
	v_mov_b32_e32 v76, v74
.LBB38_18:                              ;   in Loop: Header=BB38_2 Depth=1
	s_or_b32 exec_lo, exec_lo, s11
	v_add_nc_u32_e32 v80, 1, v79
	v_add_nc_u32_e32 v82, 1, v78
	s_wait_dscnt 0x0
	v_cmp_lt_i32_e64 s12, v77, v76
	s_delay_alu instid0(VALU_DEP_3) | instskip(NEXT) | instid1(VALU_DEP_3)
	v_cndmask_b32_e64 v81, v80, v79, s10
	v_cndmask_b32_e64 v80, v78, v82, s10
                                        ; implicit-def: $vgpr78
	s_delay_alu instid0(VALU_DEP_2) | instskip(NEXT) | instid1(VALU_DEP_2)
	v_cmp_ge_i32_e64 s11, v81, v2
	v_cmp_lt_i32_e64 s13, v80, v3
	s_or_b32 s11, s11, s12
	s_wait_alu 0xfffe
	s_and_b32 s11, s13, s11
	s_wait_alu 0xfffe
	s_xor_b32 s12, s11, -1
	s_wait_alu 0xfffe
	s_and_saveexec_b32 s13, s12
	s_wait_alu 0xfffe
	s_xor_b32 s12, exec_lo, s13
; %bb.19:                               ;   in Loop: Header=BB38_2 Depth=1
	v_lshlrev_b32_e32 v78, 2, v81
	ds_load_b32 v78, v78 offset:4
; %bb.20:                               ;   in Loop: Header=BB38_2 Depth=1
	s_wait_alu 0xfffe
	s_or_saveexec_b32 s12, s12
	v_mov_b32_e32 v79, v77
	s_wait_alu 0xfffe
	s_xor_b32 exec_lo, exec_lo, s12
	s_cbranch_execz .LBB38_22
; %bb.21:                               ;   in Loop: Header=BB38_2 Depth=1
	s_wait_dscnt 0x0
	v_lshlrev_b32_e32 v78, 2, v80
	ds_load_b32 v79, v78 offset:4
	v_mov_b32_e32 v78, v76
.LBB38_22:                              ;   in Loop: Header=BB38_2 Depth=1
	s_or_b32 exec_lo, exec_lo, s12
	v_add_nc_u32_e32 v82, 1, v81
	v_add_nc_u32_e32 v84, 1, v80
	s_wait_dscnt 0x0
	v_cmp_lt_i32_e64 s13, v79, v78
	s_delay_alu instid0(VALU_DEP_3) | instskip(NEXT) | instid1(VALU_DEP_3)
	v_cndmask_b32_e64 v83, v82, v81, s11
	v_cndmask_b32_e64 v82, v80, v84, s11
                                        ; implicit-def: $vgpr80
	s_delay_alu instid0(VALU_DEP_2) | instskip(NEXT) | instid1(VALU_DEP_2)
	v_cmp_ge_i32_e64 s12, v83, v2
	v_cmp_lt_i32_e64 s14, v82, v3
	s_or_b32 s12, s12, s13
	s_wait_alu 0xfffe
	s_and_b32 s12, s14, s12
	s_wait_alu 0xfffe
	s_xor_b32 s13, s12, -1
	s_wait_alu 0xfffe
	s_and_saveexec_b32 s14, s13
	s_wait_alu 0xfffe
	s_xor_b32 s13, exec_lo, s14
; %bb.23:                               ;   in Loop: Header=BB38_2 Depth=1
	v_lshlrev_b32_e32 v80, 2, v83
	ds_load_b32 v80, v80 offset:4
; %bb.24:                               ;   in Loop: Header=BB38_2 Depth=1
	s_wait_alu 0xfffe
	s_or_saveexec_b32 s13, s13
	v_mov_b32_e32 v81, v79
	s_wait_alu 0xfffe
	s_xor_b32 exec_lo, exec_lo, s13
	s_cbranch_execz .LBB38_26
; %bb.25:                               ;   in Loop: Header=BB38_2 Depth=1
	s_wait_dscnt 0x0
	v_lshlrev_b32_e32 v80, 2, v82
	ds_load_b32 v81, v80 offset:4
	v_mov_b32_e32 v80, v78
.LBB38_26:                              ;   in Loop: Header=BB38_2 Depth=1
	s_or_b32 exec_lo, exec_lo, s13
	v_add_nc_u32_e32 v84, 1, v83
	v_add_nc_u32_e32 v86, 1, v82
	s_wait_dscnt 0x0
	v_cmp_lt_i32_e64 s14, v81, v80
	s_delay_alu instid0(VALU_DEP_3) | instskip(NEXT) | instid1(VALU_DEP_3)
	v_cndmask_b32_e64 v85, v84, v83, s12
	v_cndmask_b32_e64 v84, v82, v86, s12
                                        ; implicit-def: $vgpr82
	s_delay_alu instid0(VALU_DEP_2) | instskip(NEXT) | instid1(VALU_DEP_2)
	v_cmp_ge_i32_e64 s13, v85, v2
	v_cmp_lt_i32_e64 s15, v84, v3
	s_or_b32 s13, s13, s14
	s_wait_alu 0xfffe
	s_and_b32 s13, s15, s13
	s_wait_alu 0xfffe
	s_xor_b32 s14, s13, -1
	s_wait_alu 0xfffe
	s_and_saveexec_b32 s15, s14
	s_wait_alu 0xfffe
	s_xor_b32 s14, exec_lo, s15
; %bb.27:                               ;   in Loop: Header=BB38_2 Depth=1
	v_lshlrev_b32_e32 v82, 2, v85
	ds_load_b32 v82, v82 offset:4
; %bb.28:                               ;   in Loop: Header=BB38_2 Depth=1
	s_wait_alu 0xfffe
	s_or_saveexec_b32 s14, s14
	v_mov_b32_e32 v83, v81
	s_wait_alu 0xfffe
	s_xor_b32 exec_lo, exec_lo, s14
	s_cbranch_execz .LBB38_30
; %bb.29:                               ;   in Loop: Header=BB38_2 Depth=1
	s_wait_dscnt 0x0
	v_lshlrev_b32_e32 v82, 2, v84
	ds_load_b32 v83, v82 offset:4
	v_mov_b32_e32 v82, v80
.LBB38_30:                              ;   in Loop: Header=BB38_2 Depth=1
	s_or_b32 exec_lo, exec_lo, s14
	v_add_nc_u32_e32 v86, 1, v85
	v_add_nc_u32_e32 v87, 1, v84
	s_wait_dscnt 0x0
	v_cmp_lt_i32_e64 s15, v83, v82
	s_delay_alu instid0(VALU_DEP_3) | instskip(NEXT) | instid1(VALU_DEP_3)
	v_cndmask_b32_e64 v86, v86, v85, s13
	v_cndmask_b32_e64 v85, v84, v87, s13
                                        ; implicit-def: $vgpr84
	s_delay_alu instid0(VALU_DEP_2) | instskip(NEXT) | instid1(VALU_DEP_2)
	v_cmp_ge_i32_e64 s14, v86, v2
	v_cmp_lt_i32_e64 s16, v85, v3
	s_or_b32 s14, s14, s15
	s_wait_alu 0xfffe
	s_and_b32 s14, s16, s14
	s_wait_alu 0xfffe
	s_xor_b32 s15, s14, -1
	s_wait_alu 0xfffe
	s_and_saveexec_b32 s16, s15
	s_delay_alu instid0(SALU_CYCLE_1)
	s_xor_b32 s15, exec_lo, s16
; %bb.31:                               ;   in Loop: Header=BB38_2 Depth=1
	v_lshlrev_b32_e32 v84, 2, v86
	ds_load_b32 v84, v84 offset:4
; %bb.32:                               ;   in Loop: Header=BB38_2 Depth=1
	s_wait_alu 0xfffe
	s_or_saveexec_b32 s15, s15
	v_mov_b32_e32 v87, v83
	s_wait_alu 0xfffe
	s_xor_b32 exec_lo, exec_lo, s15
	s_cbranch_execz .LBB38_34
; %bb.33:                               ;   in Loop: Header=BB38_2 Depth=1
	s_wait_dscnt 0x0
	v_lshlrev_b32_e32 v84, 2, v85
	ds_load_b32 v87, v84 offset:4
	v_mov_b32_e32 v84, v82
.LBB38_34:                              ;   in Loop: Header=BB38_2 Depth=1
	s_or_b32 exec_lo, exec_lo, s15
	v_add_nc_u32_e32 v88, 1, v86
	v_add_nc_u32_e32 v89, 1, v85
	v_cndmask_b32_e64 v80, v80, v81, s13
	v_cndmask_b32_e64 v78, v78, v79, s12
	;; [unrolled: 1-line block ×5, first 2 shown]
	s_wait_dscnt 0x0
	v_cmp_lt_i32_e64 s11, v87, v84
	v_cndmask_b32_e64 v74, v74, v75, s10
	v_cndmask_b32_e64 v70, v70, v71, s8
	v_cmp_ge_i32_e64 s12, v81, v2
	v_cmp_lt_i32_e64 s10, v79, v3
	v_cndmask_b32_e64 v72, v72, v73, s9
	v_cndmask_b32_e64 v82, v82, v83, s14
	s_wait_loadcnt 0x0
	s_or_b32 s8, s12, s11
	s_barrier_signal -1
	s_wait_alu 0xfffe
	s_and_b32 s8, s10, s8
	s_barrier_wait -1
	s_wait_alu 0xfffe
	v_cndmask_b32_e64 v71, v84, v87, s8
	global_inv scope:SCOPE_SE
	ds_store_2addr_b32 v9, v70, v72 offset1:1
	ds_store_2addr_b32 v9, v74, v76 offset0:2 offset1:3
	ds_store_2addr_b32 v9, v78, v80 offset0:4 offset1:5
	;; [unrolled: 1-line block ×3, first 2 shown]
	v_mov_b32_e32 v72, v14
	s_wait_loadcnt_dscnt 0x0
	s_barrier_signal -1
	s_barrier_wait -1
	global_inv scope:SCOPE_SE
	s_and_saveexec_b32 s9, s0
	s_cbranch_execz .LBB38_38
; %bb.35:                               ;   in Loop: Header=BB38_2 Depth=1
	v_mov_b32_e32 v72, v14
	v_mov_b32_e32 v70, v15
	s_mov_b32 s10, 0
.LBB38_36:                              ;   Parent Loop BB38_2 Depth=1
                                        ; =>  This Inner Loop Header: Depth=2
	s_delay_alu instid0(VALU_DEP_1) | instskip(NEXT) | instid1(VALU_DEP_1)
	v_sub_nc_u32_e32 v71, v70, v72
	v_lshrrev_b32_e32 v71, 1, v71
	s_delay_alu instid0(VALU_DEP_1) | instskip(NEXT) | instid1(VALU_DEP_1)
	v_add_nc_u32_e32 v71, v71, v72
	v_not_b32_e32 v73, v71
	v_lshl_add_u32 v74, v71, 2, v18
	v_add_nc_u32_e32 v75, 1, v71
	s_delay_alu instid0(VALU_DEP_3)
	v_lshl_add_u32 v73, v73, 2, v62
	ds_load_b32 v74, v74
	ds_load_b32 v73, v73
	s_wait_dscnt 0x0
	v_cmp_lt_i32_e64 s8, v73, v74
	s_wait_alu 0xf1ff
	s_delay_alu instid0(VALU_DEP_1) | instskip(SKIP_1) | instid1(VALU_DEP_1)
	v_cndmask_b32_e64 v70, v70, v71, s8
	v_cndmask_b32_e64 v72, v75, v72, s8
	v_cmp_ge_i32_e64 s8, v72, v70
	s_wait_alu 0xfffe
	s_or_b32 s10, s8, s10
	s_wait_alu 0xfffe
	s_and_not1_b32 exec_lo, exec_lo, s10
	s_cbranch_execnz .LBB38_36
; %bb.37:                               ;   in Loop: Header=BB38_2 Depth=1
	s_or_b32 exec_lo, exec_lo, s10
.LBB38_38:                              ;   in Loop: Header=BB38_2 Depth=1
	s_wait_alu 0xfffe
	s_or_b32 exec_lo, exec_lo, s9
	v_sub_nc_u32_e32 v74, v23, v72
	v_lshl_add_u32 v73, v72, 2, v18
	v_add_nc_u32_e32 v75, v72, v4
                                        ; implicit-def: $vgpr72
	s_delay_alu instid0(VALU_DEP_3) | instskip(SKIP_1) | instid1(VALU_DEP_3)
	v_lshlrev_b32_e32 v76, 2, v74
	v_cmp_gt_i32_e64 s10, v6, v74
	v_cmp_le_i32_e64 s8, v5, v75
	ds_load_b32 v70, v73
	ds_load_b32 v71, v76
	s_wait_dscnt 0x0
	v_cmp_lt_i32_e64 s9, v71, v70
	s_or_b32 s8, s8, s9
	s_wait_alu 0xfffe
	s_and_b32 s8, s10, s8
	s_wait_alu 0xfffe
	s_xor_b32 s9, s8, -1
	s_wait_alu 0xfffe
	s_and_saveexec_b32 s10, s9
	s_wait_alu 0xfffe
	s_xor_b32 s9, exec_lo, s10
; %bb.39:                               ;   in Loop: Header=BB38_2 Depth=1
	ds_load_b32 v72, v73 offset:4
                                        ; implicit-def: $vgpr76
; %bb.40:                               ;   in Loop: Header=BB38_2 Depth=1
	s_wait_alu 0xfffe
	s_or_saveexec_b32 s9, s9
	v_mov_b32_e32 v73, v71
	s_wait_alu 0xfffe
	s_xor_b32 exec_lo, exec_lo, s9
	s_cbranch_execz .LBB38_42
; %bb.41:                               ;   in Loop: Header=BB38_2 Depth=1
	ds_load_b32 v73, v76 offset:4
	s_wait_dscnt 0x1
	v_mov_b32_e32 v72, v70
.LBB38_42:                              ;   in Loop: Header=BB38_2 Depth=1
	s_or_b32 exec_lo, exec_lo, s9
	v_add_nc_u32_e32 v76, 1, v75
	v_add_nc_u32_e32 v78, 1, v74
	s_wait_dscnt 0x0
	v_cmp_lt_i32_e64 s10, v73, v72
	s_delay_alu instid0(VALU_DEP_3) | instskip(NEXT) | instid1(VALU_DEP_3)
	v_cndmask_b32_e64 v77, v76, v75, s8
	v_cndmask_b32_e64 v76, v74, v78, s8
                                        ; implicit-def: $vgpr74
	s_delay_alu instid0(VALU_DEP_2) | instskip(NEXT) | instid1(VALU_DEP_2)
	v_cmp_ge_i32_e64 s9, v77, v5
	v_cmp_lt_i32_e64 s11, v76, v6
	s_or_b32 s9, s9, s10
	s_wait_alu 0xfffe
	s_and_b32 s9, s11, s9
	s_wait_alu 0xfffe
	s_xor_b32 s10, s9, -1
	s_wait_alu 0xfffe
	s_and_saveexec_b32 s11, s10
	s_wait_alu 0xfffe
	s_xor_b32 s10, exec_lo, s11
; %bb.43:                               ;   in Loop: Header=BB38_2 Depth=1
	v_lshlrev_b32_e32 v74, 2, v77
	ds_load_b32 v74, v74 offset:4
; %bb.44:                               ;   in Loop: Header=BB38_2 Depth=1
	s_wait_alu 0xfffe
	s_or_saveexec_b32 s10, s10
	v_mov_b32_e32 v75, v73
	s_wait_alu 0xfffe
	s_xor_b32 exec_lo, exec_lo, s10
	s_cbranch_execz .LBB38_46
; %bb.45:                               ;   in Loop: Header=BB38_2 Depth=1
	s_wait_dscnt 0x0
	v_lshlrev_b32_e32 v74, 2, v76
	ds_load_b32 v75, v74 offset:4
	v_mov_b32_e32 v74, v72
.LBB38_46:                              ;   in Loop: Header=BB38_2 Depth=1
	s_or_b32 exec_lo, exec_lo, s10
	v_add_nc_u32_e32 v78, 1, v77
	v_add_nc_u32_e32 v80, 1, v76
	s_wait_dscnt 0x0
	v_cmp_lt_i32_e64 s11, v75, v74
	s_delay_alu instid0(VALU_DEP_3) | instskip(NEXT) | instid1(VALU_DEP_3)
	v_cndmask_b32_e64 v79, v78, v77, s9
	v_cndmask_b32_e64 v78, v76, v80, s9
                                        ; implicit-def: $vgpr76
	s_delay_alu instid0(VALU_DEP_2) | instskip(NEXT) | instid1(VALU_DEP_2)
	v_cmp_ge_i32_e64 s10, v79, v5
	v_cmp_lt_i32_e64 s12, v78, v6
	s_or_b32 s10, s10, s11
	s_wait_alu 0xfffe
	s_and_b32 s10, s12, s10
	s_wait_alu 0xfffe
	s_xor_b32 s11, s10, -1
	s_wait_alu 0xfffe
	s_and_saveexec_b32 s12, s11
	s_wait_alu 0xfffe
	s_xor_b32 s11, exec_lo, s12
; %bb.47:                               ;   in Loop: Header=BB38_2 Depth=1
	v_lshlrev_b32_e32 v76, 2, v79
	ds_load_b32 v76, v76 offset:4
; %bb.48:                               ;   in Loop: Header=BB38_2 Depth=1
	s_wait_alu 0xfffe
	s_or_saveexec_b32 s11, s11
	v_mov_b32_e32 v77, v75
	s_wait_alu 0xfffe
	s_xor_b32 exec_lo, exec_lo, s11
	s_cbranch_execz .LBB38_50
; %bb.49:                               ;   in Loop: Header=BB38_2 Depth=1
	s_wait_dscnt 0x0
	v_lshlrev_b32_e32 v76, 2, v78
	ds_load_b32 v77, v76 offset:4
	v_mov_b32_e32 v76, v74
.LBB38_50:                              ;   in Loop: Header=BB38_2 Depth=1
	s_or_b32 exec_lo, exec_lo, s11
	v_add_nc_u32_e32 v80, 1, v79
	v_add_nc_u32_e32 v82, 1, v78
	s_wait_dscnt 0x0
	v_cmp_lt_i32_e64 s12, v77, v76
	s_delay_alu instid0(VALU_DEP_3) | instskip(NEXT) | instid1(VALU_DEP_3)
	v_cndmask_b32_e64 v81, v80, v79, s10
	v_cndmask_b32_e64 v80, v78, v82, s10
                                        ; implicit-def: $vgpr78
	s_delay_alu instid0(VALU_DEP_2) | instskip(NEXT) | instid1(VALU_DEP_2)
	v_cmp_ge_i32_e64 s11, v81, v5
	v_cmp_lt_i32_e64 s13, v80, v6
	s_or_b32 s11, s11, s12
	s_wait_alu 0xfffe
	s_and_b32 s11, s13, s11
	s_wait_alu 0xfffe
	s_xor_b32 s12, s11, -1
	s_wait_alu 0xfffe
	s_and_saveexec_b32 s13, s12
	s_wait_alu 0xfffe
	s_xor_b32 s12, exec_lo, s13
; %bb.51:                               ;   in Loop: Header=BB38_2 Depth=1
	v_lshlrev_b32_e32 v78, 2, v81
	ds_load_b32 v78, v78 offset:4
; %bb.52:                               ;   in Loop: Header=BB38_2 Depth=1
	s_wait_alu 0xfffe
	s_or_saveexec_b32 s12, s12
	v_mov_b32_e32 v79, v77
	s_wait_alu 0xfffe
	s_xor_b32 exec_lo, exec_lo, s12
	s_cbranch_execz .LBB38_54
; %bb.53:                               ;   in Loop: Header=BB38_2 Depth=1
	s_wait_dscnt 0x0
	v_lshlrev_b32_e32 v78, 2, v80
	ds_load_b32 v79, v78 offset:4
	v_mov_b32_e32 v78, v76
.LBB38_54:                              ;   in Loop: Header=BB38_2 Depth=1
	s_or_b32 exec_lo, exec_lo, s12
	v_add_nc_u32_e32 v82, 1, v81
	v_add_nc_u32_e32 v84, 1, v80
	s_wait_dscnt 0x0
	v_cmp_lt_i32_e64 s13, v79, v78
	s_delay_alu instid0(VALU_DEP_3) | instskip(NEXT) | instid1(VALU_DEP_3)
	v_cndmask_b32_e64 v83, v82, v81, s11
	v_cndmask_b32_e64 v82, v80, v84, s11
                                        ; implicit-def: $vgpr80
	s_delay_alu instid0(VALU_DEP_2) | instskip(NEXT) | instid1(VALU_DEP_2)
	v_cmp_ge_i32_e64 s12, v83, v5
	v_cmp_lt_i32_e64 s14, v82, v6
	s_or_b32 s12, s12, s13
	s_wait_alu 0xfffe
	s_and_b32 s12, s14, s12
	s_wait_alu 0xfffe
	s_xor_b32 s13, s12, -1
	s_wait_alu 0xfffe
	s_and_saveexec_b32 s14, s13
	s_wait_alu 0xfffe
	s_xor_b32 s13, exec_lo, s14
; %bb.55:                               ;   in Loop: Header=BB38_2 Depth=1
	v_lshlrev_b32_e32 v80, 2, v83
	ds_load_b32 v80, v80 offset:4
; %bb.56:                               ;   in Loop: Header=BB38_2 Depth=1
	s_wait_alu 0xfffe
	s_or_saveexec_b32 s13, s13
	v_mov_b32_e32 v81, v79
	s_wait_alu 0xfffe
	s_xor_b32 exec_lo, exec_lo, s13
	s_cbranch_execz .LBB38_58
; %bb.57:                               ;   in Loop: Header=BB38_2 Depth=1
	s_wait_dscnt 0x0
	v_lshlrev_b32_e32 v80, 2, v82
	ds_load_b32 v81, v80 offset:4
	v_mov_b32_e32 v80, v78
.LBB38_58:                              ;   in Loop: Header=BB38_2 Depth=1
	s_or_b32 exec_lo, exec_lo, s13
	v_add_nc_u32_e32 v84, 1, v83
	v_add_nc_u32_e32 v86, 1, v82
	s_wait_dscnt 0x0
	v_cmp_lt_i32_e64 s14, v81, v80
	s_delay_alu instid0(VALU_DEP_3) | instskip(NEXT) | instid1(VALU_DEP_3)
	v_cndmask_b32_e64 v85, v84, v83, s12
	v_cndmask_b32_e64 v84, v82, v86, s12
                                        ; implicit-def: $vgpr82
	s_delay_alu instid0(VALU_DEP_2) | instskip(NEXT) | instid1(VALU_DEP_2)
	v_cmp_ge_i32_e64 s13, v85, v5
	v_cmp_lt_i32_e64 s15, v84, v6
	s_or_b32 s13, s13, s14
	s_wait_alu 0xfffe
	s_and_b32 s13, s15, s13
	s_wait_alu 0xfffe
	s_xor_b32 s14, s13, -1
	s_wait_alu 0xfffe
	s_and_saveexec_b32 s15, s14
	s_wait_alu 0xfffe
	s_xor_b32 s14, exec_lo, s15
; %bb.59:                               ;   in Loop: Header=BB38_2 Depth=1
	v_lshlrev_b32_e32 v82, 2, v85
	ds_load_b32 v82, v82 offset:4
; %bb.60:                               ;   in Loop: Header=BB38_2 Depth=1
	s_wait_alu 0xfffe
	s_or_saveexec_b32 s14, s14
	v_mov_b32_e32 v83, v81
	s_wait_alu 0xfffe
	s_xor_b32 exec_lo, exec_lo, s14
	s_cbranch_execz .LBB38_62
; %bb.61:                               ;   in Loop: Header=BB38_2 Depth=1
	s_wait_dscnt 0x0
	v_lshlrev_b32_e32 v82, 2, v84
	ds_load_b32 v83, v82 offset:4
	v_mov_b32_e32 v82, v80
.LBB38_62:                              ;   in Loop: Header=BB38_2 Depth=1
	s_or_b32 exec_lo, exec_lo, s14
	v_add_nc_u32_e32 v86, 1, v85
	v_add_nc_u32_e32 v87, 1, v84
	s_wait_dscnt 0x0
	v_cmp_lt_i32_e64 s15, v83, v82
	s_delay_alu instid0(VALU_DEP_3) | instskip(NEXT) | instid1(VALU_DEP_3)
	v_cndmask_b32_e64 v86, v86, v85, s13
	v_cndmask_b32_e64 v85, v84, v87, s13
                                        ; implicit-def: $vgpr84
	s_delay_alu instid0(VALU_DEP_2) | instskip(NEXT) | instid1(VALU_DEP_2)
	v_cmp_ge_i32_e64 s14, v86, v5
	v_cmp_lt_i32_e64 s16, v85, v6
	s_or_b32 s14, s14, s15
	s_wait_alu 0xfffe
	s_and_b32 s14, s16, s14
	s_wait_alu 0xfffe
	s_xor_b32 s15, s14, -1
	s_wait_alu 0xfffe
	s_and_saveexec_b32 s16, s15
	s_delay_alu instid0(SALU_CYCLE_1)
	s_xor_b32 s15, exec_lo, s16
; %bb.63:                               ;   in Loop: Header=BB38_2 Depth=1
	v_lshlrev_b32_e32 v84, 2, v86
	ds_load_b32 v84, v84 offset:4
; %bb.64:                               ;   in Loop: Header=BB38_2 Depth=1
	s_wait_alu 0xfffe
	s_or_saveexec_b32 s15, s15
	v_mov_b32_e32 v87, v83
	s_wait_alu 0xfffe
	s_xor_b32 exec_lo, exec_lo, s15
	s_cbranch_execz .LBB38_66
; %bb.65:                               ;   in Loop: Header=BB38_2 Depth=1
	s_wait_dscnt 0x0
	v_lshlrev_b32_e32 v84, 2, v85
	ds_load_b32 v87, v84 offset:4
	v_mov_b32_e32 v84, v82
.LBB38_66:                              ;   in Loop: Header=BB38_2 Depth=1
	s_or_b32 exec_lo, exec_lo, s15
	v_add_nc_u32_e32 v88, 1, v86
	v_add_nc_u32_e32 v89, 1, v85
	v_cndmask_b32_e64 v80, v80, v81, s13
	v_cndmask_b32_e64 v78, v78, v79, s12
	;; [unrolled: 1-line block ×5, first 2 shown]
	s_wait_dscnt 0x0
	v_cmp_lt_i32_e64 s11, v87, v84
	v_cndmask_b32_e64 v74, v74, v75, s10
	v_cndmask_b32_e64 v70, v70, v71, s8
	v_cmp_ge_i32_e64 s12, v81, v5
	v_cmp_lt_i32_e64 s10, v79, v6
	v_cndmask_b32_e64 v72, v72, v73, s9
	v_cndmask_b32_e64 v82, v82, v83, s14
	s_wait_loadcnt 0x0
	s_or_b32 s8, s12, s11
	s_barrier_signal -1
	s_wait_alu 0xfffe
	s_and_b32 s8, s10, s8
	s_barrier_wait -1
	s_wait_alu 0xfffe
	v_cndmask_b32_e64 v71, v84, v87, s8
	global_inv scope:SCOPE_SE
	ds_store_2addr_b32 v9, v70, v72 offset1:1
	ds_store_2addr_b32 v9, v74, v76 offset0:2 offset1:3
	ds_store_2addr_b32 v9, v78, v80 offset0:4 offset1:5
	;; [unrolled: 1-line block ×3, first 2 shown]
	v_mov_b32_e32 v72, v21
	s_wait_loadcnt_dscnt 0x0
	s_barrier_signal -1
	s_barrier_wait -1
	global_inv scope:SCOPE_SE
	s_and_saveexec_b32 s9, s1
	s_cbranch_execz .LBB38_70
; %bb.67:                               ;   in Loop: Header=BB38_2 Depth=1
	v_mov_b32_e32 v72, v21
	v_mov_b32_e32 v70, v22
	s_mov_b32 s10, 0
.LBB38_68:                              ;   Parent Loop BB38_2 Depth=1
                                        ; =>  This Inner Loop Header: Depth=2
	s_delay_alu instid0(VALU_DEP_1) | instskip(NEXT) | instid1(VALU_DEP_1)
	v_sub_nc_u32_e32 v71, v70, v72
	v_lshrrev_b32_e32 v71, 1, v71
	s_delay_alu instid0(VALU_DEP_1) | instskip(NEXT) | instid1(VALU_DEP_1)
	v_add_nc_u32_e32 v71, v71, v72
	v_not_b32_e32 v73, v71
	v_lshl_add_u32 v74, v71, 2, v25
	v_add_nc_u32_e32 v75, 1, v71
	s_delay_alu instid0(VALU_DEP_3)
	v_lshl_add_u32 v73, v73, 2, v63
	ds_load_b32 v74, v74
	ds_load_b32 v73, v73
	s_wait_dscnt 0x0
	v_cmp_lt_i32_e64 s8, v73, v74
	s_wait_alu 0xf1ff
	s_delay_alu instid0(VALU_DEP_1) | instskip(SKIP_1) | instid1(VALU_DEP_1)
	v_cndmask_b32_e64 v70, v70, v71, s8
	v_cndmask_b32_e64 v72, v75, v72, s8
	v_cmp_ge_i32_e64 s8, v72, v70
	s_wait_alu 0xfffe
	s_or_b32 s10, s8, s10
	s_wait_alu 0xfffe
	s_and_not1_b32 exec_lo, exec_lo, s10
	s_cbranch_execnz .LBB38_68
; %bb.69:                               ;   in Loop: Header=BB38_2 Depth=1
	s_or_b32 exec_lo, exec_lo, s10
.LBB38_70:                              ;   in Loop: Header=BB38_2 Depth=1
	s_wait_alu 0xfffe
	s_or_b32 exec_lo, exec_lo, s9
	v_sub_nc_u32_e32 v74, v30, v72
	v_lshl_add_u32 v73, v72, 2, v25
	v_add_nc_u32_e32 v75, v72, v10
                                        ; implicit-def: $vgpr72
	s_delay_alu instid0(VALU_DEP_3) | instskip(SKIP_1) | instid1(VALU_DEP_3)
	v_lshlrev_b32_e32 v76, 2, v74
	v_cmp_gt_i32_e64 s10, v13, v74
	v_cmp_le_i32_e64 s8, v12, v75
	ds_load_b32 v70, v73
	ds_load_b32 v71, v76
	s_wait_dscnt 0x0
	v_cmp_lt_i32_e64 s9, v71, v70
	s_or_b32 s8, s8, s9
	s_wait_alu 0xfffe
	s_and_b32 s8, s10, s8
	s_wait_alu 0xfffe
	s_xor_b32 s9, s8, -1
	s_wait_alu 0xfffe
	s_and_saveexec_b32 s10, s9
	s_wait_alu 0xfffe
	s_xor_b32 s9, exec_lo, s10
; %bb.71:                               ;   in Loop: Header=BB38_2 Depth=1
	ds_load_b32 v72, v73 offset:4
                                        ; implicit-def: $vgpr76
; %bb.72:                               ;   in Loop: Header=BB38_2 Depth=1
	s_wait_alu 0xfffe
	s_or_saveexec_b32 s9, s9
	v_mov_b32_e32 v73, v71
	s_wait_alu 0xfffe
	s_xor_b32 exec_lo, exec_lo, s9
	s_cbranch_execz .LBB38_74
; %bb.73:                               ;   in Loop: Header=BB38_2 Depth=1
	ds_load_b32 v73, v76 offset:4
	s_wait_dscnt 0x1
	v_mov_b32_e32 v72, v70
.LBB38_74:                              ;   in Loop: Header=BB38_2 Depth=1
	s_or_b32 exec_lo, exec_lo, s9
	v_add_nc_u32_e32 v76, 1, v75
	v_add_nc_u32_e32 v78, 1, v74
	s_wait_dscnt 0x0
	v_cmp_lt_i32_e64 s10, v73, v72
	s_delay_alu instid0(VALU_DEP_3) | instskip(NEXT) | instid1(VALU_DEP_3)
	v_cndmask_b32_e64 v77, v76, v75, s8
	v_cndmask_b32_e64 v76, v74, v78, s8
                                        ; implicit-def: $vgpr74
	s_delay_alu instid0(VALU_DEP_2) | instskip(NEXT) | instid1(VALU_DEP_2)
	v_cmp_ge_i32_e64 s9, v77, v12
	v_cmp_lt_i32_e64 s11, v76, v13
	s_or_b32 s9, s9, s10
	s_wait_alu 0xfffe
	s_and_b32 s9, s11, s9
	s_wait_alu 0xfffe
	s_xor_b32 s10, s9, -1
	s_wait_alu 0xfffe
	s_and_saveexec_b32 s11, s10
	s_wait_alu 0xfffe
	s_xor_b32 s10, exec_lo, s11
; %bb.75:                               ;   in Loop: Header=BB38_2 Depth=1
	v_lshlrev_b32_e32 v74, 2, v77
	ds_load_b32 v74, v74 offset:4
; %bb.76:                               ;   in Loop: Header=BB38_2 Depth=1
	s_wait_alu 0xfffe
	s_or_saveexec_b32 s10, s10
	v_mov_b32_e32 v75, v73
	s_wait_alu 0xfffe
	s_xor_b32 exec_lo, exec_lo, s10
	s_cbranch_execz .LBB38_78
; %bb.77:                               ;   in Loop: Header=BB38_2 Depth=1
	s_wait_dscnt 0x0
	v_lshlrev_b32_e32 v74, 2, v76
	ds_load_b32 v75, v74 offset:4
	v_mov_b32_e32 v74, v72
.LBB38_78:                              ;   in Loop: Header=BB38_2 Depth=1
	s_or_b32 exec_lo, exec_lo, s10
	v_add_nc_u32_e32 v78, 1, v77
	v_add_nc_u32_e32 v80, 1, v76
	s_wait_dscnt 0x0
	v_cmp_lt_i32_e64 s11, v75, v74
	s_delay_alu instid0(VALU_DEP_3) | instskip(NEXT) | instid1(VALU_DEP_3)
	v_cndmask_b32_e64 v79, v78, v77, s9
	v_cndmask_b32_e64 v78, v76, v80, s9
                                        ; implicit-def: $vgpr76
	s_delay_alu instid0(VALU_DEP_2) | instskip(NEXT) | instid1(VALU_DEP_2)
	v_cmp_ge_i32_e64 s10, v79, v12
	v_cmp_lt_i32_e64 s12, v78, v13
	s_or_b32 s10, s10, s11
	s_wait_alu 0xfffe
	s_and_b32 s10, s12, s10
	s_wait_alu 0xfffe
	s_xor_b32 s11, s10, -1
	s_wait_alu 0xfffe
	s_and_saveexec_b32 s12, s11
	s_wait_alu 0xfffe
	s_xor_b32 s11, exec_lo, s12
; %bb.79:                               ;   in Loop: Header=BB38_2 Depth=1
	v_lshlrev_b32_e32 v76, 2, v79
	ds_load_b32 v76, v76 offset:4
; %bb.80:                               ;   in Loop: Header=BB38_2 Depth=1
	s_wait_alu 0xfffe
	s_or_saveexec_b32 s11, s11
	v_mov_b32_e32 v77, v75
	s_wait_alu 0xfffe
	s_xor_b32 exec_lo, exec_lo, s11
	s_cbranch_execz .LBB38_82
; %bb.81:                               ;   in Loop: Header=BB38_2 Depth=1
	s_wait_dscnt 0x0
	v_lshlrev_b32_e32 v76, 2, v78
	ds_load_b32 v77, v76 offset:4
	v_mov_b32_e32 v76, v74
.LBB38_82:                              ;   in Loop: Header=BB38_2 Depth=1
	s_or_b32 exec_lo, exec_lo, s11
	v_add_nc_u32_e32 v80, 1, v79
	v_add_nc_u32_e32 v82, 1, v78
	s_wait_dscnt 0x0
	v_cmp_lt_i32_e64 s12, v77, v76
	s_delay_alu instid0(VALU_DEP_3) | instskip(NEXT) | instid1(VALU_DEP_3)
	v_cndmask_b32_e64 v81, v80, v79, s10
	v_cndmask_b32_e64 v80, v78, v82, s10
                                        ; implicit-def: $vgpr78
	s_delay_alu instid0(VALU_DEP_2) | instskip(NEXT) | instid1(VALU_DEP_2)
	v_cmp_ge_i32_e64 s11, v81, v12
	v_cmp_lt_i32_e64 s13, v80, v13
	s_or_b32 s11, s11, s12
	s_wait_alu 0xfffe
	s_and_b32 s11, s13, s11
	s_wait_alu 0xfffe
	s_xor_b32 s12, s11, -1
	s_wait_alu 0xfffe
	s_and_saveexec_b32 s13, s12
	s_wait_alu 0xfffe
	s_xor_b32 s12, exec_lo, s13
; %bb.83:                               ;   in Loop: Header=BB38_2 Depth=1
	v_lshlrev_b32_e32 v78, 2, v81
	ds_load_b32 v78, v78 offset:4
; %bb.84:                               ;   in Loop: Header=BB38_2 Depth=1
	s_wait_alu 0xfffe
	s_or_saveexec_b32 s12, s12
	v_mov_b32_e32 v79, v77
	s_wait_alu 0xfffe
	s_xor_b32 exec_lo, exec_lo, s12
	s_cbranch_execz .LBB38_86
; %bb.85:                               ;   in Loop: Header=BB38_2 Depth=1
	s_wait_dscnt 0x0
	v_lshlrev_b32_e32 v78, 2, v80
	ds_load_b32 v79, v78 offset:4
	v_mov_b32_e32 v78, v76
.LBB38_86:                              ;   in Loop: Header=BB38_2 Depth=1
	s_or_b32 exec_lo, exec_lo, s12
	v_add_nc_u32_e32 v82, 1, v81
	v_add_nc_u32_e32 v84, 1, v80
	s_wait_dscnt 0x0
	v_cmp_lt_i32_e64 s13, v79, v78
	s_delay_alu instid0(VALU_DEP_3) | instskip(NEXT) | instid1(VALU_DEP_3)
	v_cndmask_b32_e64 v83, v82, v81, s11
	v_cndmask_b32_e64 v82, v80, v84, s11
                                        ; implicit-def: $vgpr80
	s_delay_alu instid0(VALU_DEP_2) | instskip(NEXT) | instid1(VALU_DEP_2)
	v_cmp_ge_i32_e64 s12, v83, v12
	v_cmp_lt_i32_e64 s14, v82, v13
	s_or_b32 s12, s12, s13
	s_wait_alu 0xfffe
	s_and_b32 s12, s14, s12
	s_wait_alu 0xfffe
	s_xor_b32 s13, s12, -1
	s_wait_alu 0xfffe
	s_and_saveexec_b32 s14, s13
	s_wait_alu 0xfffe
	s_xor_b32 s13, exec_lo, s14
; %bb.87:                               ;   in Loop: Header=BB38_2 Depth=1
	v_lshlrev_b32_e32 v80, 2, v83
	ds_load_b32 v80, v80 offset:4
; %bb.88:                               ;   in Loop: Header=BB38_2 Depth=1
	s_wait_alu 0xfffe
	s_or_saveexec_b32 s13, s13
	v_mov_b32_e32 v81, v79
	s_wait_alu 0xfffe
	s_xor_b32 exec_lo, exec_lo, s13
	s_cbranch_execz .LBB38_90
; %bb.89:                               ;   in Loop: Header=BB38_2 Depth=1
	s_wait_dscnt 0x0
	v_lshlrev_b32_e32 v80, 2, v82
	ds_load_b32 v81, v80 offset:4
	v_mov_b32_e32 v80, v78
.LBB38_90:                              ;   in Loop: Header=BB38_2 Depth=1
	s_or_b32 exec_lo, exec_lo, s13
	v_add_nc_u32_e32 v84, 1, v83
	v_add_nc_u32_e32 v86, 1, v82
	s_wait_dscnt 0x0
	v_cmp_lt_i32_e64 s14, v81, v80
	s_delay_alu instid0(VALU_DEP_3) | instskip(NEXT) | instid1(VALU_DEP_3)
	v_cndmask_b32_e64 v85, v84, v83, s12
	v_cndmask_b32_e64 v84, v82, v86, s12
                                        ; implicit-def: $vgpr82
	s_delay_alu instid0(VALU_DEP_2) | instskip(NEXT) | instid1(VALU_DEP_2)
	v_cmp_ge_i32_e64 s13, v85, v12
	v_cmp_lt_i32_e64 s15, v84, v13
	s_or_b32 s13, s13, s14
	s_wait_alu 0xfffe
	s_and_b32 s13, s15, s13
	s_wait_alu 0xfffe
	s_xor_b32 s14, s13, -1
	s_wait_alu 0xfffe
	s_and_saveexec_b32 s15, s14
	s_wait_alu 0xfffe
	s_xor_b32 s14, exec_lo, s15
; %bb.91:                               ;   in Loop: Header=BB38_2 Depth=1
	v_lshlrev_b32_e32 v82, 2, v85
	ds_load_b32 v82, v82 offset:4
; %bb.92:                               ;   in Loop: Header=BB38_2 Depth=1
	s_wait_alu 0xfffe
	s_or_saveexec_b32 s14, s14
	v_mov_b32_e32 v83, v81
	s_wait_alu 0xfffe
	s_xor_b32 exec_lo, exec_lo, s14
	s_cbranch_execz .LBB38_94
; %bb.93:                               ;   in Loop: Header=BB38_2 Depth=1
	s_wait_dscnt 0x0
	v_lshlrev_b32_e32 v82, 2, v84
	ds_load_b32 v83, v82 offset:4
	v_mov_b32_e32 v82, v80
.LBB38_94:                              ;   in Loop: Header=BB38_2 Depth=1
	s_or_b32 exec_lo, exec_lo, s14
	v_add_nc_u32_e32 v86, 1, v85
	v_add_nc_u32_e32 v87, 1, v84
	s_wait_dscnt 0x0
	v_cmp_lt_i32_e64 s15, v83, v82
	s_delay_alu instid0(VALU_DEP_3) | instskip(NEXT) | instid1(VALU_DEP_3)
	v_cndmask_b32_e64 v86, v86, v85, s13
	v_cndmask_b32_e64 v85, v84, v87, s13
                                        ; implicit-def: $vgpr84
	s_delay_alu instid0(VALU_DEP_2) | instskip(NEXT) | instid1(VALU_DEP_2)
	v_cmp_ge_i32_e64 s14, v86, v12
	v_cmp_lt_i32_e64 s16, v85, v13
	s_or_b32 s14, s14, s15
	s_wait_alu 0xfffe
	s_and_b32 s14, s16, s14
	s_wait_alu 0xfffe
	s_xor_b32 s15, s14, -1
	s_wait_alu 0xfffe
	s_and_saveexec_b32 s16, s15
	s_delay_alu instid0(SALU_CYCLE_1)
	s_xor_b32 s15, exec_lo, s16
; %bb.95:                               ;   in Loop: Header=BB38_2 Depth=1
	v_lshlrev_b32_e32 v84, 2, v86
	ds_load_b32 v84, v84 offset:4
; %bb.96:                               ;   in Loop: Header=BB38_2 Depth=1
	s_wait_alu 0xfffe
	s_or_saveexec_b32 s15, s15
	v_mov_b32_e32 v87, v83
	s_wait_alu 0xfffe
	s_xor_b32 exec_lo, exec_lo, s15
	s_cbranch_execz .LBB38_98
; %bb.97:                               ;   in Loop: Header=BB38_2 Depth=1
	s_wait_dscnt 0x0
	v_lshlrev_b32_e32 v84, 2, v85
	ds_load_b32 v87, v84 offset:4
	v_mov_b32_e32 v84, v82
.LBB38_98:                              ;   in Loop: Header=BB38_2 Depth=1
	s_or_b32 exec_lo, exec_lo, s15
	v_add_nc_u32_e32 v88, 1, v86
	v_add_nc_u32_e32 v89, 1, v85
	v_cndmask_b32_e64 v80, v80, v81, s13
	v_cndmask_b32_e64 v78, v78, v79, s12
	;; [unrolled: 1-line block ×5, first 2 shown]
	s_wait_dscnt 0x0
	v_cmp_lt_i32_e64 s11, v87, v84
	v_cndmask_b32_e64 v74, v74, v75, s10
	v_cndmask_b32_e64 v70, v70, v71, s8
	v_cmp_ge_i32_e64 s12, v81, v12
	v_cmp_lt_i32_e64 s10, v79, v13
	v_cndmask_b32_e64 v72, v72, v73, s9
	v_cndmask_b32_e64 v82, v82, v83, s14
	s_wait_loadcnt 0x0
	s_or_b32 s8, s12, s11
	s_barrier_signal -1
	s_wait_alu 0xfffe
	s_and_b32 s8, s10, s8
	s_barrier_wait -1
	s_wait_alu 0xfffe
	v_cndmask_b32_e64 v71, v84, v87, s8
	global_inv scope:SCOPE_SE
	ds_store_2addr_b32 v9, v70, v72 offset1:1
	ds_store_2addr_b32 v9, v74, v76 offset0:2 offset1:3
	ds_store_2addr_b32 v9, v78, v80 offset0:4 offset1:5
	;; [unrolled: 1-line block ×3, first 2 shown]
	v_mov_b32_e32 v72, v28
	s_wait_loadcnt_dscnt 0x0
	s_barrier_signal -1
	s_barrier_wait -1
	global_inv scope:SCOPE_SE
	s_and_saveexec_b32 s9, s2
	s_cbranch_execz .LBB38_102
; %bb.99:                               ;   in Loop: Header=BB38_2 Depth=1
	v_mov_b32_e32 v72, v28
	v_mov_b32_e32 v70, v29
	s_mov_b32 s10, 0
.LBB38_100:                             ;   Parent Loop BB38_2 Depth=1
                                        ; =>  This Inner Loop Header: Depth=2
	s_delay_alu instid0(VALU_DEP_1) | instskip(NEXT) | instid1(VALU_DEP_1)
	v_sub_nc_u32_e32 v71, v70, v72
	v_lshrrev_b32_e32 v71, 1, v71
	s_delay_alu instid0(VALU_DEP_1) | instskip(NEXT) | instid1(VALU_DEP_1)
	v_add_nc_u32_e32 v71, v71, v72
	v_not_b32_e32 v73, v71
	v_lshl_add_u32 v74, v71, 2, v32
	v_add_nc_u32_e32 v75, 1, v71
	s_delay_alu instid0(VALU_DEP_3)
	v_lshl_add_u32 v73, v73, 2, v64
	ds_load_b32 v74, v74
	ds_load_b32 v73, v73
	s_wait_dscnt 0x0
	v_cmp_lt_i32_e64 s8, v73, v74
	s_wait_alu 0xf1ff
	s_delay_alu instid0(VALU_DEP_1) | instskip(SKIP_1) | instid1(VALU_DEP_1)
	v_cndmask_b32_e64 v70, v70, v71, s8
	v_cndmask_b32_e64 v72, v75, v72, s8
	v_cmp_ge_i32_e64 s8, v72, v70
	s_wait_alu 0xfffe
	s_or_b32 s10, s8, s10
	s_wait_alu 0xfffe
	s_and_not1_b32 exec_lo, exec_lo, s10
	s_cbranch_execnz .LBB38_100
; %bb.101:                              ;   in Loop: Header=BB38_2 Depth=1
	s_or_b32 exec_lo, exec_lo, s10
.LBB38_102:                             ;   in Loop: Header=BB38_2 Depth=1
	s_wait_alu 0xfffe
	s_or_b32 exec_lo, exec_lo, s9
	v_sub_nc_u32_e32 v74, v37, v72
	v_lshl_add_u32 v73, v72, 2, v32
	v_add_nc_u32_e32 v75, v72, v17
                                        ; implicit-def: $vgpr72
	s_delay_alu instid0(VALU_DEP_3) | instskip(SKIP_1) | instid1(VALU_DEP_3)
	v_lshlrev_b32_e32 v76, 2, v74
	v_cmp_gt_i32_e64 s10, v20, v74
	v_cmp_le_i32_e64 s8, v19, v75
	ds_load_b32 v70, v73
	ds_load_b32 v71, v76
	s_wait_dscnt 0x0
	v_cmp_lt_i32_e64 s9, v71, v70
	s_or_b32 s8, s8, s9
	s_wait_alu 0xfffe
	s_and_b32 s8, s10, s8
	s_wait_alu 0xfffe
	s_xor_b32 s9, s8, -1
	s_wait_alu 0xfffe
	s_and_saveexec_b32 s10, s9
	s_wait_alu 0xfffe
	s_xor_b32 s9, exec_lo, s10
; %bb.103:                              ;   in Loop: Header=BB38_2 Depth=1
	ds_load_b32 v72, v73 offset:4
                                        ; implicit-def: $vgpr76
; %bb.104:                              ;   in Loop: Header=BB38_2 Depth=1
	s_wait_alu 0xfffe
	s_or_saveexec_b32 s9, s9
	v_mov_b32_e32 v73, v71
	s_wait_alu 0xfffe
	s_xor_b32 exec_lo, exec_lo, s9
	s_cbranch_execz .LBB38_106
; %bb.105:                              ;   in Loop: Header=BB38_2 Depth=1
	ds_load_b32 v73, v76 offset:4
	s_wait_dscnt 0x1
	v_mov_b32_e32 v72, v70
.LBB38_106:                             ;   in Loop: Header=BB38_2 Depth=1
	s_or_b32 exec_lo, exec_lo, s9
	v_add_nc_u32_e32 v76, 1, v75
	v_add_nc_u32_e32 v78, 1, v74
	s_wait_dscnt 0x0
	v_cmp_lt_i32_e64 s10, v73, v72
	s_delay_alu instid0(VALU_DEP_3) | instskip(NEXT) | instid1(VALU_DEP_3)
	v_cndmask_b32_e64 v77, v76, v75, s8
	v_cndmask_b32_e64 v76, v74, v78, s8
                                        ; implicit-def: $vgpr74
	s_delay_alu instid0(VALU_DEP_2) | instskip(NEXT) | instid1(VALU_DEP_2)
	v_cmp_ge_i32_e64 s9, v77, v19
	v_cmp_lt_i32_e64 s11, v76, v20
	s_or_b32 s9, s9, s10
	s_wait_alu 0xfffe
	s_and_b32 s9, s11, s9
	s_wait_alu 0xfffe
	s_xor_b32 s10, s9, -1
	s_wait_alu 0xfffe
	s_and_saveexec_b32 s11, s10
	s_wait_alu 0xfffe
	s_xor_b32 s10, exec_lo, s11
; %bb.107:                              ;   in Loop: Header=BB38_2 Depth=1
	v_lshlrev_b32_e32 v74, 2, v77
	ds_load_b32 v74, v74 offset:4
; %bb.108:                              ;   in Loop: Header=BB38_2 Depth=1
	s_wait_alu 0xfffe
	s_or_saveexec_b32 s10, s10
	v_mov_b32_e32 v75, v73
	s_wait_alu 0xfffe
	s_xor_b32 exec_lo, exec_lo, s10
	s_cbranch_execz .LBB38_110
; %bb.109:                              ;   in Loop: Header=BB38_2 Depth=1
	s_wait_dscnt 0x0
	v_lshlrev_b32_e32 v74, 2, v76
	ds_load_b32 v75, v74 offset:4
	v_mov_b32_e32 v74, v72
.LBB38_110:                             ;   in Loop: Header=BB38_2 Depth=1
	s_or_b32 exec_lo, exec_lo, s10
	v_add_nc_u32_e32 v78, 1, v77
	v_add_nc_u32_e32 v80, 1, v76
	s_wait_dscnt 0x0
	v_cmp_lt_i32_e64 s11, v75, v74
	s_delay_alu instid0(VALU_DEP_3) | instskip(NEXT) | instid1(VALU_DEP_3)
	v_cndmask_b32_e64 v79, v78, v77, s9
	v_cndmask_b32_e64 v78, v76, v80, s9
                                        ; implicit-def: $vgpr76
	s_delay_alu instid0(VALU_DEP_2) | instskip(NEXT) | instid1(VALU_DEP_2)
	v_cmp_ge_i32_e64 s10, v79, v19
	v_cmp_lt_i32_e64 s12, v78, v20
	s_or_b32 s10, s10, s11
	s_wait_alu 0xfffe
	s_and_b32 s10, s12, s10
	s_wait_alu 0xfffe
	s_xor_b32 s11, s10, -1
	s_wait_alu 0xfffe
	s_and_saveexec_b32 s12, s11
	s_wait_alu 0xfffe
	s_xor_b32 s11, exec_lo, s12
; %bb.111:                              ;   in Loop: Header=BB38_2 Depth=1
	v_lshlrev_b32_e32 v76, 2, v79
	ds_load_b32 v76, v76 offset:4
; %bb.112:                              ;   in Loop: Header=BB38_2 Depth=1
	s_wait_alu 0xfffe
	s_or_saveexec_b32 s11, s11
	v_mov_b32_e32 v77, v75
	s_wait_alu 0xfffe
	s_xor_b32 exec_lo, exec_lo, s11
	s_cbranch_execz .LBB38_114
; %bb.113:                              ;   in Loop: Header=BB38_2 Depth=1
	s_wait_dscnt 0x0
	v_lshlrev_b32_e32 v76, 2, v78
	ds_load_b32 v77, v76 offset:4
	v_mov_b32_e32 v76, v74
.LBB38_114:                             ;   in Loop: Header=BB38_2 Depth=1
	s_or_b32 exec_lo, exec_lo, s11
	v_add_nc_u32_e32 v80, 1, v79
	v_add_nc_u32_e32 v82, 1, v78
	s_wait_dscnt 0x0
	v_cmp_lt_i32_e64 s12, v77, v76
	s_delay_alu instid0(VALU_DEP_3) | instskip(NEXT) | instid1(VALU_DEP_3)
	v_cndmask_b32_e64 v81, v80, v79, s10
	v_cndmask_b32_e64 v80, v78, v82, s10
                                        ; implicit-def: $vgpr78
	s_delay_alu instid0(VALU_DEP_2) | instskip(NEXT) | instid1(VALU_DEP_2)
	v_cmp_ge_i32_e64 s11, v81, v19
	v_cmp_lt_i32_e64 s13, v80, v20
	s_or_b32 s11, s11, s12
	s_wait_alu 0xfffe
	s_and_b32 s11, s13, s11
	s_wait_alu 0xfffe
	s_xor_b32 s12, s11, -1
	s_wait_alu 0xfffe
	s_and_saveexec_b32 s13, s12
	s_wait_alu 0xfffe
	s_xor_b32 s12, exec_lo, s13
; %bb.115:                              ;   in Loop: Header=BB38_2 Depth=1
	v_lshlrev_b32_e32 v78, 2, v81
	ds_load_b32 v78, v78 offset:4
; %bb.116:                              ;   in Loop: Header=BB38_2 Depth=1
	s_wait_alu 0xfffe
	s_or_saveexec_b32 s12, s12
	v_mov_b32_e32 v79, v77
	s_wait_alu 0xfffe
	s_xor_b32 exec_lo, exec_lo, s12
	s_cbranch_execz .LBB38_118
; %bb.117:                              ;   in Loop: Header=BB38_2 Depth=1
	s_wait_dscnt 0x0
	v_lshlrev_b32_e32 v78, 2, v80
	ds_load_b32 v79, v78 offset:4
	v_mov_b32_e32 v78, v76
.LBB38_118:                             ;   in Loop: Header=BB38_2 Depth=1
	s_or_b32 exec_lo, exec_lo, s12
	v_add_nc_u32_e32 v82, 1, v81
	v_add_nc_u32_e32 v84, 1, v80
	s_wait_dscnt 0x0
	v_cmp_lt_i32_e64 s13, v79, v78
	s_delay_alu instid0(VALU_DEP_3) | instskip(NEXT) | instid1(VALU_DEP_3)
	v_cndmask_b32_e64 v83, v82, v81, s11
	v_cndmask_b32_e64 v82, v80, v84, s11
                                        ; implicit-def: $vgpr80
	s_delay_alu instid0(VALU_DEP_2) | instskip(NEXT) | instid1(VALU_DEP_2)
	v_cmp_ge_i32_e64 s12, v83, v19
	v_cmp_lt_i32_e64 s14, v82, v20
	s_or_b32 s12, s12, s13
	s_wait_alu 0xfffe
	s_and_b32 s12, s14, s12
	s_wait_alu 0xfffe
	s_xor_b32 s13, s12, -1
	s_wait_alu 0xfffe
	s_and_saveexec_b32 s14, s13
	s_wait_alu 0xfffe
	s_xor_b32 s13, exec_lo, s14
; %bb.119:                              ;   in Loop: Header=BB38_2 Depth=1
	v_lshlrev_b32_e32 v80, 2, v83
	ds_load_b32 v80, v80 offset:4
; %bb.120:                              ;   in Loop: Header=BB38_2 Depth=1
	s_wait_alu 0xfffe
	s_or_saveexec_b32 s13, s13
	v_mov_b32_e32 v81, v79
	s_wait_alu 0xfffe
	s_xor_b32 exec_lo, exec_lo, s13
	s_cbranch_execz .LBB38_122
; %bb.121:                              ;   in Loop: Header=BB38_2 Depth=1
	s_wait_dscnt 0x0
	v_lshlrev_b32_e32 v80, 2, v82
	ds_load_b32 v81, v80 offset:4
	v_mov_b32_e32 v80, v78
.LBB38_122:                             ;   in Loop: Header=BB38_2 Depth=1
	s_or_b32 exec_lo, exec_lo, s13
	v_add_nc_u32_e32 v84, 1, v83
	v_add_nc_u32_e32 v86, 1, v82
	s_wait_dscnt 0x0
	v_cmp_lt_i32_e64 s14, v81, v80
	s_delay_alu instid0(VALU_DEP_3) | instskip(NEXT) | instid1(VALU_DEP_3)
	v_cndmask_b32_e64 v85, v84, v83, s12
	v_cndmask_b32_e64 v84, v82, v86, s12
                                        ; implicit-def: $vgpr82
	s_delay_alu instid0(VALU_DEP_2) | instskip(NEXT) | instid1(VALU_DEP_2)
	v_cmp_ge_i32_e64 s13, v85, v19
	v_cmp_lt_i32_e64 s15, v84, v20
	s_or_b32 s13, s13, s14
	s_wait_alu 0xfffe
	s_and_b32 s13, s15, s13
	s_wait_alu 0xfffe
	s_xor_b32 s14, s13, -1
	s_wait_alu 0xfffe
	s_and_saveexec_b32 s15, s14
	s_wait_alu 0xfffe
	s_xor_b32 s14, exec_lo, s15
; %bb.123:                              ;   in Loop: Header=BB38_2 Depth=1
	v_lshlrev_b32_e32 v82, 2, v85
	ds_load_b32 v82, v82 offset:4
; %bb.124:                              ;   in Loop: Header=BB38_2 Depth=1
	s_wait_alu 0xfffe
	s_or_saveexec_b32 s14, s14
	v_mov_b32_e32 v83, v81
	s_wait_alu 0xfffe
	s_xor_b32 exec_lo, exec_lo, s14
	s_cbranch_execz .LBB38_126
; %bb.125:                              ;   in Loop: Header=BB38_2 Depth=1
	s_wait_dscnt 0x0
	v_lshlrev_b32_e32 v82, 2, v84
	ds_load_b32 v83, v82 offset:4
	v_mov_b32_e32 v82, v80
.LBB38_126:                             ;   in Loop: Header=BB38_2 Depth=1
	s_or_b32 exec_lo, exec_lo, s14
	v_add_nc_u32_e32 v86, 1, v85
	v_add_nc_u32_e32 v87, 1, v84
	s_wait_dscnt 0x0
	v_cmp_lt_i32_e64 s15, v83, v82
	s_delay_alu instid0(VALU_DEP_3) | instskip(NEXT) | instid1(VALU_DEP_3)
	v_cndmask_b32_e64 v86, v86, v85, s13
	v_cndmask_b32_e64 v85, v84, v87, s13
                                        ; implicit-def: $vgpr84
	s_delay_alu instid0(VALU_DEP_2) | instskip(NEXT) | instid1(VALU_DEP_2)
	v_cmp_ge_i32_e64 s14, v86, v19
	v_cmp_lt_i32_e64 s16, v85, v20
	s_or_b32 s14, s14, s15
	s_wait_alu 0xfffe
	s_and_b32 s14, s16, s14
	s_wait_alu 0xfffe
	s_xor_b32 s15, s14, -1
	s_wait_alu 0xfffe
	s_and_saveexec_b32 s16, s15
	s_delay_alu instid0(SALU_CYCLE_1)
	s_xor_b32 s15, exec_lo, s16
; %bb.127:                              ;   in Loop: Header=BB38_2 Depth=1
	v_lshlrev_b32_e32 v84, 2, v86
	ds_load_b32 v84, v84 offset:4
; %bb.128:                              ;   in Loop: Header=BB38_2 Depth=1
	s_wait_alu 0xfffe
	s_or_saveexec_b32 s15, s15
	v_mov_b32_e32 v87, v83
	s_wait_alu 0xfffe
	s_xor_b32 exec_lo, exec_lo, s15
	s_cbranch_execz .LBB38_130
; %bb.129:                              ;   in Loop: Header=BB38_2 Depth=1
	s_wait_dscnt 0x0
	v_lshlrev_b32_e32 v84, 2, v85
	ds_load_b32 v87, v84 offset:4
	v_mov_b32_e32 v84, v82
.LBB38_130:                             ;   in Loop: Header=BB38_2 Depth=1
	s_or_b32 exec_lo, exec_lo, s15
	v_add_nc_u32_e32 v88, 1, v86
	v_add_nc_u32_e32 v89, 1, v85
	v_cndmask_b32_e64 v80, v80, v81, s13
	v_cndmask_b32_e64 v78, v78, v79, s12
	v_cndmask_b32_e64 v76, v76, v77, s11
	v_cndmask_b32_e64 v81, v88, v86, s14
	v_cndmask_b32_e64 v79, v85, v89, s14
	s_wait_dscnt 0x0
	v_cmp_lt_i32_e64 s11, v87, v84
	v_cndmask_b32_e64 v74, v74, v75, s10
	v_cndmask_b32_e64 v70, v70, v71, s8
	v_cmp_ge_i32_e64 s12, v81, v19
	v_cmp_lt_i32_e64 s10, v79, v20
	v_cndmask_b32_e64 v72, v72, v73, s9
	v_cndmask_b32_e64 v82, v82, v83, s14
	s_wait_loadcnt 0x0
	s_or_b32 s8, s12, s11
	s_barrier_signal -1
	s_wait_alu 0xfffe
	s_and_b32 s8, s10, s8
	s_barrier_wait -1
	s_wait_alu 0xfffe
	v_cndmask_b32_e64 v71, v84, v87, s8
	global_inv scope:SCOPE_SE
	ds_store_2addr_b32 v9, v70, v72 offset1:1
	ds_store_2addr_b32 v9, v74, v76 offset0:2 offset1:3
	ds_store_2addr_b32 v9, v78, v80 offset0:4 offset1:5
	;; [unrolled: 1-line block ×3, first 2 shown]
	v_mov_b32_e32 v72, v35
	s_wait_loadcnt_dscnt 0x0
	s_barrier_signal -1
	s_barrier_wait -1
	global_inv scope:SCOPE_SE
	s_and_saveexec_b32 s9, s3
	s_cbranch_execz .LBB38_134
; %bb.131:                              ;   in Loop: Header=BB38_2 Depth=1
	v_mov_b32_e32 v72, v35
	v_mov_b32_e32 v70, v36
	s_mov_b32 s10, 0
.LBB38_132:                             ;   Parent Loop BB38_2 Depth=1
                                        ; =>  This Inner Loop Header: Depth=2
	s_delay_alu instid0(VALU_DEP_1) | instskip(NEXT) | instid1(VALU_DEP_1)
	v_sub_nc_u32_e32 v71, v70, v72
	v_lshrrev_b32_e32 v71, 1, v71
	s_delay_alu instid0(VALU_DEP_1) | instskip(NEXT) | instid1(VALU_DEP_1)
	v_add_nc_u32_e32 v71, v71, v72
	v_not_b32_e32 v73, v71
	v_lshl_add_u32 v74, v71, 2, v38
	v_add_nc_u32_e32 v75, 1, v71
	s_delay_alu instid0(VALU_DEP_3)
	v_lshl_add_u32 v73, v73, 2, v65
	ds_load_b32 v74, v74
	ds_load_b32 v73, v73
	s_wait_dscnt 0x0
	v_cmp_lt_i32_e64 s8, v73, v74
	s_wait_alu 0xf1ff
	s_delay_alu instid0(VALU_DEP_1) | instskip(SKIP_1) | instid1(VALU_DEP_1)
	v_cndmask_b32_e64 v70, v70, v71, s8
	v_cndmask_b32_e64 v72, v75, v72, s8
	v_cmp_ge_i32_e64 s8, v72, v70
	s_wait_alu 0xfffe
	s_or_b32 s10, s8, s10
	s_wait_alu 0xfffe
	s_and_not1_b32 exec_lo, exec_lo, s10
	s_cbranch_execnz .LBB38_132
; %bb.133:                              ;   in Loop: Header=BB38_2 Depth=1
	s_or_b32 exec_lo, exec_lo, s10
.LBB38_134:                             ;   in Loop: Header=BB38_2 Depth=1
	s_wait_alu 0xfffe
	s_or_b32 exec_lo, exec_lo, s9
	v_sub_nc_u32_e32 v74, v39, v72
	v_lshl_add_u32 v73, v72, 2, v38
	v_add_nc_u32_e32 v75, v72, v24
                                        ; implicit-def: $vgpr72
	s_delay_alu instid0(VALU_DEP_3) | instskip(SKIP_1) | instid1(VALU_DEP_3)
	v_lshlrev_b32_e32 v76, 2, v74
	v_cmp_gt_i32_e64 s10, v27, v74
	v_cmp_le_i32_e64 s8, v26, v75
	ds_load_b32 v70, v73
	ds_load_b32 v71, v76
	s_wait_dscnt 0x0
	v_cmp_lt_i32_e64 s9, v71, v70
	s_or_b32 s8, s8, s9
	s_wait_alu 0xfffe
	s_and_b32 s8, s10, s8
	s_wait_alu 0xfffe
	s_xor_b32 s9, s8, -1
	s_wait_alu 0xfffe
	s_and_saveexec_b32 s10, s9
	s_wait_alu 0xfffe
	s_xor_b32 s9, exec_lo, s10
; %bb.135:                              ;   in Loop: Header=BB38_2 Depth=1
	ds_load_b32 v72, v73 offset:4
                                        ; implicit-def: $vgpr76
; %bb.136:                              ;   in Loop: Header=BB38_2 Depth=1
	s_wait_alu 0xfffe
	s_or_saveexec_b32 s9, s9
	v_mov_b32_e32 v73, v71
	s_wait_alu 0xfffe
	s_xor_b32 exec_lo, exec_lo, s9
	s_cbranch_execz .LBB38_138
; %bb.137:                              ;   in Loop: Header=BB38_2 Depth=1
	ds_load_b32 v73, v76 offset:4
	s_wait_dscnt 0x1
	v_mov_b32_e32 v72, v70
.LBB38_138:                             ;   in Loop: Header=BB38_2 Depth=1
	s_or_b32 exec_lo, exec_lo, s9
	v_add_nc_u32_e32 v76, 1, v75
	v_add_nc_u32_e32 v78, 1, v74
	s_wait_dscnt 0x0
	v_cmp_lt_i32_e64 s10, v73, v72
	s_delay_alu instid0(VALU_DEP_3) | instskip(NEXT) | instid1(VALU_DEP_3)
	v_cndmask_b32_e64 v77, v76, v75, s8
	v_cndmask_b32_e64 v76, v74, v78, s8
                                        ; implicit-def: $vgpr74
	s_delay_alu instid0(VALU_DEP_2) | instskip(NEXT) | instid1(VALU_DEP_2)
	v_cmp_ge_i32_e64 s9, v77, v26
	v_cmp_lt_i32_e64 s11, v76, v27
	s_or_b32 s9, s9, s10
	s_wait_alu 0xfffe
	s_and_b32 s9, s11, s9
	s_wait_alu 0xfffe
	s_xor_b32 s10, s9, -1
	s_wait_alu 0xfffe
	s_and_saveexec_b32 s11, s10
	s_wait_alu 0xfffe
	s_xor_b32 s10, exec_lo, s11
; %bb.139:                              ;   in Loop: Header=BB38_2 Depth=1
	v_lshlrev_b32_e32 v74, 2, v77
	ds_load_b32 v74, v74 offset:4
; %bb.140:                              ;   in Loop: Header=BB38_2 Depth=1
	s_wait_alu 0xfffe
	s_or_saveexec_b32 s10, s10
	v_mov_b32_e32 v75, v73
	s_wait_alu 0xfffe
	s_xor_b32 exec_lo, exec_lo, s10
	s_cbranch_execz .LBB38_142
; %bb.141:                              ;   in Loop: Header=BB38_2 Depth=1
	s_wait_dscnt 0x0
	v_lshlrev_b32_e32 v74, 2, v76
	ds_load_b32 v75, v74 offset:4
	v_mov_b32_e32 v74, v72
.LBB38_142:                             ;   in Loop: Header=BB38_2 Depth=1
	s_or_b32 exec_lo, exec_lo, s10
	v_add_nc_u32_e32 v78, 1, v77
	v_add_nc_u32_e32 v80, 1, v76
	s_wait_dscnt 0x0
	v_cmp_lt_i32_e64 s11, v75, v74
	s_delay_alu instid0(VALU_DEP_3) | instskip(NEXT) | instid1(VALU_DEP_3)
	v_cndmask_b32_e64 v79, v78, v77, s9
	v_cndmask_b32_e64 v78, v76, v80, s9
                                        ; implicit-def: $vgpr76
	s_delay_alu instid0(VALU_DEP_2) | instskip(NEXT) | instid1(VALU_DEP_2)
	v_cmp_ge_i32_e64 s10, v79, v26
	v_cmp_lt_i32_e64 s12, v78, v27
	s_or_b32 s10, s10, s11
	s_wait_alu 0xfffe
	s_and_b32 s10, s12, s10
	s_wait_alu 0xfffe
	s_xor_b32 s11, s10, -1
	s_wait_alu 0xfffe
	s_and_saveexec_b32 s12, s11
	s_wait_alu 0xfffe
	s_xor_b32 s11, exec_lo, s12
; %bb.143:                              ;   in Loop: Header=BB38_2 Depth=1
	v_lshlrev_b32_e32 v76, 2, v79
	ds_load_b32 v76, v76 offset:4
; %bb.144:                              ;   in Loop: Header=BB38_2 Depth=1
	s_wait_alu 0xfffe
	s_or_saveexec_b32 s11, s11
	v_mov_b32_e32 v77, v75
	s_wait_alu 0xfffe
	s_xor_b32 exec_lo, exec_lo, s11
	s_cbranch_execz .LBB38_146
; %bb.145:                              ;   in Loop: Header=BB38_2 Depth=1
	s_wait_dscnt 0x0
	v_lshlrev_b32_e32 v76, 2, v78
	ds_load_b32 v77, v76 offset:4
	v_mov_b32_e32 v76, v74
.LBB38_146:                             ;   in Loop: Header=BB38_2 Depth=1
	s_or_b32 exec_lo, exec_lo, s11
	v_add_nc_u32_e32 v80, 1, v79
	v_add_nc_u32_e32 v82, 1, v78
	s_wait_dscnt 0x0
	v_cmp_lt_i32_e64 s12, v77, v76
	s_delay_alu instid0(VALU_DEP_3) | instskip(NEXT) | instid1(VALU_DEP_3)
	v_cndmask_b32_e64 v81, v80, v79, s10
	v_cndmask_b32_e64 v80, v78, v82, s10
                                        ; implicit-def: $vgpr78
	s_delay_alu instid0(VALU_DEP_2) | instskip(NEXT) | instid1(VALU_DEP_2)
	v_cmp_ge_i32_e64 s11, v81, v26
	v_cmp_lt_i32_e64 s13, v80, v27
	s_or_b32 s11, s11, s12
	s_wait_alu 0xfffe
	s_and_b32 s11, s13, s11
	s_wait_alu 0xfffe
	s_xor_b32 s12, s11, -1
	s_wait_alu 0xfffe
	s_and_saveexec_b32 s13, s12
	s_wait_alu 0xfffe
	s_xor_b32 s12, exec_lo, s13
; %bb.147:                              ;   in Loop: Header=BB38_2 Depth=1
	v_lshlrev_b32_e32 v78, 2, v81
	ds_load_b32 v78, v78 offset:4
; %bb.148:                              ;   in Loop: Header=BB38_2 Depth=1
	s_wait_alu 0xfffe
	s_or_saveexec_b32 s12, s12
	v_mov_b32_e32 v79, v77
	s_wait_alu 0xfffe
	s_xor_b32 exec_lo, exec_lo, s12
	s_cbranch_execz .LBB38_150
; %bb.149:                              ;   in Loop: Header=BB38_2 Depth=1
	s_wait_dscnt 0x0
	v_lshlrev_b32_e32 v78, 2, v80
	ds_load_b32 v79, v78 offset:4
	v_mov_b32_e32 v78, v76
.LBB38_150:                             ;   in Loop: Header=BB38_2 Depth=1
	s_or_b32 exec_lo, exec_lo, s12
	v_add_nc_u32_e32 v82, 1, v81
	v_add_nc_u32_e32 v84, 1, v80
	s_wait_dscnt 0x0
	v_cmp_lt_i32_e64 s13, v79, v78
	s_delay_alu instid0(VALU_DEP_3) | instskip(NEXT) | instid1(VALU_DEP_3)
	v_cndmask_b32_e64 v83, v82, v81, s11
	v_cndmask_b32_e64 v82, v80, v84, s11
                                        ; implicit-def: $vgpr80
	s_delay_alu instid0(VALU_DEP_2) | instskip(NEXT) | instid1(VALU_DEP_2)
	v_cmp_ge_i32_e64 s12, v83, v26
	v_cmp_lt_i32_e64 s14, v82, v27
	s_or_b32 s12, s12, s13
	s_wait_alu 0xfffe
	s_and_b32 s12, s14, s12
	s_wait_alu 0xfffe
	s_xor_b32 s13, s12, -1
	s_wait_alu 0xfffe
	s_and_saveexec_b32 s14, s13
	s_wait_alu 0xfffe
	s_xor_b32 s13, exec_lo, s14
; %bb.151:                              ;   in Loop: Header=BB38_2 Depth=1
	v_lshlrev_b32_e32 v80, 2, v83
	ds_load_b32 v80, v80 offset:4
; %bb.152:                              ;   in Loop: Header=BB38_2 Depth=1
	s_wait_alu 0xfffe
	s_or_saveexec_b32 s13, s13
	v_mov_b32_e32 v81, v79
	s_wait_alu 0xfffe
	s_xor_b32 exec_lo, exec_lo, s13
	s_cbranch_execz .LBB38_154
; %bb.153:                              ;   in Loop: Header=BB38_2 Depth=1
	s_wait_dscnt 0x0
	v_lshlrev_b32_e32 v80, 2, v82
	ds_load_b32 v81, v80 offset:4
	v_mov_b32_e32 v80, v78
.LBB38_154:                             ;   in Loop: Header=BB38_2 Depth=1
	s_or_b32 exec_lo, exec_lo, s13
	v_add_nc_u32_e32 v84, 1, v83
	v_add_nc_u32_e32 v86, 1, v82
	s_wait_dscnt 0x0
	v_cmp_lt_i32_e64 s14, v81, v80
	s_delay_alu instid0(VALU_DEP_3) | instskip(NEXT) | instid1(VALU_DEP_3)
	v_cndmask_b32_e64 v85, v84, v83, s12
	v_cndmask_b32_e64 v84, v82, v86, s12
                                        ; implicit-def: $vgpr82
	s_delay_alu instid0(VALU_DEP_2) | instskip(NEXT) | instid1(VALU_DEP_2)
	v_cmp_ge_i32_e64 s13, v85, v26
	v_cmp_lt_i32_e64 s15, v84, v27
	s_or_b32 s13, s13, s14
	s_wait_alu 0xfffe
	s_and_b32 s13, s15, s13
	s_wait_alu 0xfffe
	s_xor_b32 s14, s13, -1
	s_wait_alu 0xfffe
	s_and_saveexec_b32 s15, s14
	s_wait_alu 0xfffe
	s_xor_b32 s14, exec_lo, s15
; %bb.155:                              ;   in Loop: Header=BB38_2 Depth=1
	v_lshlrev_b32_e32 v82, 2, v85
	ds_load_b32 v82, v82 offset:4
; %bb.156:                              ;   in Loop: Header=BB38_2 Depth=1
	s_wait_alu 0xfffe
	s_or_saveexec_b32 s14, s14
	v_mov_b32_e32 v83, v81
	s_wait_alu 0xfffe
	s_xor_b32 exec_lo, exec_lo, s14
	s_cbranch_execz .LBB38_158
; %bb.157:                              ;   in Loop: Header=BB38_2 Depth=1
	s_wait_dscnt 0x0
	v_lshlrev_b32_e32 v82, 2, v84
	ds_load_b32 v83, v82 offset:4
	v_mov_b32_e32 v82, v80
.LBB38_158:                             ;   in Loop: Header=BB38_2 Depth=1
	s_or_b32 exec_lo, exec_lo, s14
	v_add_nc_u32_e32 v86, 1, v85
	v_add_nc_u32_e32 v87, 1, v84
	s_wait_dscnt 0x0
	v_cmp_lt_i32_e64 s15, v83, v82
	s_delay_alu instid0(VALU_DEP_3) | instskip(NEXT) | instid1(VALU_DEP_3)
	v_cndmask_b32_e64 v86, v86, v85, s13
	v_cndmask_b32_e64 v85, v84, v87, s13
                                        ; implicit-def: $vgpr84
	s_delay_alu instid0(VALU_DEP_2) | instskip(NEXT) | instid1(VALU_DEP_2)
	v_cmp_ge_i32_e64 s14, v86, v26
	v_cmp_lt_i32_e64 s16, v85, v27
	s_or_b32 s14, s14, s15
	s_wait_alu 0xfffe
	s_and_b32 s14, s16, s14
	s_wait_alu 0xfffe
	s_xor_b32 s15, s14, -1
	s_wait_alu 0xfffe
	s_and_saveexec_b32 s16, s15
	s_delay_alu instid0(SALU_CYCLE_1)
	s_xor_b32 s15, exec_lo, s16
; %bb.159:                              ;   in Loop: Header=BB38_2 Depth=1
	v_lshlrev_b32_e32 v84, 2, v86
	ds_load_b32 v84, v84 offset:4
; %bb.160:                              ;   in Loop: Header=BB38_2 Depth=1
	s_wait_alu 0xfffe
	s_or_saveexec_b32 s15, s15
	v_mov_b32_e32 v87, v83
	s_wait_alu 0xfffe
	s_xor_b32 exec_lo, exec_lo, s15
	s_cbranch_execz .LBB38_162
; %bb.161:                              ;   in Loop: Header=BB38_2 Depth=1
	s_wait_dscnt 0x0
	v_lshlrev_b32_e32 v84, 2, v85
	ds_load_b32 v87, v84 offset:4
	v_mov_b32_e32 v84, v82
.LBB38_162:                             ;   in Loop: Header=BB38_2 Depth=1
	s_or_b32 exec_lo, exec_lo, s15
	v_add_nc_u32_e32 v88, 1, v86
	v_add_nc_u32_e32 v89, 1, v85
	v_cndmask_b32_e64 v80, v80, v81, s13
	v_cndmask_b32_e64 v78, v78, v79, s12
	;; [unrolled: 1-line block ×5, first 2 shown]
	s_wait_dscnt 0x0
	v_cmp_lt_i32_e64 s11, v87, v84
	v_cndmask_b32_e64 v74, v74, v75, s10
	v_cndmask_b32_e64 v70, v70, v71, s8
	v_cmp_ge_i32_e64 s12, v81, v26
	v_cmp_lt_i32_e64 s10, v79, v27
	v_cndmask_b32_e64 v72, v72, v73, s9
	v_cndmask_b32_e64 v82, v82, v83, s14
	s_wait_loadcnt 0x0
	s_or_b32 s8, s12, s11
	s_barrier_signal -1
	s_wait_alu 0xfffe
	s_and_b32 s8, s10, s8
	s_barrier_wait -1
	s_wait_alu 0xfffe
	v_cndmask_b32_e64 v71, v84, v87, s8
	global_inv scope:SCOPE_SE
	ds_store_2addr_b32 v9, v70, v72 offset1:1
	ds_store_2addr_b32 v9, v74, v76 offset0:2 offset1:3
	ds_store_2addr_b32 v9, v78, v80 offset0:4 offset1:5
	;; [unrolled: 1-line block ×3, first 2 shown]
	v_mov_b32_e32 v72, v43
	s_wait_loadcnt_dscnt 0x0
	s_barrier_signal -1
	s_barrier_wait -1
	global_inv scope:SCOPE_SE
	s_and_saveexec_b32 s9, s4
	s_cbranch_execz .LBB38_166
; %bb.163:                              ;   in Loop: Header=BB38_2 Depth=1
	v_mov_b32_e32 v72, v43
	v_mov_b32_e32 v70, v46
	s_mov_b32 s10, 0
.LBB38_164:                             ;   Parent Loop BB38_2 Depth=1
                                        ; =>  This Inner Loop Header: Depth=2
	s_delay_alu instid0(VALU_DEP_1) | instskip(NEXT) | instid1(VALU_DEP_1)
	v_sub_nc_u32_e32 v71, v70, v72
	v_lshrrev_b32_e32 v71, 1, v71
	s_delay_alu instid0(VALU_DEP_1) | instskip(NEXT) | instid1(VALU_DEP_1)
	v_add_nc_u32_e32 v71, v71, v72
	v_not_b32_e32 v73, v71
	v_lshl_add_u32 v74, v71, 2, v41
	v_add_nc_u32_e32 v75, 1, v71
	s_delay_alu instid0(VALU_DEP_3)
	v_lshl_add_u32 v73, v73, 2, v66
	ds_load_b32 v74, v74
	ds_load_b32 v73, v73
	s_wait_dscnt 0x0
	v_cmp_lt_i32_e64 s8, v73, v74
	s_wait_alu 0xf1ff
	s_delay_alu instid0(VALU_DEP_1) | instskip(SKIP_1) | instid1(VALU_DEP_1)
	v_cndmask_b32_e64 v70, v70, v71, s8
	v_cndmask_b32_e64 v72, v75, v72, s8
	v_cmp_ge_i32_e64 s8, v72, v70
	s_wait_alu 0xfffe
	s_or_b32 s10, s8, s10
	s_wait_alu 0xfffe
	s_and_not1_b32 exec_lo, exec_lo, s10
	s_cbranch_execnz .LBB38_164
; %bb.165:                              ;   in Loop: Header=BB38_2 Depth=1
	s_or_b32 exec_lo, exec_lo, s10
.LBB38_166:                             ;   in Loop: Header=BB38_2 Depth=1
	s_wait_alu 0xfffe
	s_or_b32 exec_lo, exec_lo, s9
	v_sub_nc_u32_e32 v74, v49, v72
	v_lshl_add_u32 v73, v72, 2, v41
	v_add_nc_u32_e32 v75, v72, v31
                                        ; implicit-def: $vgpr72
	s_delay_alu instid0(VALU_DEP_3) | instskip(SKIP_1) | instid1(VALU_DEP_3)
	v_lshlrev_b32_e32 v76, 2, v74
	v_cmp_gt_i32_e64 s10, v34, v74
	v_cmp_le_i32_e64 s8, v33, v75
	ds_load_b32 v70, v73
	ds_load_b32 v71, v76
	s_wait_dscnt 0x0
	v_cmp_lt_i32_e64 s9, v71, v70
	s_or_b32 s8, s8, s9
	s_wait_alu 0xfffe
	s_and_b32 s8, s10, s8
	s_wait_alu 0xfffe
	s_xor_b32 s9, s8, -1
	s_wait_alu 0xfffe
	s_and_saveexec_b32 s10, s9
	s_wait_alu 0xfffe
	s_xor_b32 s9, exec_lo, s10
; %bb.167:                              ;   in Loop: Header=BB38_2 Depth=1
	ds_load_b32 v72, v73 offset:4
                                        ; implicit-def: $vgpr76
; %bb.168:                              ;   in Loop: Header=BB38_2 Depth=1
	s_wait_alu 0xfffe
	s_or_saveexec_b32 s9, s9
	v_mov_b32_e32 v73, v71
	s_wait_alu 0xfffe
	s_xor_b32 exec_lo, exec_lo, s9
	s_cbranch_execz .LBB38_170
; %bb.169:                              ;   in Loop: Header=BB38_2 Depth=1
	ds_load_b32 v73, v76 offset:4
	s_wait_dscnt 0x1
	v_mov_b32_e32 v72, v70
.LBB38_170:                             ;   in Loop: Header=BB38_2 Depth=1
	s_or_b32 exec_lo, exec_lo, s9
	v_add_nc_u32_e32 v76, 1, v75
	v_add_nc_u32_e32 v78, 1, v74
	s_wait_dscnt 0x0
	v_cmp_lt_i32_e64 s10, v73, v72
	s_delay_alu instid0(VALU_DEP_3) | instskip(NEXT) | instid1(VALU_DEP_3)
	v_cndmask_b32_e64 v77, v76, v75, s8
	v_cndmask_b32_e64 v76, v74, v78, s8
                                        ; implicit-def: $vgpr74
	s_delay_alu instid0(VALU_DEP_2) | instskip(NEXT) | instid1(VALU_DEP_2)
	v_cmp_ge_i32_e64 s9, v77, v33
	v_cmp_lt_i32_e64 s11, v76, v34
	s_or_b32 s9, s9, s10
	s_wait_alu 0xfffe
	s_and_b32 s9, s11, s9
	s_wait_alu 0xfffe
	s_xor_b32 s10, s9, -1
	s_wait_alu 0xfffe
	s_and_saveexec_b32 s11, s10
	s_wait_alu 0xfffe
	s_xor_b32 s10, exec_lo, s11
; %bb.171:                              ;   in Loop: Header=BB38_2 Depth=1
	v_lshlrev_b32_e32 v74, 2, v77
	ds_load_b32 v74, v74 offset:4
; %bb.172:                              ;   in Loop: Header=BB38_2 Depth=1
	s_wait_alu 0xfffe
	s_or_saveexec_b32 s10, s10
	v_mov_b32_e32 v75, v73
	s_wait_alu 0xfffe
	s_xor_b32 exec_lo, exec_lo, s10
	s_cbranch_execz .LBB38_174
; %bb.173:                              ;   in Loop: Header=BB38_2 Depth=1
	s_wait_dscnt 0x0
	v_lshlrev_b32_e32 v74, 2, v76
	ds_load_b32 v75, v74 offset:4
	v_mov_b32_e32 v74, v72
.LBB38_174:                             ;   in Loop: Header=BB38_2 Depth=1
	s_or_b32 exec_lo, exec_lo, s10
	v_add_nc_u32_e32 v78, 1, v77
	v_add_nc_u32_e32 v80, 1, v76
	s_wait_dscnt 0x0
	v_cmp_lt_i32_e64 s11, v75, v74
	s_delay_alu instid0(VALU_DEP_3) | instskip(NEXT) | instid1(VALU_DEP_3)
	v_cndmask_b32_e64 v79, v78, v77, s9
	v_cndmask_b32_e64 v78, v76, v80, s9
                                        ; implicit-def: $vgpr76
	s_delay_alu instid0(VALU_DEP_2) | instskip(NEXT) | instid1(VALU_DEP_2)
	v_cmp_ge_i32_e64 s10, v79, v33
	v_cmp_lt_i32_e64 s12, v78, v34
	s_or_b32 s10, s10, s11
	s_wait_alu 0xfffe
	s_and_b32 s10, s12, s10
	s_wait_alu 0xfffe
	s_xor_b32 s11, s10, -1
	s_wait_alu 0xfffe
	s_and_saveexec_b32 s12, s11
	s_wait_alu 0xfffe
	s_xor_b32 s11, exec_lo, s12
; %bb.175:                              ;   in Loop: Header=BB38_2 Depth=1
	v_lshlrev_b32_e32 v76, 2, v79
	ds_load_b32 v76, v76 offset:4
; %bb.176:                              ;   in Loop: Header=BB38_2 Depth=1
	s_wait_alu 0xfffe
	s_or_saveexec_b32 s11, s11
	v_mov_b32_e32 v77, v75
	s_wait_alu 0xfffe
	s_xor_b32 exec_lo, exec_lo, s11
	s_cbranch_execz .LBB38_178
; %bb.177:                              ;   in Loop: Header=BB38_2 Depth=1
	s_wait_dscnt 0x0
	v_lshlrev_b32_e32 v76, 2, v78
	ds_load_b32 v77, v76 offset:4
	v_mov_b32_e32 v76, v74
.LBB38_178:                             ;   in Loop: Header=BB38_2 Depth=1
	s_or_b32 exec_lo, exec_lo, s11
	v_add_nc_u32_e32 v80, 1, v79
	v_add_nc_u32_e32 v82, 1, v78
	s_wait_dscnt 0x0
	v_cmp_lt_i32_e64 s12, v77, v76
	s_delay_alu instid0(VALU_DEP_3) | instskip(NEXT) | instid1(VALU_DEP_3)
	v_cndmask_b32_e64 v81, v80, v79, s10
	v_cndmask_b32_e64 v80, v78, v82, s10
                                        ; implicit-def: $vgpr78
	s_delay_alu instid0(VALU_DEP_2) | instskip(NEXT) | instid1(VALU_DEP_2)
	v_cmp_ge_i32_e64 s11, v81, v33
	v_cmp_lt_i32_e64 s13, v80, v34
	s_or_b32 s11, s11, s12
	s_wait_alu 0xfffe
	s_and_b32 s11, s13, s11
	s_wait_alu 0xfffe
	s_xor_b32 s12, s11, -1
	s_wait_alu 0xfffe
	s_and_saveexec_b32 s13, s12
	s_wait_alu 0xfffe
	s_xor_b32 s12, exec_lo, s13
; %bb.179:                              ;   in Loop: Header=BB38_2 Depth=1
	v_lshlrev_b32_e32 v78, 2, v81
	ds_load_b32 v78, v78 offset:4
; %bb.180:                              ;   in Loop: Header=BB38_2 Depth=1
	s_wait_alu 0xfffe
	s_or_saveexec_b32 s12, s12
	v_mov_b32_e32 v79, v77
	s_wait_alu 0xfffe
	s_xor_b32 exec_lo, exec_lo, s12
	s_cbranch_execz .LBB38_182
; %bb.181:                              ;   in Loop: Header=BB38_2 Depth=1
	s_wait_dscnt 0x0
	v_lshlrev_b32_e32 v78, 2, v80
	ds_load_b32 v79, v78 offset:4
	v_mov_b32_e32 v78, v76
.LBB38_182:                             ;   in Loop: Header=BB38_2 Depth=1
	s_or_b32 exec_lo, exec_lo, s12
	v_add_nc_u32_e32 v82, 1, v81
	v_add_nc_u32_e32 v84, 1, v80
	s_wait_dscnt 0x0
	v_cmp_lt_i32_e64 s13, v79, v78
	s_delay_alu instid0(VALU_DEP_3) | instskip(NEXT) | instid1(VALU_DEP_3)
	v_cndmask_b32_e64 v83, v82, v81, s11
	v_cndmask_b32_e64 v82, v80, v84, s11
                                        ; implicit-def: $vgpr80
	s_delay_alu instid0(VALU_DEP_2) | instskip(NEXT) | instid1(VALU_DEP_2)
	v_cmp_ge_i32_e64 s12, v83, v33
	v_cmp_lt_i32_e64 s14, v82, v34
	s_or_b32 s12, s12, s13
	s_wait_alu 0xfffe
	s_and_b32 s12, s14, s12
	s_wait_alu 0xfffe
	s_xor_b32 s13, s12, -1
	s_wait_alu 0xfffe
	s_and_saveexec_b32 s14, s13
	s_wait_alu 0xfffe
	s_xor_b32 s13, exec_lo, s14
; %bb.183:                              ;   in Loop: Header=BB38_2 Depth=1
	v_lshlrev_b32_e32 v80, 2, v83
	ds_load_b32 v80, v80 offset:4
; %bb.184:                              ;   in Loop: Header=BB38_2 Depth=1
	s_wait_alu 0xfffe
	s_or_saveexec_b32 s13, s13
	v_mov_b32_e32 v81, v79
	s_wait_alu 0xfffe
	s_xor_b32 exec_lo, exec_lo, s13
	s_cbranch_execz .LBB38_186
; %bb.185:                              ;   in Loop: Header=BB38_2 Depth=1
	s_wait_dscnt 0x0
	v_lshlrev_b32_e32 v80, 2, v82
	ds_load_b32 v81, v80 offset:4
	v_mov_b32_e32 v80, v78
.LBB38_186:                             ;   in Loop: Header=BB38_2 Depth=1
	s_or_b32 exec_lo, exec_lo, s13
	v_add_nc_u32_e32 v84, 1, v83
	v_add_nc_u32_e32 v86, 1, v82
	s_wait_dscnt 0x0
	v_cmp_lt_i32_e64 s14, v81, v80
	s_delay_alu instid0(VALU_DEP_3) | instskip(NEXT) | instid1(VALU_DEP_3)
	v_cndmask_b32_e64 v85, v84, v83, s12
	v_cndmask_b32_e64 v84, v82, v86, s12
                                        ; implicit-def: $vgpr82
	s_delay_alu instid0(VALU_DEP_2) | instskip(NEXT) | instid1(VALU_DEP_2)
	v_cmp_ge_i32_e64 s13, v85, v33
	v_cmp_lt_i32_e64 s15, v84, v34
	s_or_b32 s13, s13, s14
	s_wait_alu 0xfffe
	s_and_b32 s13, s15, s13
	s_wait_alu 0xfffe
	s_xor_b32 s14, s13, -1
	s_wait_alu 0xfffe
	s_and_saveexec_b32 s15, s14
	s_wait_alu 0xfffe
	s_xor_b32 s14, exec_lo, s15
; %bb.187:                              ;   in Loop: Header=BB38_2 Depth=1
	v_lshlrev_b32_e32 v82, 2, v85
	ds_load_b32 v82, v82 offset:4
; %bb.188:                              ;   in Loop: Header=BB38_2 Depth=1
	s_wait_alu 0xfffe
	s_or_saveexec_b32 s14, s14
	v_mov_b32_e32 v83, v81
	s_wait_alu 0xfffe
	s_xor_b32 exec_lo, exec_lo, s14
	s_cbranch_execz .LBB38_190
; %bb.189:                              ;   in Loop: Header=BB38_2 Depth=1
	s_wait_dscnt 0x0
	v_lshlrev_b32_e32 v82, 2, v84
	ds_load_b32 v83, v82 offset:4
	v_mov_b32_e32 v82, v80
.LBB38_190:                             ;   in Loop: Header=BB38_2 Depth=1
	s_or_b32 exec_lo, exec_lo, s14
	v_add_nc_u32_e32 v86, 1, v85
	v_add_nc_u32_e32 v87, 1, v84
	s_wait_dscnt 0x0
	v_cmp_lt_i32_e64 s15, v83, v82
	s_delay_alu instid0(VALU_DEP_3) | instskip(NEXT) | instid1(VALU_DEP_3)
	v_cndmask_b32_e64 v86, v86, v85, s13
	v_cndmask_b32_e64 v85, v84, v87, s13
                                        ; implicit-def: $vgpr84
	s_delay_alu instid0(VALU_DEP_2) | instskip(NEXT) | instid1(VALU_DEP_2)
	v_cmp_ge_i32_e64 s14, v86, v33
	v_cmp_lt_i32_e64 s16, v85, v34
	s_or_b32 s14, s14, s15
	s_wait_alu 0xfffe
	s_and_b32 s14, s16, s14
	s_wait_alu 0xfffe
	s_xor_b32 s15, s14, -1
	s_wait_alu 0xfffe
	s_and_saveexec_b32 s16, s15
	s_delay_alu instid0(SALU_CYCLE_1)
	s_xor_b32 s15, exec_lo, s16
; %bb.191:                              ;   in Loop: Header=BB38_2 Depth=1
	v_lshlrev_b32_e32 v84, 2, v86
	ds_load_b32 v84, v84 offset:4
; %bb.192:                              ;   in Loop: Header=BB38_2 Depth=1
	s_wait_alu 0xfffe
	s_or_saveexec_b32 s15, s15
	v_mov_b32_e32 v87, v83
	s_wait_alu 0xfffe
	s_xor_b32 exec_lo, exec_lo, s15
	s_cbranch_execz .LBB38_194
; %bb.193:                              ;   in Loop: Header=BB38_2 Depth=1
	s_wait_dscnt 0x0
	v_lshlrev_b32_e32 v84, 2, v85
	ds_load_b32 v87, v84 offset:4
	v_mov_b32_e32 v84, v82
.LBB38_194:                             ;   in Loop: Header=BB38_2 Depth=1
	s_or_b32 exec_lo, exec_lo, s15
	v_add_nc_u32_e32 v88, 1, v86
	v_add_nc_u32_e32 v89, 1, v85
	v_cndmask_b32_e64 v80, v80, v81, s13
	v_cndmask_b32_e64 v78, v78, v79, s12
	;; [unrolled: 1-line block ×5, first 2 shown]
	s_wait_dscnt 0x0
	v_cmp_lt_i32_e64 s11, v87, v84
	v_cndmask_b32_e64 v74, v74, v75, s10
	v_cndmask_b32_e64 v70, v70, v71, s8
	v_cmp_ge_i32_e64 s12, v81, v33
	v_cmp_lt_i32_e64 s10, v79, v34
	v_cndmask_b32_e64 v72, v72, v73, s9
	v_cndmask_b32_e64 v82, v82, v83, s14
	s_wait_loadcnt 0x0
	s_or_b32 s8, s12, s11
	s_barrier_signal -1
	s_wait_alu 0xfffe
	s_and_b32 s8, s10, s8
	s_barrier_wait -1
	s_wait_alu 0xfffe
	v_cndmask_b32_e64 v71, v84, v87, s8
	global_inv scope:SCOPE_SE
	ds_store_2addr_b32 v9, v70, v72 offset1:1
	ds_store_2addr_b32 v9, v74, v76 offset0:2 offset1:3
	ds_store_2addr_b32 v9, v78, v80 offset0:4 offset1:5
	ds_store_2addr_b32 v9, v82, v71 offset0:6 offset1:7
	v_mov_b32_e32 v72, v50
	s_wait_loadcnt_dscnt 0x0
	s_barrier_signal -1
	s_barrier_wait -1
	global_inv scope:SCOPE_SE
	s_and_saveexec_b32 s9, s5
	s_cbranch_execz .LBB38_198
; %bb.195:                              ;   in Loop: Header=BB38_2 Depth=1
	v_mov_b32_e32 v72, v50
	v_mov_b32_e32 v70, v51
	s_mov_b32 s10, 0
.LBB38_196:                             ;   Parent Loop BB38_2 Depth=1
                                        ; =>  This Inner Loop Header: Depth=2
	s_delay_alu instid0(VALU_DEP_1) | instskip(NEXT) | instid1(VALU_DEP_1)
	v_sub_nc_u32_e32 v71, v70, v72
	v_lshrrev_b32_e32 v71, 1, v71
	s_delay_alu instid0(VALU_DEP_1) | instskip(NEXT) | instid1(VALU_DEP_1)
	v_add_nc_u32_e32 v71, v71, v72
	v_not_b32_e32 v73, v71
	v_lshl_add_u32 v74, v71, 2, v54
	v_add_nc_u32_e32 v75, 1, v71
	s_delay_alu instid0(VALU_DEP_3)
	v_lshl_add_u32 v73, v73, 2, v67
	ds_load_b32 v74, v74
	ds_load_b32 v73, v73
	s_wait_dscnt 0x0
	v_cmp_lt_i32_e64 s8, v73, v74
	s_wait_alu 0xf1ff
	s_delay_alu instid0(VALU_DEP_1) | instskip(SKIP_1) | instid1(VALU_DEP_1)
	v_cndmask_b32_e64 v70, v70, v71, s8
	v_cndmask_b32_e64 v72, v75, v72, s8
	v_cmp_ge_i32_e64 s8, v72, v70
	s_wait_alu 0xfffe
	s_or_b32 s10, s8, s10
	s_wait_alu 0xfffe
	s_and_not1_b32 exec_lo, exec_lo, s10
	s_cbranch_execnz .LBB38_196
; %bb.197:                              ;   in Loop: Header=BB38_2 Depth=1
	s_or_b32 exec_lo, exec_lo, s10
.LBB38_198:                             ;   in Loop: Header=BB38_2 Depth=1
	s_wait_alu 0xfffe
	s_or_b32 exec_lo, exec_lo, s9
	v_sub_nc_u32_e32 v74, v55, v72
	v_lshl_add_u32 v73, v72, 2, v54
	v_add_nc_u32_e32 v75, v72, v40
                                        ; implicit-def: $vgpr72
	s_delay_alu instid0(VALU_DEP_3) | instskip(SKIP_1) | instid1(VALU_DEP_3)
	v_lshlrev_b32_e32 v76, 2, v74
	v_cmp_gt_i32_e64 s10, v45, v74
	v_cmp_le_i32_e64 s8, v44, v75
	ds_load_b32 v70, v73
	ds_load_b32 v71, v76
	s_wait_dscnt 0x0
	v_cmp_lt_i32_e64 s9, v71, v70
	s_or_b32 s8, s8, s9
	s_wait_alu 0xfffe
	s_and_b32 s8, s10, s8
	s_wait_alu 0xfffe
	s_xor_b32 s9, s8, -1
	s_wait_alu 0xfffe
	s_and_saveexec_b32 s10, s9
	s_wait_alu 0xfffe
	s_xor_b32 s9, exec_lo, s10
; %bb.199:                              ;   in Loop: Header=BB38_2 Depth=1
	ds_load_b32 v72, v73 offset:4
                                        ; implicit-def: $vgpr76
; %bb.200:                              ;   in Loop: Header=BB38_2 Depth=1
	s_wait_alu 0xfffe
	s_or_saveexec_b32 s9, s9
	v_mov_b32_e32 v73, v71
	s_wait_alu 0xfffe
	s_xor_b32 exec_lo, exec_lo, s9
	s_cbranch_execz .LBB38_202
; %bb.201:                              ;   in Loop: Header=BB38_2 Depth=1
	ds_load_b32 v73, v76 offset:4
	s_wait_dscnt 0x1
	v_mov_b32_e32 v72, v70
.LBB38_202:                             ;   in Loop: Header=BB38_2 Depth=1
	s_or_b32 exec_lo, exec_lo, s9
	v_add_nc_u32_e32 v76, 1, v75
	v_add_nc_u32_e32 v78, 1, v74
	s_wait_dscnt 0x0
	v_cmp_lt_i32_e64 s10, v73, v72
	s_delay_alu instid0(VALU_DEP_3) | instskip(NEXT) | instid1(VALU_DEP_3)
	v_cndmask_b32_e64 v77, v76, v75, s8
	v_cndmask_b32_e64 v76, v74, v78, s8
                                        ; implicit-def: $vgpr74
	s_delay_alu instid0(VALU_DEP_2) | instskip(NEXT) | instid1(VALU_DEP_2)
	v_cmp_ge_i32_e64 s9, v77, v44
	v_cmp_lt_i32_e64 s11, v76, v45
	s_or_b32 s9, s9, s10
	s_wait_alu 0xfffe
	s_and_b32 s9, s11, s9
	s_wait_alu 0xfffe
	s_xor_b32 s10, s9, -1
	s_wait_alu 0xfffe
	s_and_saveexec_b32 s11, s10
	s_wait_alu 0xfffe
	s_xor_b32 s10, exec_lo, s11
; %bb.203:                              ;   in Loop: Header=BB38_2 Depth=1
	v_lshlrev_b32_e32 v74, 2, v77
	ds_load_b32 v74, v74 offset:4
; %bb.204:                              ;   in Loop: Header=BB38_2 Depth=1
	s_wait_alu 0xfffe
	s_or_saveexec_b32 s10, s10
	v_mov_b32_e32 v75, v73
	s_wait_alu 0xfffe
	s_xor_b32 exec_lo, exec_lo, s10
	s_cbranch_execz .LBB38_206
; %bb.205:                              ;   in Loop: Header=BB38_2 Depth=1
	s_wait_dscnt 0x0
	v_lshlrev_b32_e32 v74, 2, v76
	ds_load_b32 v75, v74 offset:4
	v_mov_b32_e32 v74, v72
.LBB38_206:                             ;   in Loop: Header=BB38_2 Depth=1
	s_or_b32 exec_lo, exec_lo, s10
	v_add_nc_u32_e32 v78, 1, v77
	v_add_nc_u32_e32 v80, 1, v76
	s_wait_dscnt 0x0
	v_cmp_lt_i32_e64 s11, v75, v74
	s_delay_alu instid0(VALU_DEP_3) | instskip(NEXT) | instid1(VALU_DEP_3)
	v_cndmask_b32_e64 v79, v78, v77, s9
	v_cndmask_b32_e64 v78, v76, v80, s9
                                        ; implicit-def: $vgpr76
	s_delay_alu instid0(VALU_DEP_2) | instskip(NEXT) | instid1(VALU_DEP_2)
	v_cmp_ge_i32_e64 s10, v79, v44
	v_cmp_lt_i32_e64 s12, v78, v45
	s_or_b32 s10, s10, s11
	s_wait_alu 0xfffe
	s_and_b32 s10, s12, s10
	s_wait_alu 0xfffe
	s_xor_b32 s11, s10, -1
	s_wait_alu 0xfffe
	s_and_saveexec_b32 s12, s11
	s_wait_alu 0xfffe
	s_xor_b32 s11, exec_lo, s12
; %bb.207:                              ;   in Loop: Header=BB38_2 Depth=1
	v_lshlrev_b32_e32 v76, 2, v79
	ds_load_b32 v76, v76 offset:4
; %bb.208:                              ;   in Loop: Header=BB38_2 Depth=1
	s_wait_alu 0xfffe
	s_or_saveexec_b32 s11, s11
	v_mov_b32_e32 v77, v75
	s_wait_alu 0xfffe
	s_xor_b32 exec_lo, exec_lo, s11
	s_cbranch_execz .LBB38_210
; %bb.209:                              ;   in Loop: Header=BB38_2 Depth=1
	s_wait_dscnt 0x0
	v_lshlrev_b32_e32 v76, 2, v78
	ds_load_b32 v77, v76 offset:4
	v_mov_b32_e32 v76, v74
.LBB38_210:                             ;   in Loop: Header=BB38_2 Depth=1
	s_or_b32 exec_lo, exec_lo, s11
	v_add_nc_u32_e32 v80, 1, v79
	v_add_nc_u32_e32 v82, 1, v78
	s_wait_dscnt 0x0
	v_cmp_lt_i32_e64 s12, v77, v76
	s_delay_alu instid0(VALU_DEP_3) | instskip(NEXT) | instid1(VALU_DEP_3)
	v_cndmask_b32_e64 v81, v80, v79, s10
	v_cndmask_b32_e64 v80, v78, v82, s10
                                        ; implicit-def: $vgpr78
	s_delay_alu instid0(VALU_DEP_2) | instskip(NEXT) | instid1(VALU_DEP_2)
	v_cmp_ge_i32_e64 s11, v81, v44
	v_cmp_lt_i32_e64 s13, v80, v45
	s_or_b32 s11, s11, s12
	s_wait_alu 0xfffe
	s_and_b32 s11, s13, s11
	s_wait_alu 0xfffe
	s_xor_b32 s12, s11, -1
	s_wait_alu 0xfffe
	s_and_saveexec_b32 s13, s12
	s_wait_alu 0xfffe
	s_xor_b32 s12, exec_lo, s13
; %bb.211:                              ;   in Loop: Header=BB38_2 Depth=1
	v_lshlrev_b32_e32 v78, 2, v81
	ds_load_b32 v78, v78 offset:4
; %bb.212:                              ;   in Loop: Header=BB38_2 Depth=1
	s_wait_alu 0xfffe
	s_or_saveexec_b32 s12, s12
	v_mov_b32_e32 v79, v77
	s_wait_alu 0xfffe
	s_xor_b32 exec_lo, exec_lo, s12
	s_cbranch_execz .LBB38_214
; %bb.213:                              ;   in Loop: Header=BB38_2 Depth=1
	s_wait_dscnt 0x0
	v_lshlrev_b32_e32 v78, 2, v80
	ds_load_b32 v79, v78 offset:4
	v_mov_b32_e32 v78, v76
.LBB38_214:                             ;   in Loop: Header=BB38_2 Depth=1
	s_or_b32 exec_lo, exec_lo, s12
	v_add_nc_u32_e32 v82, 1, v81
	v_add_nc_u32_e32 v84, 1, v80
	s_wait_dscnt 0x0
	v_cmp_lt_i32_e64 s13, v79, v78
	s_delay_alu instid0(VALU_DEP_3) | instskip(NEXT) | instid1(VALU_DEP_3)
	v_cndmask_b32_e64 v83, v82, v81, s11
	v_cndmask_b32_e64 v82, v80, v84, s11
                                        ; implicit-def: $vgpr80
	s_delay_alu instid0(VALU_DEP_2) | instskip(NEXT) | instid1(VALU_DEP_2)
	v_cmp_ge_i32_e64 s12, v83, v44
	v_cmp_lt_i32_e64 s14, v82, v45
	s_or_b32 s12, s12, s13
	s_wait_alu 0xfffe
	s_and_b32 s12, s14, s12
	s_wait_alu 0xfffe
	s_xor_b32 s13, s12, -1
	s_wait_alu 0xfffe
	s_and_saveexec_b32 s14, s13
	s_wait_alu 0xfffe
	s_xor_b32 s13, exec_lo, s14
; %bb.215:                              ;   in Loop: Header=BB38_2 Depth=1
	v_lshlrev_b32_e32 v80, 2, v83
	ds_load_b32 v80, v80 offset:4
; %bb.216:                              ;   in Loop: Header=BB38_2 Depth=1
	s_wait_alu 0xfffe
	s_or_saveexec_b32 s13, s13
	v_mov_b32_e32 v81, v79
	s_wait_alu 0xfffe
	s_xor_b32 exec_lo, exec_lo, s13
	s_cbranch_execz .LBB38_218
; %bb.217:                              ;   in Loop: Header=BB38_2 Depth=1
	s_wait_dscnt 0x0
	v_lshlrev_b32_e32 v80, 2, v82
	ds_load_b32 v81, v80 offset:4
	v_mov_b32_e32 v80, v78
.LBB38_218:                             ;   in Loop: Header=BB38_2 Depth=1
	s_or_b32 exec_lo, exec_lo, s13
	v_add_nc_u32_e32 v84, 1, v83
	v_add_nc_u32_e32 v86, 1, v82
	s_wait_dscnt 0x0
	v_cmp_lt_i32_e64 s14, v81, v80
	s_delay_alu instid0(VALU_DEP_3) | instskip(NEXT) | instid1(VALU_DEP_3)
	v_cndmask_b32_e64 v85, v84, v83, s12
	v_cndmask_b32_e64 v84, v82, v86, s12
                                        ; implicit-def: $vgpr82
	s_delay_alu instid0(VALU_DEP_2) | instskip(NEXT) | instid1(VALU_DEP_2)
	v_cmp_ge_i32_e64 s13, v85, v44
	v_cmp_lt_i32_e64 s15, v84, v45
	s_or_b32 s13, s13, s14
	s_wait_alu 0xfffe
	s_and_b32 s13, s15, s13
	s_wait_alu 0xfffe
	s_xor_b32 s14, s13, -1
	s_wait_alu 0xfffe
	s_and_saveexec_b32 s15, s14
	s_wait_alu 0xfffe
	s_xor_b32 s14, exec_lo, s15
; %bb.219:                              ;   in Loop: Header=BB38_2 Depth=1
	v_lshlrev_b32_e32 v82, 2, v85
	ds_load_b32 v82, v82 offset:4
; %bb.220:                              ;   in Loop: Header=BB38_2 Depth=1
	s_wait_alu 0xfffe
	s_or_saveexec_b32 s14, s14
	v_mov_b32_e32 v83, v81
	s_wait_alu 0xfffe
	s_xor_b32 exec_lo, exec_lo, s14
	s_cbranch_execz .LBB38_222
; %bb.221:                              ;   in Loop: Header=BB38_2 Depth=1
	s_wait_dscnt 0x0
	v_lshlrev_b32_e32 v82, 2, v84
	ds_load_b32 v83, v82 offset:4
	v_mov_b32_e32 v82, v80
.LBB38_222:                             ;   in Loop: Header=BB38_2 Depth=1
	s_or_b32 exec_lo, exec_lo, s14
	v_add_nc_u32_e32 v86, 1, v85
	v_add_nc_u32_e32 v87, 1, v84
	s_wait_dscnt 0x0
	v_cmp_lt_i32_e64 s15, v83, v82
	s_delay_alu instid0(VALU_DEP_3) | instskip(NEXT) | instid1(VALU_DEP_3)
	v_cndmask_b32_e64 v86, v86, v85, s13
	v_cndmask_b32_e64 v85, v84, v87, s13
                                        ; implicit-def: $vgpr84
	s_delay_alu instid0(VALU_DEP_2) | instskip(NEXT) | instid1(VALU_DEP_2)
	v_cmp_ge_i32_e64 s14, v86, v44
	v_cmp_lt_i32_e64 s16, v85, v45
	s_or_b32 s14, s14, s15
	s_wait_alu 0xfffe
	s_and_b32 s14, s16, s14
	s_wait_alu 0xfffe
	s_xor_b32 s15, s14, -1
	s_wait_alu 0xfffe
	s_and_saveexec_b32 s16, s15
	s_delay_alu instid0(SALU_CYCLE_1)
	s_xor_b32 s15, exec_lo, s16
; %bb.223:                              ;   in Loop: Header=BB38_2 Depth=1
	v_lshlrev_b32_e32 v84, 2, v86
	ds_load_b32 v84, v84 offset:4
; %bb.224:                              ;   in Loop: Header=BB38_2 Depth=1
	s_wait_alu 0xfffe
	s_or_saveexec_b32 s15, s15
	v_mov_b32_e32 v87, v83
	s_wait_alu 0xfffe
	s_xor_b32 exec_lo, exec_lo, s15
	s_cbranch_execz .LBB38_226
; %bb.225:                              ;   in Loop: Header=BB38_2 Depth=1
	s_wait_dscnt 0x0
	v_lshlrev_b32_e32 v84, 2, v85
	ds_load_b32 v87, v84 offset:4
	v_mov_b32_e32 v84, v82
.LBB38_226:                             ;   in Loop: Header=BB38_2 Depth=1
	s_or_b32 exec_lo, exec_lo, s15
	v_add_nc_u32_e32 v88, 1, v86
	v_add_nc_u32_e32 v89, 1, v85
	v_cndmask_b32_e64 v80, v80, v81, s13
	v_cndmask_b32_e64 v78, v78, v79, s12
	v_cndmask_b32_e64 v76, v76, v77, s11
	v_cndmask_b32_e64 v81, v88, v86, s14
	v_cndmask_b32_e64 v79, v85, v89, s14
	s_wait_dscnt 0x0
	v_cmp_lt_i32_e64 s11, v87, v84
	v_cndmask_b32_e64 v74, v74, v75, s10
	v_cndmask_b32_e64 v70, v70, v71, s8
	v_cmp_ge_i32_e64 s12, v81, v44
	v_cmp_lt_i32_e64 s10, v79, v45
	v_cndmask_b32_e64 v72, v72, v73, s9
	v_cndmask_b32_e64 v82, v82, v83, s14
	s_wait_loadcnt 0x0
	s_or_b32 s8, s12, s11
	s_barrier_signal -1
	s_wait_alu 0xfffe
	s_and_b32 s8, s10, s8
	s_barrier_wait -1
	s_wait_alu 0xfffe
	v_cndmask_b32_e64 v71, v84, v87, s8
	global_inv scope:SCOPE_SE
	ds_store_2addr_b32 v9, v70, v72 offset1:1
	ds_store_2addr_b32 v9, v74, v76 offset0:2 offset1:3
	ds_store_2addr_b32 v9, v78, v80 offset0:4 offset1:5
	;; [unrolled: 1-line block ×3, first 2 shown]
	v_mov_b32_e32 v72, v52
	s_wait_loadcnt_dscnt 0x0
	s_barrier_signal -1
	s_barrier_wait -1
	global_inv scope:SCOPE_SE
	s_and_saveexec_b32 s9, s6
	s_cbranch_execz .LBB38_230
; %bb.227:                              ;   in Loop: Header=BB38_2 Depth=1
	v_mov_b32_e32 v72, v52
	v_mov_b32_e32 v70, v53
	s_mov_b32 s10, 0
.LBB38_228:                             ;   Parent Loop BB38_2 Depth=1
                                        ; =>  This Inner Loop Header: Depth=2
	s_delay_alu instid0(VALU_DEP_1) | instskip(NEXT) | instid1(VALU_DEP_1)
	v_sub_nc_u32_e32 v71, v70, v72
	v_lshrrev_b32_e32 v71, 1, v71
	s_delay_alu instid0(VALU_DEP_1) | instskip(NEXT) | instid1(VALU_DEP_1)
	v_add_nc_u32_e32 v71, v71, v72
	v_not_b32_e32 v73, v71
	v_lshl_add_u32 v74, v71, 2, v56
	v_add_nc_u32_e32 v75, 1, v71
	s_delay_alu instid0(VALU_DEP_3)
	v_lshl_add_u32 v73, v73, 2, v68
	ds_load_b32 v74, v74
	ds_load_b32 v73, v73
	s_wait_dscnt 0x0
	v_cmp_lt_i32_e64 s8, v73, v74
	s_wait_alu 0xf1ff
	s_delay_alu instid0(VALU_DEP_1) | instskip(SKIP_1) | instid1(VALU_DEP_1)
	v_cndmask_b32_e64 v70, v70, v71, s8
	v_cndmask_b32_e64 v72, v75, v72, s8
	v_cmp_ge_i32_e64 s8, v72, v70
	s_wait_alu 0xfffe
	s_or_b32 s10, s8, s10
	s_wait_alu 0xfffe
	s_and_not1_b32 exec_lo, exec_lo, s10
	s_cbranch_execnz .LBB38_228
; %bb.229:                              ;   in Loop: Header=BB38_2 Depth=1
	s_or_b32 exec_lo, exec_lo, s10
.LBB38_230:                             ;   in Loop: Header=BB38_2 Depth=1
	s_wait_alu 0xfffe
	s_or_b32 exec_lo, exec_lo, s9
	v_sub_nc_u32_e32 v74, v59, v72
	v_lshl_add_u32 v73, v72, 2, v56
	v_add_nc_u32_e32 v75, v72, v42
                                        ; implicit-def: $vgpr72
	s_delay_alu instid0(VALU_DEP_3) | instskip(SKIP_1) | instid1(VALU_DEP_3)
	v_lshlrev_b32_e32 v76, 2, v74
	v_cmp_gt_i32_e64 s10, v48, v74
	v_cmp_le_i32_e64 s8, v47, v75
	ds_load_b32 v70, v73
	ds_load_b32 v71, v76
	s_wait_dscnt 0x0
	v_cmp_lt_i32_e64 s9, v71, v70
	s_or_b32 s8, s8, s9
	s_wait_alu 0xfffe
	s_and_b32 s8, s10, s8
	s_wait_alu 0xfffe
	s_xor_b32 s9, s8, -1
	s_wait_alu 0xfffe
	s_and_saveexec_b32 s10, s9
	s_wait_alu 0xfffe
	s_xor_b32 s9, exec_lo, s10
; %bb.231:                              ;   in Loop: Header=BB38_2 Depth=1
	ds_load_b32 v72, v73 offset:4
                                        ; implicit-def: $vgpr76
; %bb.232:                              ;   in Loop: Header=BB38_2 Depth=1
	s_wait_alu 0xfffe
	s_or_saveexec_b32 s9, s9
	v_mov_b32_e32 v73, v71
	s_wait_alu 0xfffe
	s_xor_b32 exec_lo, exec_lo, s9
	s_cbranch_execz .LBB38_234
; %bb.233:                              ;   in Loop: Header=BB38_2 Depth=1
	ds_load_b32 v73, v76 offset:4
	s_wait_dscnt 0x1
	v_mov_b32_e32 v72, v70
.LBB38_234:                             ;   in Loop: Header=BB38_2 Depth=1
	s_or_b32 exec_lo, exec_lo, s9
	v_add_nc_u32_e32 v76, 1, v75
	v_add_nc_u32_e32 v78, 1, v74
	s_wait_dscnt 0x0
	v_cmp_lt_i32_e64 s10, v73, v72
	s_delay_alu instid0(VALU_DEP_3) | instskip(NEXT) | instid1(VALU_DEP_3)
	v_cndmask_b32_e64 v77, v76, v75, s8
	v_cndmask_b32_e64 v76, v74, v78, s8
                                        ; implicit-def: $vgpr74
	s_delay_alu instid0(VALU_DEP_2) | instskip(NEXT) | instid1(VALU_DEP_2)
	v_cmp_ge_i32_e64 s9, v77, v47
	v_cmp_lt_i32_e64 s11, v76, v48
	s_or_b32 s9, s9, s10
	s_wait_alu 0xfffe
	s_and_b32 s9, s11, s9
	s_wait_alu 0xfffe
	s_xor_b32 s10, s9, -1
	s_wait_alu 0xfffe
	s_and_saveexec_b32 s11, s10
	s_wait_alu 0xfffe
	s_xor_b32 s10, exec_lo, s11
; %bb.235:                              ;   in Loop: Header=BB38_2 Depth=1
	v_lshlrev_b32_e32 v74, 2, v77
	ds_load_b32 v74, v74 offset:4
; %bb.236:                              ;   in Loop: Header=BB38_2 Depth=1
	s_wait_alu 0xfffe
	s_or_saveexec_b32 s10, s10
	v_mov_b32_e32 v75, v73
	s_wait_alu 0xfffe
	s_xor_b32 exec_lo, exec_lo, s10
	s_cbranch_execz .LBB38_238
; %bb.237:                              ;   in Loop: Header=BB38_2 Depth=1
	s_wait_dscnt 0x0
	v_lshlrev_b32_e32 v74, 2, v76
	ds_load_b32 v75, v74 offset:4
	v_mov_b32_e32 v74, v72
.LBB38_238:                             ;   in Loop: Header=BB38_2 Depth=1
	s_or_b32 exec_lo, exec_lo, s10
	v_add_nc_u32_e32 v78, 1, v77
	v_add_nc_u32_e32 v80, 1, v76
	s_wait_dscnt 0x0
	v_cmp_lt_i32_e64 s11, v75, v74
	s_delay_alu instid0(VALU_DEP_3) | instskip(NEXT) | instid1(VALU_DEP_3)
	v_cndmask_b32_e64 v79, v78, v77, s9
	v_cndmask_b32_e64 v78, v76, v80, s9
                                        ; implicit-def: $vgpr76
	s_delay_alu instid0(VALU_DEP_2) | instskip(NEXT) | instid1(VALU_DEP_2)
	v_cmp_ge_i32_e64 s10, v79, v47
	v_cmp_lt_i32_e64 s12, v78, v48
	s_or_b32 s10, s10, s11
	s_wait_alu 0xfffe
	s_and_b32 s10, s12, s10
	s_wait_alu 0xfffe
	s_xor_b32 s11, s10, -1
	s_wait_alu 0xfffe
	s_and_saveexec_b32 s12, s11
	s_wait_alu 0xfffe
	s_xor_b32 s11, exec_lo, s12
; %bb.239:                              ;   in Loop: Header=BB38_2 Depth=1
	v_lshlrev_b32_e32 v76, 2, v79
	ds_load_b32 v76, v76 offset:4
; %bb.240:                              ;   in Loop: Header=BB38_2 Depth=1
	s_wait_alu 0xfffe
	s_or_saveexec_b32 s11, s11
	v_mov_b32_e32 v77, v75
	s_wait_alu 0xfffe
	s_xor_b32 exec_lo, exec_lo, s11
	s_cbranch_execz .LBB38_242
; %bb.241:                              ;   in Loop: Header=BB38_2 Depth=1
	s_wait_dscnt 0x0
	v_lshlrev_b32_e32 v76, 2, v78
	ds_load_b32 v77, v76 offset:4
	v_mov_b32_e32 v76, v74
.LBB38_242:                             ;   in Loop: Header=BB38_2 Depth=1
	s_or_b32 exec_lo, exec_lo, s11
	v_add_nc_u32_e32 v80, 1, v79
	v_add_nc_u32_e32 v82, 1, v78
	s_wait_dscnt 0x0
	v_cmp_lt_i32_e64 s12, v77, v76
	s_delay_alu instid0(VALU_DEP_3) | instskip(NEXT) | instid1(VALU_DEP_3)
	v_cndmask_b32_e64 v81, v80, v79, s10
	v_cndmask_b32_e64 v80, v78, v82, s10
                                        ; implicit-def: $vgpr78
	s_delay_alu instid0(VALU_DEP_2) | instskip(NEXT) | instid1(VALU_DEP_2)
	v_cmp_ge_i32_e64 s11, v81, v47
	v_cmp_lt_i32_e64 s13, v80, v48
	s_or_b32 s11, s11, s12
	s_wait_alu 0xfffe
	s_and_b32 s11, s13, s11
	s_wait_alu 0xfffe
	s_xor_b32 s12, s11, -1
	s_wait_alu 0xfffe
	s_and_saveexec_b32 s13, s12
	s_wait_alu 0xfffe
	s_xor_b32 s12, exec_lo, s13
; %bb.243:                              ;   in Loop: Header=BB38_2 Depth=1
	v_lshlrev_b32_e32 v78, 2, v81
	ds_load_b32 v78, v78 offset:4
; %bb.244:                              ;   in Loop: Header=BB38_2 Depth=1
	s_wait_alu 0xfffe
	s_or_saveexec_b32 s12, s12
	v_mov_b32_e32 v79, v77
	s_wait_alu 0xfffe
	s_xor_b32 exec_lo, exec_lo, s12
	s_cbranch_execz .LBB38_246
; %bb.245:                              ;   in Loop: Header=BB38_2 Depth=1
	s_wait_dscnt 0x0
	v_lshlrev_b32_e32 v78, 2, v80
	ds_load_b32 v79, v78 offset:4
	v_mov_b32_e32 v78, v76
.LBB38_246:                             ;   in Loop: Header=BB38_2 Depth=1
	s_or_b32 exec_lo, exec_lo, s12
	v_add_nc_u32_e32 v82, 1, v81
	v_add_nc_u32_e32 v84, 1, v80
	s_wait_dscnt 0x0
	v_cmp_lt_i32_e64 s13, v79, v78
	s_delay_alu instid0(VALU_DEP_3) | instskip(NEXT) | instid1(VALU_DEP_3)
	v_cndmask_b32_e64 v83, v82, v81, s11
	v_cndmask_b32_e64 v82, v80, v84, s11
                                        ; implicit-def: $vgpr80
	s_delay_alu instid0(VALU_DEP_2) | instskip(NEXT) | instid1(VALU_DEP_2)
	v_cmp_ge_i32_e64 s12, v83, v47
	v_cmp_lt_i32_e64 s14, v82, v48
	s_or_b32 s12, s12, s13
	s_wait_alu 0xfffe
	s_and_b32 s12, s14, s12
	s_wait_alu 0xfffe
	s_xor_b32 s13, s12, -1
	s_wait_alu 0xfffe
	s_and_saveexec_b32 s14, s13
	s_wait_alu 0xfffe
	s_xor_b32 s13, exec_lo, s14
; %bb.247:                              ;   in Loop: Header=BB38_2 Depth=1
	v_lshlrev_b32_e32 v80, 2, v83
	ds_load_b32 v80, v80 offset:4
; %bb.248:                              ;   in Loop: Header=BB38_2 Depth=1
	s_wait_alu 0xfffe
	s_or_saveexec_b32 s13, s13
	v_mov_b32_e32 v81, v79
	s_wait_alu 0xfffe
	s_xor_b32 exec_lo, exec_lo, s13
	s_cbranch_execz .LBB38_250
; %bb.249:                              ;   in Loop: Header=BB38_2 Depth=1
	s_wait_dscnt 0x0
	v_lshlrev_b32_e32 v80, 2, v82
	ds_load_b32 v81, v80 offset:4
	v_mov_b32_e32 v80, v78
.LBB38_250:                             ;   in Loop: Header=BB38_2 Depth=1
	s_or_b32 exec_lo, exec_lo, s13
	v_add_nc_u32_e32 v84, 1, v83
	v_add_nc_u32_e32 v86, 1, v82
	s_wait_dscnt 0x0
	v_cmp_lt_i32_e64 s14, v81, v80
	s_delay_alu instid0(VALU_DEP_3) | instskip(NEXT) | instid1(VALU_DEP_3)
	v_cndmask_b32_e64 v85, v84, v83, s12
	v_cndmask_b32_e64 v84, v82, v86, s12
                                        ; implicit-def: $vgpr82
	s_delay_alu instid0(VALU_DEP_2) | instskip(NEXT) | instid1(VALU_DEP_2)
	v_cmp_ge_i32_e64 s13, v85, v47
	v_cmp_lt_i32_e64 s15, v84, v48
	s_or_b32 s13, s13, s14
	s_wait_alu 0xfffe
	s_and_b32 s13, s15, s13
	s_wait_alu 0xfffe
	s_xor_b32 s14, s13, -1
	s_wait_alu 0xfffe
	s_and_saveexec_b32 s15, s14
	s_wait_alu 0xfffe
	s_xor_b32 s14, exec_lo, s15
; %bb.251:                              ;   in Loop: Header=BB38_2 Depth=1
	v_lshlrev_b32_e32 v82, 2, v85
	ds_load_b32 v82, v82 offset:4
; %bb.252:                              ;   in Loop: Header=BB38_2 Depth=1
	s_wait_alu 0xfffe
	s_or_saveexec_b32 s14, s14
	v_mov_b32_e32 v83, v81
	s_wait_alu 0xfffe
	s_xor_b32 exec_lo, exec_lo, s14
	s_cbranch_execz .LBB38_254
; %bb.253:                              ;   in Loop: Header=BB38_2 Depth=1
	s_wait_dscnt 0x0
	v_lshlrev_b32_e32 v82, 2, v84
	ds_load_b32 v83, v82 offset:4
	v_mov_b32_e32 v82, v80
.LBB38_254:                             ;   in Loop: Header=BB38_2 Depth=1
	s_or_b32 exec_lo, exec_lo, s14
	v_add_nc_u32_e32 v86, 1, v85
	v_add_nc_u32_e32 v87, 1, v84
	s_wait_dscnt 0x0
	v_cmp_lt_i32_e64 s15, v83, v82
	s_delay_alu instid0(VALU_DEP_3) | instskip(NEXT) | instid1(VALU_DEP_3)
	v_cndmask_b32_e64 v86, v86, v85, s13
	v_cndmask_b32_e64 v85, v84, v87, s13
                                        ; implicit-def: $vgpr84
	s_delay_alu instid0(VALU_DEP_2) | instskip(NEXT) | instid1(VALU_DEP_2)
	v_cmp_ge_i32_e64 s14, v86, v47
	v_cmp_lt_i32_e64 s16, v85, v48
	s_or_b32 s14, s14, s15
	s_wait_alu 0xfffe
	s_and_b32 s14, s16, s14
	s_wait_alu 0xfffe
	s_xor_b32 s15, s14, -1
	s_wait_alu 0xfffe
	s_and_saveexec_b32 s16, s15
	s_delay_alu instid0(SALU_CYCLE_1)
	s_xor_b32 s15, exec_lo, s16
; %bb.255:                              ;   in Loop: Header=BB38_2 Depth=1
	v_lshlrev_b32_e32 v84, 2, v86
	ds_load_b32 v84, v84 offset:4
; %bb.256:                              ;   in Loop: Header=BB38_2 Depth=1
	s_wait_alu 0xfffe
	s_or_saveexec_b32 s15, s15
	v_mov_b32_e32 v87, v83
	s_wait_alu 0xfffe
	s_xor_b32 exec_lo, exec_lo, s15
	s_cbranch_execz .LBB38_258
; %bb.257:                              ;   in Loop: Header=BB38_2 Depth=1
	s_wait_dscnt 0x0
	v_lshlrev_b32_e32 v84, 2, v85
	ds_load_b32 v87, v84 offset:4
	v_mov_b32_e32 v84, v82
.LBB38_258:                             ;   in Loop: Header=BB38_2 Depth=1
	s_or_b32 exec_lo, exec_lo, s15
	v_add_nc_u32_e32 v88, 1, v86
	v_add_nc_u32_e32 v89, 1, v85
	v_cndmask_b32_e64 v80, v80, v81, s13
	v_cndmask_b32_e64 v78, v78, v79, s12
	;; [unrolled: 1-line block ×5, first 2 shown]
	s_wait_dscnt 0x0
	v_cmp_lt_i32_e64 s11, v87, v84
	v_cndmask_b32_e64 v74, v74, v75, s10
	v_cndmask_b32_e64 v70, v70, v71, s8
	v_cmp_ge_i32_e64 s12, v81, v47
	v_cmp_lt_i32_e64 s10, v79, v48
	v_cndmask_b32_e64 v72, v72, v73, s9
	v_cndmask_b32_e64 v82, v82, v83, s14
	s_wait_loadcnt 0x0
	s_or_b32 s8, s12, s11
	s_barrier_signal -1
	s_wait_alu 0xfffe
	s_and_b32 s8, s10, s8
	s_barrier_wait -1
	s_wait_alu 0xfffe
	v_cndmask_b32_e64 v71, v84, v87, s8
	global_inv scope:SCOPE_SE
	ds_store_2addr_b32 v9, v70, v72 offset1:1
	ds_store_2addr_b32 v9, v74, v76 offset0:2 offset1:3
	ds_store_2addr_b32 v9, v78, v80 offset0:4 offset1:5
	;; [unrolled: 1-line block ×3, first 2 shown]
	v_mov_b32_e32 v74, v57
	s_wait_loadcnt_dscnt 0x0
	s_barrier_signal -1
	s_barrier_wait -1
	global_inv scope:SCOPE_SE
	s_and_saveexec_b32 s9, s7
	s_cbranch_execz .LBB38_262
; %bb.259:                              ;   in Loop: Header=BB38_2 Depth=1
	v_mov_b32_e32 v74, v57
	v_mov_b32_e32 v70, v58
	s_mov_b32 s10, 0
.LBB38_260:                             ;   Parent Loop BB38_2 Depth=1
                                        ; =>  This Inner Loop Header: Depth=2
	s_delay_alu instid0(VALU_DEP_1) | instskip(NEXT) | instid1(VALU_DEP_1)
	v_sub_nc_u32_e32 v71, v70, v74
	v_lshrrev_b32_e32 v71, 1, v71
	s_delay_alu instid0(VALU_DEP_1) | instskip(NEXT) | instid1(VALU_DEP_1)
	v_add_nc_u32_e32 v71, v71, v74
	v_not_b32_e32 v72, v71
	v_lshlrev_b32_e32 v73, 2, v71
	v_add_nc_u32_e32 v75, 1, v71
	s_delay_alu instid0(VALU_DEP_3)
	v_lshl_add_u32 v72, v72, 2, v69
	ds_load_b32 v73, v73
	ds_load_b32 v72, v72
	s_wait_dscnt 0x0
	v_cmp_lt_i32_e64 s8, v72, v73
	s_wait_alu 0xf1ff
	s_delay_alu instid0(VALU_DEP_1) | instskip(SKIP_1) | instid1(VALU_DEP_1)
	v_cndmask_b32_e64 v70, v70, v71, s8
	v_cndmask_b32_e64 v74, v75, v74, s8
	v_cmp_ge_i32_e64 s8, v74, v70
	s_wait_alu 0xfffe
	s_or_b32 s10, s8, s10
	s_wait_alu 0xfffe
	s_and_not1_b32 exec_lo, exec_lo, s10
	s_cbranch_execnz .LBB38_260
; %bb.261:                              ;   in Loop: Header=BB38_2 Depth=1
	s_or_b32 exec_lo, exec_lo, s10
.LBB38_262:                             ;   in Loop: Header=BB38_2 Depth=1
	s_wait_alu 0xfffe
	s_or_b32 exec_lo, exec_lo, s9
	v_sub_nc_u32_e32 v75, v60, v74
	v_lshlrev_b32_e32 v73, 2, v74
	v_cmp_le_i32_e64 s8, 0x800, v74
                                        ; implicit-def: $vgpr72
	s_delay_alu instid0(VALU_DEP_3)
	v_lshlrev_b32_e32 v76, 2, v75
	v_cmp_gt_i32_e64 s10, 0x1000, v75
	ds_load_b32 v70, v73
	ds_load_b32 v71, v76
	s_wait_dscnt 0x0
	v_cmp_lt_i32_e64 s9, v71, v70
	s_or_b32 s8, s8, s9
	s_wait_alu 0xfffe
	s_and_b32 s8, s10, s8
	s_wait_alu 0xfffe
	s_xor_b32 s9, s8, -1
	s_wait_alu 0xfffe
	s_and_saveexec_b32 s10, s9
	s_wait_alu 0xfffe
	s_xor_b32 s9, exec_lo, s10
; %bb.263:                              ;   in Loop: Header=BB38_2 Depth=1
	ds_load_b32 v72, v73 offset:4
                                        ; implicit-def: $vgpr76
; %bb.264:                              ;   in Loop: Header=BB38_2 Depth=1
	s_wait_alu 0xfffe
	s_or_saveexec_b32 s9, s9
	v_mov_b32_e32 v73, v71
	s_wait_alu 0xfffe
	s_xor_b32 exec_lo, exec_lo, s9
	s_cbranch_execz .LBB38_266
; %bb.265:                              ;   in Loop: Header=BB38_2 Depth=1
	ds_load_b32 v73, v76 offset:4
	s_wait_dscnt 0x1
	v_mov_b32_e32 v72, v70
.LBB38_266:                             ;   in Loop: Header=BB38_2 Depth=1
	s_or_b32 exec_lo, exec_lo, s9
	v_add_nc_u32_e32 v76, 1, v74
	v_add_nc_u32_e32 v77, 1, v75
	s_wait_dscnt 0x0
	v_cmp_lt_i32_e64 s10, v73, v72
	s_delay_alu instid0(VALU_DEP_3) | instskip(NEXT) | instid1(VALU_DEP_3)
	v_cndmask_b32_e64 v76, v76, v74, s8
	v_cndmask_b32_e64 v75, v75, v77, s8
                                        ; implicit-def: $vgpr74
	s_delay_alu instid0(VALU_DEP_2) | instskip(NEXT) | instid1(VALU_DEP_2)
	v_cmp_le_i32_e64 s9, 0x800, v76
	v_cmp_gt_i32_e64 s11, 0x1000, v75
	s_or_b32 s9, s9, s10
	s_wait_alu 0xfffe
	s_and_b32 s9, s11, s9
	s_wait_alu 0xfffe
	s_xor_b32 s10, s9, -1
	s_wait_alu 0xfffe
	s_and_saveexec_b32 s11, s10
	s_wait_alu 0xfffe
	s_xor_b32 s10, exec_lo, s11
; %bb.267:                              ;   in Loop: Header=BB38_2 Depth=1
	v_lshlrev_b32_e32 v74, 2, v76
	ds_load_b32 v74, v74 offset:4
; %bb.268:                              ;   in Loop: Header=BB38_2 Depth=1
	s_wait_alu 0xfffe
	s_or_saveexec_b32 s10, s10
	v_mov_b32_e32 v77, v73
	s_wait_alu 0xfffe
	s_xor_b32 exec_lo, exec_lo, s10
	s_cbranch_execz .LBB38_270
; %bb.269:                              ;   in Loop: Header=BB38_2 Depth=1
	s_wait_dscnt 0x0
	v_lshlrev_b32_e32 v74, 2, v75
	ds_load_b32 v77, v74 offset:4
	v_mov_b32_e32 v74, v72
.LBB38_270:                             ;   in Loop: Header=BB38_2 Depth=1
	s_or_b32 exec_lo, exec_lo, s10
	v_add_nc_u32_e32 v78, 1, v76
	v_add_nc_u32_e32 v79, 1, v75
	s_wait_dscnt 0x0
	v_cmp_lt_i32_e64 s11, v77, v74
	s_delay_alu instid0(VALU_DEP_3) | instskip(NEXT) | instid1(VALU_DEP_3)
	v_cndmask_b32_e64 v76, v78, v76, s9
	v_cndmask_b32_e64 v75, v75, v79, s9
                                        ; implicit-def: $vgpr78
	s_delay_alu instid0(VALU_DEP_2) | instskip(NEXT) | instid1(VALU_DEP_2)
	v_cmp_le_i32_e64 s10, 0x800, v76
	v_cmp_gt_i32_e64 s12, 0x1000, v75
	s_or_b32 s10, s10, s11
	s_wait_alu 0xfffe
	s_and_b32 s10, s12, s10
	s_wait_alu 0xfffe
	s_xor_b32 s11, s10, -1
	s_wait_alu 0xfffe
	s_and_saveexec_b32 s12, s11
	s_wait_alu 0xfffe
	s_xor_b32 s11, exec_lo, s12
; %bb.271:                              ;   in Loop: Header=BB38_2 Depth=1
	v_lshlrev_b32_e32 v78, 2, v76
	ds_load_b32 v78, v78 offset:4
; %bb.272:                              ;   in Loop: Header=BB38_2 Depth=1
	s_wait_alu 0xfffe
	s_or_saveexec_b32 s11, s11
	v_mov_b32_e32 v79, v77
	s_wait_alu 0xfffe
	s_xor_b32 exec_lo, exec_lo, s11
	s_cbranch_execz .LBB38_274
; %bb.273:                              ;   in Loop: Header=BB38_2 Depth=1
	s_wait_dscnt 0x0
	v_lshlrev_b32_e32 v78, 2, v75
	ds_load_b32 v79, v78 offset:4
	v_mov_b32_e32 v78, v74
.LBB38_274:                             ;   in Loop: Header=BB38_2 Depth=1
	s_or_b32 exec_lo, exec_lo, s11
	v_add_nc_u32_e32 v80, 1, v76
	v_add_nc_u32_e32 v81, 1, v75
	s_wait_dscnt 0x0
	v_cmp_lt_i32_e64 s12, v79, v78
	s_delay_alu instid0(VALU_DEP_3) | instskip(NEXT) | instid1(VALU_DEP_3)
	v_cndmask_b32_e64 v76, v80, v76, s10
	v_cndmask_b32_e64 v75, v75, v81, s10
                                        ; implicit-def: $vgpr80
	s_delay_alu instid0(VALU_DEP_2) | instskip(NEXT) | instid1(VALU_DEP_2)
	v_cmp_le_i32_e64 s11, 0x800, v76
	v_cmp_gt_i32_e64 s13, 0x1000, v75
	s_or_b32 s11, s11, s12
	s_wait_alu 0xfffe
	s_and_b32 s11, s13, s11
	s_wait_alu 0xfffe
	s_xor_b32 s12, s11, -1
	s_wait_alu 0xfffe
	s_and_saveexec_b32 s13, s12
	s_wait_alu 0xfffe
	s_xor_b32 s12, exec_lo, s13
; %bb.275:                              ;   in Loop: Header=BB38_2 Depth=1
	v_lshlrev_b32_e32 v80, 2, v76
	ds_load_b32 v80, v80 offset:4
; %bb.276:                              ;   in Loop: Header=BB38_2 Depth=1
	s_wait_alu 0xfffe
	s_or_saveexec_b32 s12, s12
	v_mov_b32_e32 v81, v79
	s_wait_alu 0xfffe
	s_xor_b32 exec_lo, exec_lo, s12
	s_cbranch_execz .LBB38_278
; %bb.277:                              ;   in Loop: Header=BB38_2 Depth=1
	s_wait_dscnt 0x0
	v_lshlrev_b32_e32 v80, 2, v75
	ds_load_b32 v81, v80 offset:4
	v_mov_b32_e32 v80, v78
.LBB38_278:                             ;   in Loop: Header=BB38_2 Depth=1
	s_or_b32 exec_lo, exec_lo, s12
	v_add_nc_u32_e32 v82, 1, v76
	v_add_nc_u32_e32 v83, 1, v75
	s_wait_dscnt 0x0
	v_cmp_lt_i32_e64 s13, v81, v80
	s_delay_alu instid0(VALU_DEP_3) | instskip(NEXT) | instid1(VALU_DEP_3)
	v_cndmask_b32_e64 v76, v82, v76, s11
	v_cndmask_b32_e64 v75, v75, v83, s11
                                        ; implicit-def: $vgpr82
	s_delay_alu instid0(VALU_DEP_2) | instskip(NEXT) | instid1(VALU_DEP_2)
	v_cmp_le_i32_e64 s12, 0x800, v76
	v_cmp_gt_i32_e64 s14, 0x1000, v75
	s_or_b32 s12, s12, s13
	s_wait_alu 0xfffe
	s_and_b32 s12, s14, s12
	s_wait_alu 0xfffe
	s_xor_b32 s13, s12, -1
	s_wait_alu 0xfffe
	s_and_saveexec_b32 s14, s13
	s_wait_alu 0xfffe
	s_xor_b32 s13, exec_lo, s14
; %bb.279:                              ;   in Loop: Header=BB38_2 Depth=1
	v_lshlrev_b32_e32 v82, 2, v76
	ds_load_b32 v82, v82 offset:4
; %bb.280:                              ;   in Loop: Header=BB38_2 Depth=1
	s_wait_alu 0xfffe
	s_or_saveexec_b32 s13, s13
	v_mov_b32_e32 v83, v81
	s_wait_alu 0xfffe
	s_xor_b32 exec_lo, exec_lo, s13
	s_cbranch_execz .LBB38_282
; %bb.281:                              ;   in Loop: Header=BB38_2 Depth=1
	s_wait_dscnt 0x0
	v_lshlrev_b32_e32 v82, 2, v75
	ds_load_b32 v83, v82 offset:4
	v_mov_b32_e32 v82, v80
.LBB38_282:                             ;   in Loop: Header=BB38_2 Depth=1
	s_or_b32 exec_lo, exec_lo, s13
	v_add_nc_u32_e32 v84, 1, v76
	v_add_nc_u32_e32 v85, 1, v75
	s_wait_dscnt 0x0
	v_cmp_lt_i32_e64 s14, v83, v82
	s_delay_alu instid0(VALU_DEP_3) | instskip(NEXT) | instid1(VALU_DEP_3)
	v_cndmask_b32_e64 v76, v84, v76, s12
	v_cndmask_b32_e64 v75, v75, v85, s12
                                        ; implicit-def: $vgpr84
	s_delay_alu instid0(VALU_DEP_2) | instskip(NEXT) | instid1(VALU_DEP_2)
	v_cmp_le_i32_e64 s13, 0x800, v76
	v_cmp_gt_i32_e64 s15, 0x1000, v75
	s_or_b32 s13, s13, s14
	s_wait_alu 0xfffe
	s_and_b32 s13, s15, s13
	s_wait_alu 0xfffe
	s_xor_b32 s14, s13, -1
	s_wait_alu 0xfffe
	s_and_saveexec_b32 s15, s14
	s_wait_alu 0xfffe
	s_xor_b32 s14, exec_lo, s15
; %bb.283:                              ;   in Loop: Header=BB38_2 Depth=1
	v_lshlrev_b32_e32 v84, 2, v76
	ds_load_b32 v84, v84 offset:4
; %bb.284:                              ;   in Loop: Header=BB38_2 Depth=1
	s_wait_alu 0xfffe
	s_or_saveexec_b32 s14, s14
	v_mov_b32_e32 v85, v83
	s_wait_alu 0xfffe
	s_xor_b32 exec_lo, exec_lo, s14
	s_cbranch_execz .LBB38_286
; %bb.285:                              ;   in Loop: Header=BB38_2 Depth=1
	s_wait_dscnt 0x0
	v_lshlrev_b32_e32 v84, 2, v75
	ds_load_b32 v85, v84 offset:4
	v_mov_b32_e32 v84, v82
.LBB38_286:                             ;   in Loop: Header=BB38_2 Depth=1
	s_or_b32 exec_lo, exec_lo, s14
	v_add_nc_u32_e32 v86, 1, v76
	v_add_nc_u32_e32 v87, 1, v75
	s_wait_dscnt 0x0
	v_cmp_lt_i32_e64 s15, v85, v84
                                        ; implicit-def: $vgpr88
	s_delay_alu instid0(VALU_DEP_3) | instskip(NEXT) | instid1(VALU_DEP_3)
	v_cndmask_b32_e64 v76, v86, v76, s13
	v_cndmask_b32_e64 v86, v75, v87, s13
                                        ; implicit-def: $vgpr87
	s_delay_alu instid0(VALU_DEP_2) | instskip(NEXT) | instid1(VALU_DEP_2)
	v_cmp_le_i32_e64 s14, 0x800, v76
	v_cmp_gt_i32_e64 s16, 0x1000, v86
	s_or_b32 s14, s14, s15
	s_wait_alu 0xfffe
	s_and_b32 s14, s16, s14
	s_wait_alu 0xfffe
	s_xor_b32 s15, s14, -1
	s_wait_alu 0xfffe
	s_and_saveexec_b32 s16, s15
	s_delay_alu instid0(SALU_CYCLE_1)
	s_xor_b32 s15, exec_lo, s16
; %bb.287:                              ;   in Loop: Header=BB38_2 Depth=1
	v_lshlrev_b32_e32 v75, 2, v76
	v_add_nc_u32_e32 v88, 1, v76
                                        ; implicit-def: $vgpr76
	ds_load_b32 v87, v75 offset:4
; %bb.288:                              ;   in Loop: Header=BB38_2 Depth=1
	s_wait_alu 0xfffe
	s_or_saveexec_b32 s15, s15
	v_mov_b32_e32 v89, v85
	s_wait_alu 0xfffe
	s_xor_b32 exec_lo, exec_lo, s15
	s_cbranch_execz .LBB38_1
; %bb.289:                              ;   in Loop: Header=BB38_2 Depth=1
	v_dual_mov_b32 v88, v76 :: v_dual_lshlrev_b32 v75, 2, v86
	s_wait_dscnt 0x0
	v_dual_mov_b32 v87, v84 :: v_dual_add_nc_u32 v86, 1, v86
	ds_load_b32 v89, v75 offset:4
	s_branch .LBB38_1
.LBB38_290:
	v_lshlrev_b32_e32 v0, 2, v0
	s_add_nc_u64 s[0:1], s[18:19], s[22:23]
	s_clause 0x7
	global_store_b32 v0, v75, s[0:1]
	global_store_b32 v0, v76, s[0:1] offset:2048
	global_store_b32 v0, v72, s[0:1] offset:4096
	;; [unrolled: 1-line block ×7, first 2 shown]
	s_endpgm
	.section	.rodata,"a",@progbits
	.p2align	6, 0x0
	.amdhsa_kernel _Z16sort_keys_kernelIiLj512ELj8EN10test_utils4lessELj10EEvPKT_PS2_T2_
		.amdhsa_group_segment_fixed_size 16388
		.amdhsa_private_segment_fixed_size 0
		.amdhsa_kernarg_size 20
		.amdhsa_user_sgpr_count 2
		.amdhsa_user_sgpr_dispatch_ptr 0
		.amdhsa_user_sgpr_queue_ptr 0
		.amdhsa_user_sgpr_kernarg_segment_ptr 1
		.amdhsa_user_sgpr_dispatch_id 0
		.amdhsa_user_sgpr_private_segment_size 0
		.amdhsa_wavefront_size32 1
		.amdhsa_uses_dynamic_stack 0
		.amdhsa_enable_private_segment 0
		.amdhsa_system_sgpr_workgroup_id_x 1
		.amdhsa_system_sgpr_workgroup_id_y 0
		.amdhsa_system_sgpr_workgroup_id_z 0
		.amdhsa_system_sgpr_workgroup_info 0
		.amdhsa_system_vgpr_workitem_id 0
		.amdhsa_next_free_vgpr 90
		.amdhsa_next_free_sgpr 24
		.amdhsa_reserve_vcc 1
		.amdhsa_float_round_mode_32 0
		.amdhsa_float_round_mode_16_64 0
		.amdhsa_float_denorm_mode_32 3
		.amdhsa_float_denorm_mode_16_64 3
		.amdhsa_fp16_overflow 0
		.amdhsa_workgroup_processor_mode 1
		.amdhsa_memory_ordered 1
		.amdhsa_forward_progress 1
		.amdhsa_inst_pref_size 119
		.amdhsa_round_robin_scheduling 0
		.amdhsa_exception_fp_ieee_invalid_op 0
		.amdhsa_exception_fp_denorm_src 0
		.amdhsa_exception_fp_ieee_div_zero 0
		.amdhsa_exception_fp_ieee_overflow 0
		.amdhsa_exception_fp_ieee_underflow 0
		.amdhsa_exception_fp_ieee_inexact 0
		.amdhsa_exception_int_div_zero 0
	.end_amdhsa_kernel
	.section	.text._Z16sort_keys_kernelIiLj512ELj8EN10test_utils4lessELj10EEvPKT_PS2_T2_,"axG",@progbits,_Z16sort_keys_kernelIiLj512ELj8EN10test_utils4lessELj10EEvPKT_PS2_T2_,comdat
.Lfunc_end38:
	.size	_Z16sort_keys_kernelIiLj512ELj8EN10test_utils4lessELj10EEvPKT_PS2_T2_, .Lfunc_end38-_Z16sort_keys_kernelIiLj512ELj8EN10test_utils4lessELj10EEvPKT_PS2_T2_
                                        ; -- End function
	.set _Z16sort_keys_kernelIiLj512ELj8EN10test_utils4lessELj10EEvPKT_PS2_T2_.num_vgpr, 90
	.set _Z16sort_keys_kernelIiLj512ELj8EN10test_utils4lessELj10EEvPKT_PS2_T2_.num_agpr, 0
	.set _Z16sort_keys_kernelIiLj512ELj8EN10test_utils4lessELj10EEvPKT_PS2_T2_.numbered_sgpr, 24
	.set _Z16sort_keys_kernelIiLj512ELj8EN10test_utils4lessELj10EEvPKT_PS2_T2_.num_named_barrier, 0
	.set _Z16sort_keys_kernelIiLj512ELj8EN10test_utils4lessELj10EEvPKT_PS2_T2_.private_seg_size, 0
	.set _Z16sort_keys_kernelIiLj512ELj8EN10test_utils4lessELj10EEvPKT_PS2_T2_.uses_vcc, 1
	.set _Z16sort_keys_kernelIiLj512ELj8EN10test_utils4lessELj10EEvPKT_PS2_T2_.uses_flat_scratch, 0
	.set _Z16sort_keys_kernelIiLj512ELj8EN10test_utils4lessELj10EEvPKT_PS2_T2_.has_dyn_sized_stack, 0
	.set _Z16sort_keys_kernelIiLj512ELj8EN10test_utils4lessELj10EEvPKT_PS2_T2_.has_recursion, 0
	.set _Z16sort_keys_kernelIiLj512ELj8EN10test_utils4lessELj10EEvPKT_PS2_T2_.has_indirect_call, 0
	.section	.AMDGPU.csdata,"",@progbits
; Kernel info:
; codeLenInByte = 15228
; TotalNumSgprs: 26
; NumVgprs: 90
; ScratchSize: 0
; MemoryBound: 0
; FloatMode: 240
; IeeeMode: 1
; LDSByteSize: 16388 bytes/workgroup (compile time only)
; SGPRBlocks: 0
; VGPRBlocks: 11
; NumSGPRsForWavesPerEU: 26
; NumVGPRsForWavesPerEU: 90
; Occupancy: 16
; WaveLimiterHint : 1
; COMPUTE_PGM_RSRC2:SCRATCH_EN: 0
; COMPUTE_PGM_RSRC2:USER_SGPR: 2
; COMPUTE_PGM_RSRC2:TRAP_HANDLER: 0
; COMPUTE_PGM_RSRC2:TGID_X_EN: 1
; COMPUTE_PGM_RSRC2:TGID_Y_EN: 0
; COMPUTE_PGM_RSRC2:TGID_Z_EN: 0
; COMPUTE_PGM_RSRC2:TIDIG_COMP_CNT: 0
	.section	.text._Z17sort_pairs_kernelIiLj512ELj8EN10test_utils4lessELj10EEvPKT_PS2_T2_,"axG",@progbits,_Z17sort_pairs_kernelIiLj512ELj8EN10test_utils4lessELj10EEvPKT_PS2_T2_,comdat
	.protected	_Z17sort_pairs_kernelIiLj512ELj8EN10test_utils4lessELj10EEvPKT_PS2_T2_ ; -- Begin function _Z17sort_pairs_kernelIiLj512ELj8EN10test_utils4lessELj10EEvPKT_PS2_T2_
	.globl	_Z17sort_pairs_kernelIiLj512ELj8EN10test_utils4lessELj10EEvPKT_PS2_T2_
	.p2align	8
	.type	_Z17sort_pairs_kernelIiLj512ELj8EN10test_utils4lessELj10EEvPKT_PS2_T2_,@function
_Z17sort_pairs_kernelIiLj512ELj8EN10test_utils4lessELj10EEvPKT_PS2_T2_: ; @_Z17sort_pairs_kernelIiLj512ELj8EN10test_utils4lessELj10EEvPKT_PS2_T2_
; %bb.0:
	s_load_b128 s[44:47], s[0:1], 0x0
	s_lshl_b32 s50, ttmp9, 12
	s_mov_b32 s51, 0
	v_lshlrev_b32_e32 v1, 2, v0
	s_lshl_b64 s[48:49], s[50:51], 2
	v_lshlrev_b32_e32 v12, 3, v0
	s_delay_alu instid0(VALU_DEP_1)
	v_and_b32_e32 v2, 0xff0, v12
	v_and_b32_e32 v3, 0xfe0, v12
	;; [unrolled: 1-line block ×5, first 2 shown]
	v_or_b32_e32 v13, 8, v2
	v_add_nc_u32_e32 v14, 16, v2
	v_or_b32_e32 v16, 16, v3
	v_add_nc_u32_e32 v17, 32, v3
	v_and_b32_e32 v5, 0xf80, v12
	s_wait_kmcnt 0x0
	s_add_nc_u64 s[0:1], s[44:45], s[48:49]
	v_sub_nc_u32_e32 v69, v14, v13
	s_clause 0x7
	global_load_b32 v84, v1, s[0:1]
	global_load_b32 v85, v1, s[0:1] offset:2048
	global_load_b32 v81, v1, s[0:1] offset:4096
	;; [unrolled: 1-line block ×7, first 2 shown]
	v_or_b32_e32 v19, 32, v4
	v_add_nc_u32_e32 v20, 64, v4
	v_sub_nc_u32_e32 v53, v13, v2
	v_sub_nc_u32_e32 v70, v17, v16
	;; [unrolled: 1-line block ×3, first 2 shown]
	v_cmp_ge_i32_e64 s0, v61, v69
	v_and_b32_e32 v63, 56, v12
	v_and_b32_e32 v6, 0xf00, v12
	v_or_b32_e32 v22, 64, v5
	v_add_nc_u32_e32 v23, 0x80, v5
	v_lshlrev_b32_e32 v45, 2, v61
	v_add_nc_u32_e32 v37, v13, v61
	v_sub_nc_u32_e32 v54, v16, v3
	v_sub_nc_u32_e32 v71, v20, v19
	v_min_i32_e32 v53, v61, v53
	v_sub_nc_u32_e32 v86, v62, v70
	v_cndmask_b32_e64 v61, 0, v77, s0
	v_cmp_ge_i32_e64 s0, v62, v70
	v_and_b32_e32 v64, 0x78, v12
	v_and_b32_e32 v7, 0xe00, v12
	v_or_b32_e32 v25, 0x80, v6
	v_add_nc_u32_e32 v26, 0x100, v6
	v_lshlrev_b32_e32 v46, 2, v62
	v_add_nc_u32_e32 v38, v16, v62
	v_sub_nc_u32_e32 v55, v19, v4
	v_sub_nc_u32_e32 v72, v23, v22
	v_min_i32_e32 v54, v62, v54
	v_sub_nc_u32_e32 v87, v63, v71
	s_wait_alu 0xf1ff
	v_cndmask_b32_e64 v62, 0, v86, s0
	v_cmp_ge_i32_e64 s0, v63, v71
	v_and_b32_e32 v65, 0xf8, v12
	v_and_b32_e32 v8, 0xc00, v12
	v_or_b32_e32 v28, 0x100, v7
	v_add_nc_u32_e32 v29, 0x200, v7
	v_lshlrev_b32_e32 v47, 2, v63
	v_add_nc_u32_e32 v39, v19, v63
	v_sub_nc_u32_e32 v56, v22, v5
	v_sub_nc_u32_e32 v73, v26, v25
	v_min_i32_e32 v55, v63, v55
	v_sub_nc_u32_e32 v88, v64, v72
	s_wait_alu 0xf1ff
	v_cndmask_b32_e64 v63, 0, v87, s0
	v_cmp_ge_i32_e64 s0, v64, v72
	v_and_b32_e32 v66, 0x1f8, v12
	v_and_b32_e32 v9, 0x800, v12
	v_or_b32_e32 v31, 0x200, v8
	v_add_nc_u32_e32 v32, 0x400, v8
	v_lshlrev_b32_e32 v48, 2, v64
	v_add_nc_u32_e32 v40, v22, v64
	v_sub_nc_u32_e32 v57, v25, v6
	v_sub_nc_u32_e32 v74, v29, v28
	v_min_i32_e32 v56, v64, v56
	v_sub_nc_u32_e32 v89, v65, v73
	s_wait_alu 0xf1ff
	v_cndmask_b32_e64 v64, 0, v88, s0
	v_cmp_ge_i32_e64 s0, v65, v73
	v_and_b32_e32 v67, 0x3f8, v12
	v_or_b32_e32 v34, 0x400, v9
	v_add_nc_u32_e32 v35, 0x800, v9
	v_lshlrev_b32_e32 v49, 2, v65
	v_add_nc_u32_e32 v41, v25, v65
	v_sub_nc_u32_e32 v58, v28, v7
	v_sub_nc_u32_e32 v75, v32, v31
	v_min_i32_e32 v57, v65, v57
	v_sub_nc_u32_e32 v90, v66, v74
	s_wait_alu 0xf1ff
	v_cndmask_b32_e64 v65, 0, v89, s0
	v_cmp_ge_i32_e64 s0, v66, v74
	v_and_b32_e32 v68, 0x7f8, v12
	v_lshlrev_b32_e32 v50, 2, v66
	v_add_nc_u32_e32 v42, v28, v66
	v_sub_nc_u32_e32 v59, v31, v8
	v_sub_nc_u32_e32 v76, v35, v34
	v_min_i32_e32 v58, v66, v58
	v_sub_nc_u32_e32 v91, v67, v75
	s_wait_alu 0xf1ff
	v_cndmask_b32_e64 v66, 0, v90, s0
	v_cmp_ge_i32_e64 s0, v67, v75
	v_lshlrev_b32_e32 v51, 2, v67
	v_add_nc_u32_e32 v43, v31, v67
	v_sub_nc_u32_e32 v60, v34, v9
	v_min_i32_e32 v59, v67, v59
	v_sub_nc_u32_e32 v92, v68, v76
	s_wait_alu 0xf1ff
	v_cndmask_b32_e64 v67, 0, v91, s0
	v_cmp_ge_i32_e64 s0, v68, v76
	v_lshlrev_b32_e32 v1, 5, v0
	v_lshlrev_b32_e32 v52, 2, v68
	v_add_nc_u32_e32 v44, v34, v68
	v_min_i32_e32 v60, v68, v60
	s_wait_alu 0xf1ff
	v_cndmask_b32_e64 v68, 0, v92, s0
	v_subrev_nc_u32_e64 v10, 0x800, v12 clamp
	v_min_i32_e32 v11, 0x800, v12
	v_add_nc_u32_e32 v12, 0x800, v12
	v_lshlrev_b32_e32 v15, 2, v2
	v_lshlrev_b32_e32 v18, 2, v3
	;; [unrolled: 1-line block ×8, first 2 shown]
	v_lshl_add_u32 v45, v13, 2, v45
	v_lshl_add_u32 v46, v16, 2, v46
	;; [unrolled: 1-line block ×8, first 2 shown]
	v_cmp_lt_i32_e64 s0, v61, v53
	v_cmp_lt_i32_e64 s1, v62, v54
	;; [unrolled: 1-line block ×8, first 2 shown]
	v_add_nc_u32_e32 v69, 0x2000, v1
	v_cmp_lt_i32_e32 vcc_lo, v10, v11
	s_wait_loadcnt 0x7
	v_add_nc_u32_e32 v73, 1, v84
	s_wait_loadcnt 0x6
	v_add_nc_u32_e32 v76, 1, v85
	;; [unrolled: 2-line block ×8, first 2 shown]
	s_branch .LBB39_2
.LBB39_1:                               ;   in Loop: Header=BB39_2 Depth=1
	s_or_b32 exec_lo, exec_lo, s15
	v_cmp_le_i32_e64 s15, 0x800, v106
	s_wait_dscnt 0x0
	v_cmp_lt_i32_e64 s16, v109, v107
	v_cmp_gt_i32_e64 s17, 0x1000, v104
	v_cndmask_b32_e64 v83, v78, v83, s8
	v_cndmask_b32_e64 v84, v84, v85, s9
	;; [unrolled: 1-line block ×3, first 2 shown]
	s_or_b32 s15, s15, s16
	v_cndmask_b32_e64 v94, v94, v95, s11
	s_wait_alu 0xfffe
	s_and_b32 s15, s17, s15
	v_cndmask_b32_e64 v99, v99, v100, s12
	v_cndmask_b32_e64 v102, v102, v103, s13
	s_wait_alu 0xfffe
	v_cndmask_b32_e64 v85, v106, v104, s15
	s_wait_loadcnt 0x0
	s_barrier_signal -1
	s_barrier_wait -1
	global_inv scope:SCOPE_SE
	ds_store_2addr_b32 v1, v70, v71 offset1:1
	ds_store_2addr_b32 v1, v72, v73 offset0:2 offset1:3
	ds_store_2addr_b32 v1, v74, v75 offset0:4 offset1:5
	;; [unrolled: 1-line block ×3, first 2 shown]
	v_lshlrev_b32_e32 v70, 2, v83
	v_lshlrev_b32_e32 v71, 2, v84
	;; [unrolled: 1-line block ×5, first 2 shown]
	s_wait_loadcnt_dscnt 0x0
	s_barrier_signal -1
	s_barrier_wait -1
	global_inv scope:SCOPE_SE
	v_lshlrev_b32_e32 v84, 2, v102
	v_lshlrev_b32_e32 v90, 2, v105
	;; [unrolled: 1-line block ×3, first 2 shown]
	ds_load_b32 v73, v70
	ds_load_b32 v76, v71
	;; [unrolled: 1-line block ×8, first 2 shown]
	v_cndmask_b32_e64 v78, v107, v109, s15
	v_cndmask_b32_e64 v84, v79, v80, s8
	;; [unrolled: 1-line block ×8, first 2 shown]
	s_add_co_i32 s51, s51, 1
	s_delay_alu instid0(SALU_CYCLE_1)
	s_cmp_eq_u32 s51, 10
	s_cbranch_scc1 .LBB39_290
.LBB39_2:                               ; =>This Loop Header: Depth=1
                                        ;     Child Loop BB39_4 Depth 2
                                        ;     Child Loop BB39_36 Depth 2
	;; [unrolled: 1-line block ×9, first 2 shown]
	v_cmp_lt_i32_e64 s8, v85, v84
	v_cmp_lt_i32_e64 s9, v83, v81
	;; [unrolled: 1-line block ×4, first 2 shown]
	s_wait_alu 0xf1ff
	v_cndmask_b32_e64 v86, v84, v85, s8
	v_cndmask_b32_e64 v87, v83, v81, s9
	;; [unrolled: 1-line block ×8, first 2 shown]
	v_cmp_lt_i32_e64 s12, v81, v84
	s_barrier_signal -1
	v_cmp_lt_i32_e64 s13, v80, v87
	s_barrier_wait -1
	v_cmp_lt_i32_e64 s14, v78, v83
	s_wait_alu 0xf1ff
	v_cndmask_b32_e64 v79, v81, v84, s12
	v_cndmask_b32_e64 v81, v84, v81, s12
	;; [unrolled: 1-line block ×6, first 2 shown]
	v_cmp_lt_i32_e64 s15, v81, v86
	global_inv scope:SCOPE_SE
	v_cmp_lt_i32_e64 s16, v80, v79
	v_cmp_lt_i32_e64 s18, v82, v85
	;; [unrolled: 1-line block ×3, first 2 shown]
	s_wait_alu 0xf1ff
	v_cndmask_b32_e64 v83, v86, v81, s15
	v_cndmask_b32_e64 v81, v81, v86, s15
	;; [unrolled: 1-line block ×8, first 2 shown]
	v_cmp_lt_i32_e64 s19, v79, v81
	s_delay_alu instid0(VALU_DEP_4) | instskip(NEXT) | instid1(VALU_DEP_3)
	v_cmp_lt_i32_e64 s20, v78, v86
	v_cmp_lt_i32_e64 s21, v82, v80
	s_wait_alu 0xf1ff
	s_delay_alu instid0(VALU_DEP_3)
	v_cndmask_b32_e64 v85, v79, v81, s19
	v_cndmask_b32_e64 v79, v81, v79, s19
	;; [unrolled: 1-line block ×6, first 2 shown]
	v_cmp_lt_i32_e64 s22, v79, v83
	s_delay_alu instid0(VALU_DEP_4) | instskip(NEXT) | instid1(VALU_DEP_4)
	v_cmp_lt_i32_e64 s23, v78, v85
	v_cmp_lt_i32_e64 s25, v84, v86
	s_delay_alu instid0(VALU_DEP_4)
	v_cmp_lt_i32_e64 s24, v80, v81
	s_wait_alu 0xf1ff
	v_cndmask_b32_e64 v82, v83, v79, s22
	v_cndmask_b32_e64 v79, v79, v83, s22
	;; [unrolled: 1-line block ×8, first 2 shown]
	v_cmp_lt_i32_e64 s26, v78, v79
	s_delay_alu instid0(VALU_DEP_4) | instskip(NEXT) | instid1(VALU_DEP_3)
	v_cmp_lt_i32_e64 s27, v80, v83
	v_cmp_lt_i32_e64 s28, v84, v85
	s_wait_alu 0xf1ff
	s_delay_alu instid0(VALU_DEP_3)
	v_cndmask_b32_e64 v86, v78, v79, s26
	v_cndmask_b32_e64 v78, v79, v78, s26
	;; [unrolled: 1-line block ×6, first 2 shown]
	v_cmp_lt_i32_e64 s29, v78, v82
	s_delay_alu instid0(VALU_DEP_4) | instskip(NEXT) | instid1(VALU_DEP_4)
	v_cmp_lt_i32_e64 s30, v80, v86
	v_cmp_lt_i32_e64 s35, v81, v83
	s_delay_alu instid0(VALU_DEP_4)
	v_cmp_lt_i32_e64 s33, v84, v79
	s_wait_alu 0xf1ff
	v_cndmask_b32_e64 v85, v82, v78, s29
	v_cndmask_b32_e64 v78, v78, v82, s29
	;; [unrolled: 1-line block ×8, first 2 shown]
	v_cmp_lt_i32_e64 s36, v80, v78
	s_delay_alu instid0(VALU_DEP_4) | instskip(NEXT) | instid1(VALU_DEP_3)
	v_cmp_lt_i32_e64 s31, v79, v82
	v_cmp_lt_i32_e64 s34, v81, v86
	s_wait_alu 0xf1ff
	s_delay_alu instid0(VALU_DEP_3)
	v_cndmask_b32_e64 v83, v80, v78, s36
	v_cndmask_b32_e64 v78, v78, v80, s36
	;; [unrolled: 1-line block ×6, first 2 shown]
	ds_store_2addr_b32 v1, v85, v78 offset1:1
	ds_store_2addr_b32 v1, v83, v79 offset0:2 offset1:3
	ds_store_2addr_b32 v1, v80, v81 offset0:4 offset1:5
	;; [unrolled: 1-line block ×3, first 2 shown]
	v_mov_b32_e32 v80, v61
	s_wait_loadcnt_dscnt 0x0
	s_barrier_signal -1
	s_barrier_wait -1
	global_inv scope:SCOPE_SE
	s_and_saveexec_b32 s38, s0
	s_cbranch_execz .LBB39_6
; %bb.3:                                ;   in Loop: Header=BB39_2 Depth=1
	v_mov_b32_e32 v80, v61
	v_mov_b32_e32 v78, v53
	s_mov_b32 s39, 0
.LBB39_4:                               ;   Parent Loop BB39_2 Depth=1
                                        ; =>  This Inner Loop Header: Depth=2
	s_delay_alu instid0(VALU_DEP_1) | instskip(NEXT) | instid1(VALU_DEP_1)
	v_sub_nc_u32_e32 v79, v78, v80
	v_lshrrev_b32_e32 v79, 1, v79
	s_delay_alu instid0(VALU_DEP_1) | instskip(NEXT) | instid1(VALU_DEP_1)
	v_add_nc_u32_e32 v79, v79, v80
	v_not_b32_e32 v81, v79
	v_lshl_add_u32 v82, v79, 2, v15
	v_add_nc_u32_e32 v83, 1, v79
	s_delay_alu instid0(VALU_DEP_3)
	v_lshl_add_u32 v81, v81, 2, v45
	ds_load_b32 v82, v82
	ds_load_b32 v81, v81
	s_wait_dscnt 0x0
	v_cmp_lt_i32_e64 s37, v81, v82
	s_wait_alu 0xf1ff
	s_delay_alu instid0(VALU_DEP_1) | instskip(SKIP_1) | instid1(VALU_DEP_1)
	v_cndmask_b32_e64 v78, v78, v79, s37
	v_cndmask_b32_e64 v80, v83, v80, s37
	v_cmp_ge_i32_e64 s37, v80, v78
	s_wait_alu 0xfffe
	s_or_b32 s39, s37, s39
	s_wait_alu 0xfffe
	s_and_not1_b32 exec_lo, exec_lo, s39
	s_cbranch_execnz .LBB39_4
; %bb.5:                                ;   in Loop: Header=BB39_2 Depth=1
	s_or_b32 exec_lo, exec_lo, s39
.LBB39_6:                               ;   in Loop: Header=BB39_2 Depth=1
	s_wait_alu 0xfffe
	s_or_b32 exec_lo, exec_lo, s38
	v_sub_nc_u32_e32 v84, v37, v80
	v_lshl_add_u32 v81, v80, 2, v15
	v_add_nc_u32_e32 v86, v80, v2
                                        ; implicit-def: $vgpr80
	s_delay_alu instid0(VALU_DEP_3) | instskip(SKIP_1) | instid1(VALU_DEP_3)
	v_lshlrev_b32_e32 v82, 2, v84
	v_cmp_gt_i32_e64 s39, v14, v84
	v_cmp_le_i32_e64 s37, v13, v86
	ds_load_b32 v78, v81
	ds_load_b32 v79, v82
	s_wait_dscnt 0x0
	v_cmp_lt_i32_e64 s38, v79, v78
	s_or_b32 s37, s37, s38
	s_wait_alu 0xfffe
	s_and_b32 s37, s39, s37
	s_wait_alu 0xfffe
	s_xor_b32 s38, s37, -1
	s_wait_alu 0xfffe
	s_and_saveexec_b32 s39, s38
	s_wait_alu 0xfffe
	s_xor_b32 s38, exec_lo, s39
; %bb.7:                                ;   in Loop: Header=BB39_2 Depth=1
	ds_load_b32 v80, v81 offset:4
                                        ; implicit-def: $vgpr82
; %bb.8:                                ;   in Loop: Header=BB39_2 Depth=1
	s_wait_alu 0xfffe
	s_or_saveexec_b32 s38, s38
	v_mov_b32_e32 v81, v79
	s_wait_alu 0xfffe
	s_xor_b32 exec_lo, exec_lo, s38
	s_cbranch_execz .LBB39_10
; %bb.9:                                ;   in Loop: Header=BB39_2 Depth=1
	ds_load_b32 v81, v82 offset:4
	s_wait_dscnt 0x1
	v_mov_b32_e32 v80, v78
.LBB39_10:                              ;   in Loop: Header=BB39_2 Depth=1
	s_or_b32 exec_lo, exec_lo, s38
	v_add_nc_u32_e32 v82, 1, v86
	v_add_nc_u32_e32 v83, 1, v84
	s_wait_dscnt 0x0
	v_cmp_lt_i32_e64 s39, v81, v80
	s_delay_alu instid0(VALU_DEP_3) | instskip(NEXT) | instid1(VALU_DEP_3)
	v_cndmask_b32_e64 v89, v82, v86, s37
	v_cndmask_b32_e64 v90, v84, v83, s37
                                        ; implicit-def: $vgpr82
	s_delay_alu instid0(VALU_DEP_2) | instskip(NEXT) | instid1(VALU_DEP_2)
	v_cmp_ge_i32_e64 s38, v89, v13
	v_cmp_lt_i32_e64 s40, v90, v14
	s_or_b32 s38, s38, s39
	s_wait_alu 0xfffe
	s_and_b32 s38, s40, s38
	s_wait_alu 0xfffe
	s_xor_b32 s39, s38, -1
	s_wait_alu 0xfffe
	s_and_saveexec_b32 s40, s39
	s_wait_alu 0xfffe
	s_xor_b32 s39, exec_lo, s40
; %bb.11:                               ;   in Loop: Header=BB39_2 Depth=1
	v_lshlrev_b32_e32 v82, 2, v89
	ds_load_b32 v82, v82 offset:4
; %bb.12:                               ;   in Loop: Header=BB39_2 Depth=1
	s_wait_alu 0xfffe
	s_or_saveexec_b32 s39, s39
	v_mov_b32_e32 v83, v81
	s_wait_alu 0xfffe
	s_xor_b32 exec_lo, exec_lo, s39
	s_cbranch_execz .LBB39_14
; %bb.13:                               ;   in Loop: Header=BB39_2 Depth=1
	s_wait_dscnt 0x0
	v_lshlrev_b32_e32 v82, 2, v90
	ds_load_b32 v83, v82 offset:4
	v_mov_b32_e32 v82, v80
.LBB39_14:                              ;   in Loop: Header=BB39_2 Depth=1
	s_or_b32 exec_lo, exec_lo, s39
	v_add_nc_u32_e32 v85, 1, v89
	v_add_nc_u32_e32 v87, 1, v90
	s_wait_dscnt 0x0
	v_cmp_lt_i32_e64 s40, v83, v82
	s_delay_alu instid0(VALU_DEP_3) | instskip(NEXT) | instid1(VALU_DEP_3)
	v_cndmask_b32_e64 v93, v85, v89, s38
	v_cndmask_b32_e64 v94, v90, v87, s38
                                        ; implicit-def: $vgpr85
	s_delay_alu instid0(VALU_DEP_2) | instskip(NEXT) | instid1(VALU_DEP_2)
	v_cmp_ge_i32_e64 s39, v93, v13
	v_cmp_lt_i32_e64 s41, v94, v14
	s_or_b32 s39, s39, s40
	s_wait_alu 0xfffe
	s_and_b32 s39, s41, s39
	s_wait_alu 0xfffe
	s_xor_b32 s40, s39, -1
	s_wait_alu 0xfffe
	s_and_saveexec_b32 s41, s40
	s_wait_alu 0xfffe
	s_xor_b32 s40, exec_lo, s41
; %bb.15:                               ;   in Loop: Header=BB39_2 Depth=1
	v_lshlrev_b32_e32 v85, 2, v93
	ds_load_b32 v85, v85 offset:4
; %bb.16:                               ;   in Loop: Header=BB39_2 Depth=1
	s_wait_alu 0xfffe
	s_or_saveexec_b32 s40, s40
	v_mov_b32_e32 v87, v83
	s_wait_alu 0xfffe
	s_xor_b32 exec_lo, exec_lo, s40
	s_cbranch_execz .LBB39_18
; %bb.17:                               ;   in Loop: Header=BB39_2 Depth=1
	s_wait_dscnt 0x0
	v_lshlrev_b32_e32 v85, 2, v94
	ds_load_b32 v87, v85 offset:4
	v_mov_b32_e32 v85, v82
.LBB39_18:                              ;   in Loop: Header=BB39_2 Depth=1
	s_or_b32 exec_lo, exec_lo, s40
	v_add_nc_u32_e32 v88, 1, v93
	v_add_nc_u32_e32 v91, 1, v94
	s_wait_dscnt 0x0
	v_cmp_lt_i32_e64 s41, v87, v85
	s_delay_alu instid0(VALU_DEP_3) | instskip(NEXT) | instid1(VALU_DEP_3)
	v_cndmask_b32_e64 v96, v88, v93, s39
	v_cndmask_b32_e64 v97, v94, v91, s39
                                        ; implicit-def: $vgpr88
	s_delay_alu instid0(VALU_DEP_2) | instskip(NEXT) | instid1(VALU_DEP_2)
	v_cmp_ge_i32_e64 s40, v96, v13
	v_cmp_lt_i32_e64 s42, v97, v14
	s_or_b32 s40, s40, s41
	s_wait_alu 0xfffe
	s_and_b32 s40, s42, s40
	s_wait_alu 0xfffe
	s_xor_b32 s41, s40, -1
	s_wait_alu 0xfffe
	s_and_saveexec_b32 s42, s41
	s_wait_alu 0xfffe
	s_xor_b32 s41, exec_lo, s42
; %bb.19:                               ;   in Loop: Header=BB39_2 Depth=1
	v_lshlrev_b32_e32 v88, 2, v96
	ds_load_b32 v88, v88 offset:4
; %bb.20:                               ;   in Loop: Header=BB39_2 Depth=1
	s_wait_alu 0xfffe
	s_or_saveexec_b32 s41, s41
	v_mov_b32_e32 v91, v87
	s_wait_alu 0xfffe
	s_xor_b32 exec_lo, exec_lo, s41
	s_cbranch_execz .LBB39_22
; %bb.21:                               ;   in Loop: Header=BB39_2 Depth=1
	s_wait_dscnt 0x0
	v_lshlrev_b32_e32 v88, 2, v97
	ds_load_b32 v91, v88 offset:4
	v_mov_b32_e32 v88, v85
.LBB39_22:                              ;   in Loop: Header=BB39_2 Depth=1
	s_or_b32 exec_lo, exec_lo, s41
	v_add_nc_u32_e32 v92, 1, v96
	v_add_nc_u32_e32 v95, 1, v97
	s_wait_dscnt 0x0
	v_cmp_lt_i32_e64 s42, v91, v88
	s_delay_alu instid0(VALU_DEP_3) | instskip(NEXT) | instid1(VALU_DEP_3)
	v_cndmask_b32_e64 v98, v92, v96, s40
	v_cndmask_b32_e64 v99, v97, v95, s40
                                        ; implicit-def: $vgpr92
	s_delay_alu instid0(VALU_DEP_2) | instskip(NEXT) | instid1(VALU_DEP_2)
	v_cmp_ge_i32_e64 s41, v98, v13
	v_cmp_lt_i32_e64 s43, v99, v14
	s_or_b32 s41, s41, s42
	s_wait_alu 0xfffe
	s_and_b32 s41, s43, s41
	s_wait_alu 0xfffe
	s_xor_b32 s42, s41, -1
	s_wait_alu 0xfffe
	s_and_saveexec_b32 s43, s42
	s_wait_alu 0xfffe
	s_xor_b32 s42, exec_lo, s43
; %bb.23:                               ;   in Loop: Header=BB39_2 Depth=1
	v_lshlrev_b32_e32 v92, 2, v98
	ds_load_b32 v92, v92 offset:4
; %bb.24:                               ;   in Loop: Header=BB39_2 Depth=1
	s_wait_alu 0xfffe
	s_or_saveexec_b32 s42, s42
	v_mov_b32_e32 v95, v91
	s_wait_alu 0xfffe
	s_xor_b32 exec_lo, exec_lo, s42
	s_cbranch_execz .LBB39_26
; %bb.25:                               ;   in Loop: Header=BB39_2 Depth=1
	s_wait_dscnt 0x0
	v_lshlrev_b32_e32 v92, 2, v99
	ds_load_b32 v95, v92 offset:4
	v_mov_b32_e32 v92, v88
.LBB39_26:                              ;   in Loop: Header=BB39_2 Depth=1
	s_or_b32 exec_lo, exec_lo, s42
	v_add_nc_u32_e32 v100, 1, v98
	v_add_nc_u32_e32 v101, 1, v99
	s_wait_dscnt 0x0
	v_cmp_lt_i32_e64 s43, v95, v92
                                        ; implicit-def: $vgpr104
	s_delay_alu instid0(VALU_DEP_3) | instskip(NEXT) | instid1(VALU_DEP_3)
	v_cndmask_b32_e64 v102, v100, v98, s41
	v_cndmask_b32_e64 v103, v99, v101, s41
	s_delay_alu instid0(VALU_DEP_2) | instskip(NEXT) | instid1(VALU_DEP_2)
	v_cmp_ge_i32_e64 s42, v102, v13
	v_cmp_lt_i32_e64 s44, v103, v14
	s_or_b32 s42, s42, s43
	s_wait_alu 0xfffe
	s_and_b32 s42, s44, s42
	s_wait_alu 0xfffe
	s_xor_b32 s43, s42, -1
	s_wait_alu 0xfffe
	s_and_saveexec_b32 s44, s43
	s_delay_alu instid0(SALU_CYCLE_1)
	s_xor_b32 s43, exec_lo, s44
; %bb.27:                               ;   in Loop: Header=BB39_2 Depth=1
	v_lshlrev_b32_e32 v100, 2, v102
	ds_load_b32 v104, v100 offset:4
; %bb.28:                               ;   in Loop: Header=BB39_2 Depth=1
	s_wait_alu 0xfffe
	s_or_saveexec_b32 s43, s43
	v_mov_b32_e32 v105, v95
	s_wait_alu 0xfffe
	s_xor_b32 exec_lo, exec_lo, s43
	s_cbranch_execz .LBB39_30
; %bb.29:                               ;   in Loop: Header=BB39_2 Depth=1
	v_lshlrev_b32_e32 v100, 2, v103
	s_wait_dscnt 0x0
	v_mov_b32_e32 v104, v92
	ds_load_b32 v105, v100 offset:4
.LBB39_30:                              ;   in Loop: Header=BB39_2 Depth=1
	s_or_b32 exec_lo, exec_lo, s43
	v_add_nc_u32_e32 v100, 1, v102
	v_add_nc_u32_e32 v101, 1, v103
	s_wait_dscnt 0x0
	v_cmp_lt_i32_e64 s44, v105, v104
	s_delay_alu instid0(VALU_DEP_3) | instskip(NEXT) | instid1(VALU_DEP_3)
	v_cndmask_b32_e64 v106, v100, v102, s42
	v_cndmask_b32_e64 v107, v103, v101, s42
                                        ; implicit-def: $vgpr100
	s_delay_alu instid0(VALU_DEP_2) | instskip(NEXT) | instid1(VALU_DEP_2)
	v_cmp_ge_i32_e64 s43, v106, v13
	v_cmp_lt_i32_e64 s45, v107, v14
	s_or_b32 s43, s43, s44
	s_wait_alu 0xfffe
	s_and_b32 s43, s45, s43
	s_wait_alu 0xfffe
	s_xor_b32 s44, s43, -1
	s_delay_alu instid0(SALU_CYCLE_1) | instskip(NEXT) | instid1(SALU_CYCLE_1)
	s_and_saveexec_b32 s45, s44
	s_xor_b32 s44, exec_lo, s45
; %bb.31:                               ;   in Loop: Header=BB39_2 Depth=1
	v_lshlrev_b32_e32 v100, 2, v106
	ds_load_b32 v100, v100 offset:4
; %bb.32:                               ;   in Loop: Header=BB39_2 Depth=1
	s_or_saveexec_b32 s44, s44
	v_mov_b32_e32 v101, v105
	s_xor_b32 exec_lo, exec_lo, s44
	s_cbranch_execz .LBB39_34
; %bb.33:                               ;   in Loop: Header=BB39_2 Depth=1
	s_wait_dscnt 0x0
	v_lshlrev_b32_e32 v100, 2, v107
	ds_load_b32 v101, v100 offset:4
	v_mov_b32_e32 v100, v104
.LBB39_34:                              ;   in Loop: Header=BB39_2 Depth=1
	s_or_b32 exec_lo, exec_lo, s44
	v_cndmask_b32_e64 v84, v86, v84, s37
	v_cndmask_b32_e64 v86, v73, v76, s8
	;; [unrolled: 1-line block ×29, first 2 shown]
	v_add_nc_u32_e32 v109, 1, v106
	v_cndmask_b32_e64 v75, v77, v71, s22
	v_cndmask_b32_e64 v71, v71, v77, s22
	;; [unrolled: 1-line block ×8, first 2 shown]
	v_add_nc_u32_e32 v108, 1, v107
	v_cndmask_b32_e64 v104, v104, v105, s43
	v_cndmask_b32_e64 v105, v106, v107, s43
	v_cndmask_b32_e64 v106, v109, v106, s43
	v_cndmask_b32_e64 v86, v70, v71, s26
	v_cndmask_b32_e64 v70, v71, v70, s26
	v_cndmask_b32_e64 v71, v72, v77, s27
	v_cndmask_b32_e64 v72, v77, v72, s27
	v_cndmask_b32_e64 v77, v74, v76, s28
	v_cndmask_b32_e64 v74, v76, v74, s28
	v_cndmask_b32_e64 v107, v107, v108, s43
	v_cndmask_b32_e64 v76, v75, v70, s29
	v_cndmask_b32_e64 v70, v70, v75, s29
	v_cndmask_b32_e64 v75, v72, v86, s30
	v_cndmask_b32_e64 v72, v86, v72, s30
	v_cmp_ge_i32_e64 s8, v106, v13
	s_wait_dscnt 0x0
	v_cmp_lt_i32_e64 s9, v101, v100
	v_cndmask_b32_e64 v86, v74, v71, s33
	v_cndmask_b32_e64 v71, v71, v74, s33
	;; [unrolled: 1-line block ×4, first 2 shown]
	v_cmp_lt_i32_e64 s10, v107, v14
	v_cndmask_b32_e64 v77, v72, v70, s36
	v_cndmask_b32_e64 v70, v70, v72, s36
	s_or_b32 s8, s8, s9
	v_cndmask_b32_e64 v89, v89, v90, s38
	v_cndmask_b32_e64 v72, v71, v75, s31
	;; [unrolled: 1-line block ×6, first 2 shown]
	s_wait_alu 0xfffe
	s_and_b32 s8, s10, s8
	v_cndmask_b32_e64 v96, v96, v97, s40
	v_cndmask_b32_e64 v102, v102, v103, s42
	v_cndmask_b32_e64 v98, v98, v99, s41
	s_wait_alu 0xfffe
	v_cndmask_b32_e64 v90, v106, v107, s8
	s_wait_loadcnt 0x0
	s_barrier_signal -1
	s_barrier_wait -1
	global_inv scope:SCOPE_SE
	ds_store_2addr_b32 v1, v76, v70 offset1:1
	ds_store_2addr_b32 v1, v77, v71 offset0:2 offset1:3
	ds_store_2addr_b32 v1, v72, v73 offset0:4 offset1:5
	ds_store_2addr_b32 v1, v75, v74 offset0:6 offset1:7
	v_lshlrev_b32_e32 v70, 2, v84
	v_lshlrev_b32_e32 v71, 2, v89
	;; [unrolled: 1-line block ×8, first 2 shown]
	s_wait_loadcnt_dscnt 0x0
	s_barrier_signal -1
	s_barrier_wait -1
	global_inv scope:SCOPE_SE
	ds_load_b32 v70, v70
	ds_load_b32 v71, v71
	;; [unrolled: 1-line block ×8, first 2 shown]
	v_cndmask_b32_e64 v80, v80, v81, s38
	v_cndmask_b32_e64 v78, v78, v79, s37
	v_cndmask_b32_e64 v85, v85, v87, s40
	v_cndmask_b32_e64 v82, v82, v83, s39
	v_cndmask_b32_e64 v84, v92, v95, s42
	v_cndmask_b32_e64 v88, v88, v91, s41
	v_cndmask_b32_e64 v86, v100, v101, s8
	s_wait_loadcnt_dscnt 0x0
	s_barrier_signal -1
	s_barrier_wait -1
	global_inv scope:SCOPE_SE
	ds_store_2addr_b32 v1, v78, v80 offset1:1
	ds_store_2addr_b32 v1, v82, v85 offset0:2 offset1:3
	ds_store_2addr_b32 v1, v88, v84 offset0:4 offset1:5
	;; [unrolled: 1-line block ×3, first 2 shown]
	v_mov_b32_e32 v80, v62
	s_wait_loadcnt_dscnt 0x0
	s_barrier_signal -1
	s_barrier_wait -1
	global_inv scope:SCOPE_SE
	s_and_saveexec_b32 s9, s1
	s_cbranch_execz .LBB39_38
; %bb.35:                               ;   in Loop: Header=BB39_2 Depth=1
	v_mov_b32_e32 v80, v62
	v_mov_b32_e32 v78, v54
	s_mov_b32 s10, 0
.LBB39_36:                              ;   Parent Loop BB39_2 Depth=1
                                        ; =>  This Inner Loop Header: Depth=2
	s_delay_alu instid0(VALU_DEP_1) | instskip(NEXT) | instid1(VALU_DEP_1)
	v_sub_nc_u32_e32 v79, v78, v80
	v_lshrrev_b32_e32 v79, 1, v79
	s_delay_alu instid0(VALU_DEP_1) | instskip(NEXT) | instid1(VALU_DEP_1)
	v_add_nc_u32_e32 v79, v79, v80
	v_not_b32_e32 v81, v79
	v_lshl_add_u32 v82, v79, 2, v18
	v_add_nc_u32_e32 v83, 1, v79
	s_delay_alu instid0(VALU_DEP_3)
	v_lshl_add_u32 v81, v81, 2, v46
	ds_load_b32 v82, v82
	ds_load_b32 v81, v81
	s_wait_dscnt 0x0
	v_cmp_lt_i32_e64 s8, v81, v82
	s_wait_alu 0xf1ff
	s_delay_alu instid0(VALU_DEP_1) | instskip(SKIP_1) | instid1(VALU_DEP_1)
	v_cndmask_b32_e64 v78, v78, v79, s8
	v_cndmask_b32_e64 v80, v83, v80, s8
	v_cmp_ge_i32_e64 s8, v80, v78
	s_wait_alu 0xfffe
	s_or_b32 s10, s8, s10
	s_wait_alu 0xfffe
	s_and_not1_b32 exec_lo, exec_lo, s10
	s_cbranch_execnz .LBB39_36
; %bb.37:                               ;   in Loop: Header=BB39_2 Depth=1
	s_or_b32 exec_lo, exec_lo, s10
.LBB39_38:                              ;   in Loop: Header=BB39_2 Depth=1
	s_wait_alu 0xfffe
	s_or_b32 exec_lo, exec_lo, s9
	v_sub_nc_u32_e32 v82, v38, v80
	v_lshl_add_u32 v81, v80, 2, v18
	v_add_nc_u32_e32 v83, v80, v3
                                        ; implicit-def: $vgpr80
	s_delay_alu instid0(VALU_DEP_3) | instskip(SKIP_1) | instid1(VALU_DEP_3)
	v_lshlrev_b32_e32 v84, 2, v82
	v_cmp_gt_i32_e64 s10, v17, v82
	v_cmp_le_i32_e64 s8, v16, v83
	ds_load_b32 v78, v81
	ds_load_b32 v79, v84
	s_wait_dscnt 0x0
	v_cmp_lt_i32_e64 s9, v79, v78
	s_or_b32 s8, s8, s9
	s_wait_alu 0xfffe
	s_and_b32 s8, s10, s8
	s_wait_alu 0xfffe
	s_xor_b32 s9, s8, -1
	s_wait_alu 0xfffe
	s_and_saveexec_b32 s10, s9
	s_wait_alu 0xfffe
	s_xor_b32 s9, exec_lo, s10
; %bb.39:                               ;   in Loop: Header=BB39_2 Depth=1
	ds_load_b32 v80, v81 offset:4
                                        ; implicit-def: $vgpr84
; %bb.40:                               ;   in Loop: Header=BB39_2 Depth=1
	s_wait_alu 0xfffe
	s_or_saveexec_b32 s9, s9
	v_mov_b32_e32 v81, v79
	s_wait_alu 0xfffe
	s_xor_b32 exec_lo, exec_lo, s9
	s_cbranch_execz .LBB39_42
; %bb.41:                               ;   in Loop: Header=BB39_2 Depth=1
	ds_load_b32 v81, v84 offset:4
	s_wait_dscnt 0x1
	v_mov_b32_e32 v80, v78
.LBB39_42:                              ;   in Loop: Header=BB39_2 Depth=1
	s_or_b32 exec_lo, exec_lo, s9
	v_add_nc_u32_e32 v84, 1, v83
	v_add_nc_u32_e32 v85, 1, v82
	s_wait_dscnt 0x0
	v_cmp_lt_i32_e64 s10, v81, v80
	s_delay_alu instid0(VALU_DEP_3) | instskip(NEXT) | instid1(VALU_DEP_3)
	v_cndmask_b32_e64 v86, v84, v83, s8
	v_cndmask_b32_e64 v87, v82, v85, s8
                                        ; implicit-def: $vgpr84
	s_delay_alu instid0(VALU_DEP_2) | instskip(NEXT) | instid1(VALU_DEP_2)
	v_cmp_ge_i32_e64 s9, v86, v16
	v_cmp_lt_i32_e64 s11, v87, v17
	s_or_b32 s9, s9, s10
	s_wait_alu 0xfffe
	s_and_b32 s9, s11, s9
	s_wait_alu 0xfffe
	s_xor_b32 s10, s9, -1
	s_wait_alu 0xfffe
	s_and_saveexec_b32 s11, s10
	s_wait_alu 0xfffe
	s_xor_b32 s10, exec_lo, s11
; %bb.43:                               ;   in Loop: Header=BB39_2 Depth=1
	v_lshlrev_b32_e32 v84, 2, v86
	ds_load_b32 v84, v84 offset:4
; %bb.44:                               ;   in Loop: Header=BB39_2 Depth=1
	s_wait_alu 0xfffe
	s_or_saveexec_b32 s10, s10
	v_mov_b32_e32 v85, v81
	s_wait_alu 0xfffe
	s_xor_b32 exec_lo, exec_lo, s10
	s_cbranch_execz .LBB39_46
; %bb.45:                               ;   in Loop: Header=BB39_2 Depth=1
	s_wait_dscnt 0x0
	v_lshlrev_b32_e32 v84, 2, v87
	ds_load_b32 v85, v84 offset:4
	v_mov_b32_e32 v84, v80
.LBB39_46:                              ;   in Loop: Header=BB39_2 Depth=1
	s_or_b32 exec_lo, exec_lo, s10
	v_add_nc_u32_e32 v88, 1, v86
	v_add_nc_u32_e32 v89, 1, v87
	s_wait_dscnt 0x0
	v_cmp_lt_i32_e64 s11, v85, v84
	s_delay_alu instid0(VALU_DEP_3) | instskip(NEXT) | instid1(VALU_DEP_3)
	v_cndmask_b32_e64 v90, v88, v86, s9
	v_cndmask_b32_e64 v91, v87, v89, s9
                                        ; implicit-def: $vgpr88
	s_delay_alu instid0(VALU_DEP_2) | instskip(NEXT) | instid1(VALU_DEP_2)
	v_cmp_ge_i32_e64 s10, v90, v16
	v_cmp_lt_i32_e64 s12, v91, v17
	s_or_b32 s10, s10, s11
	s_wait_alu 0xfffe
	s_and_b32 s10, s12, s10
	s_wait_alu 0xfffe
	s_xor_b32 s11, s10, -1
	s_wait_alu 0xfffe
	s_and_saveexec_b32 s12, s11
	s_wait_alu 0xfffe
	s_xor_b32 s11, exec_lo, s12
; %bb.47:                               ;   in Loop: Header=BB39_2 Depth=1
	v_lshlrev_b32_e32 v88, 2, v90
	ds_load_b32 v88, v88 offset:4
; %bb.48:                               ;   in Loop: Header=BB39_2 Depth=1
	s_wait_alu 0xfffe
	s_or_saveexec_b32 s11, s11
	v_mov_b32_e32 v89, v85
	s_wait_alu 0xfffe
	s_xor_b32 exec_lo, exec_lo, s11
	s_cbranch_execz .LBB39_50
; %bb.49:                               ;   in Loop: Header=BB39_2 Depth=1
	s_wait_dscnt 0x0
	v_lshlrev_b32_e32 v88, 2, v91
	ds_load_b32 v89, v88 offset:4
	v_mov_b32_e32 v88, v84
.LBB39_50:                              ;   in Loop: Header=BB39_2 Depth=1
	s_or_b32 exec_lo, exec_lo, s11
	v_add_nc_u32_e32 v92, 1, v90
	v_add_nc_u32_e32 v93, 1, v91
	s_wait_dscnt 0x0
	v_cmp_lt_i32_e64 s12, v89, v88
	s_delay_alu instid0(VALU_DEP_3) | instskip(NEXT) | instid1(VALU_DEP_3)
	v_cndmask_b32_e64 v95, v92, v90, s10
	v_cndmask_b32_e64 v96, v91, v93, s10
                                        ; implicit-def: $vgpr92
	s_delay_alu instid0(VALU_DEP_2) | instskip(NEXT) | instid1(VALU_DEP_2)
	v_cmp_ge_i32_e64 s11, v95, v16
	v_cmp_lt_i32_e64 s13, v96, v17
	s_or_b32 s11, s11, s12
	s_wait_alu 0xfffe
	s_and_b32 s11, s13, s11
	s_wait_alu 0xfffe
	s_xor_b32 s12, s11, -1
	s_wait_alu 0xfffe
	s_and_saveexec_b32 s13, s12
	s_wait_alu 0xfffe
	s_xor_b32 s12, exec_lo, s13
; %bb.51:                               ;   in Loop: Header=BB39_2 Depth=1
	v_lshlrev_b32_e32 v92, 2, v95
	ds_load_b32 v92, v92 offset:4
; %bb.52:                               ;   in Loop: Header=BB39_2 Depth=1
	s_wait_alu 0xfffe
	s_or_saveexec_b32 s12, s12
	v_mov_b32_e32 v93, v89
	s_wait_alu 0xfffe
	s_xor_b32 exec_lo, exec_lo, s12
	s_cbranch_execz .LBB39_54
; %bb.53:                               ;   in Loop: Header=BB39_2 Depth=1
	s_wait_dscnt 0x0
	v_lshlrev_b32_e32 v92, 2, v96
	ds_load_b32 v93, v92 offset:4
	v_mov_b32_e32 v92, v88
.LBB39_54:                              ;   in Loop: Header=BB39_2 Depth=1
	s_or_b32 exec_lo, exec_lo, s12
	v_add_nc_u32_e32 v94, 1, v95
	v_add_nc_u32_e32 v97, 1, v96
	s_wait_dscnt 0x0
	v_cmp_lt_i32_e64 s13, v93, v92
	s_delay_alu instid0(VALU_DEP_3) | instskip(NEXT) | instid1(VALU_DEP_3)
	v_cndmask_b32_e64 v98, v94, v95, s11
	v_cndmask_b32_e64 v99, v96, v97, s11
                                        ; implicit-def: $vgpr94
	s_delay_alu instid0(VALU_DEP_2) | instskip(NEXT) | instid1(VALU_DEP_2)
	v_cmp_ge_i32_e64 s12, v98, v16
	v_cmp_lt_i32_e64 s14, v99, v17
	s_or_b32 s12, s12, s13
	s_wait_alu 0xfffe
	s_and_b32 s12, s14, s12
	s_wait_alu 0xfffe
	s_xor_b32 s13, s12, -1
	s_wait_alu 0xfffe
	s_and_saveexec_b32 s14, s13
	s_wait_alu 0xfffe
	s_xor_b32 s13, exec_lo, s14
; %bb.55:                               ;   in Loop: Header=BB39_2 Depth=1
	v_lshlrev_b32_e32 v94, 2, v98
	ds_load_b32 v94, v94 offset:4
; %bb.56:                               ;   in Loop: Header=BB39_2 Depth=1
	s_wait_alu 0xfffe
	s_or_saveexec_b32 s13, s13
	v_mov_b32_e32 v97, v93
	s_wait_alu 0xfffe
	s_xor_b32 exec_lo, exec_lo, s13
	s_cbranch_execz .LBB39_58
; %bb.57:                               ;   in Loop: Header=BB39_2 Depth=1
	s_wait_dscnt 0x0
	v_lshlrev_b32_e32 v94, 2, v99
	ds_load_b32 v97, v94 offset:4
	v_mov_b32_e32 v94, v92
.LBB39_58:                              ;   in Loop: Header=BB39_2 Depth=1
	s_or_b32 exec_lo, exec_lo, s13
	v_add_nc_u32_e32 v100, 1, v98
	v_add_nc_u32_e32 v101, 1, v99
	s_wait_dscnt 0x0
	v_cmp_lt_i32_e64 s14, v97, v94
                                        ; implicit-def: $vgpr102
	s_delay_alu instid0(VALU_DEP_3) | instskip(NEXT) | instid1(VALU_DEP_3)
	v_cndmask_b32_e64 v100, v100, v98, s12
	v_cndmask_b32_e64 v101, v99, v101, s12
	s_delay_alu instid0(VALU_DEP_2) | instskip(NEXT) | instid1(VALU_DEP_2)
	v_cmp_ge_i32_e64 s13, v100, v16
	v_cmp_lt_i32_e64 s15, v101, v17
	s_or_b32 s13, s13, s14
	s_wait_alu 0xfffe
	s_and_b32 s13, s15, s13
	s_wait_alu 0xfffe
	s_xor_b32 s14, s13, -1
	s_wait_alu 0xfffe
	s_and_saveexec_b32 s15, s14
	s_wait_alu 0xfffe
	s_xor_b32 s14, exec_lo, s15
; %bb.59:                               ;   in Loop: Header=BB39_2 Depth=1
	v_lshlrev_b32_e32 v102, 2, v100
	ds_load_b32 v102, v102 offset:4
; %bb.60:                               ;   in Loop: Header=BB39_2 Depth=1
	s_wait_alu 0xfffe
	s_or_saveexec_b32 s14, s14
	v_mov_b32_e32 v104, v97
	s_wait_alu 0xfffe
	s_xor_b32 exec_lo, exec_lo, s14
	s_cbranch_execz .LBB39_62
; %bb.61:                               ;   in Loop: Header=BB39_2 Depth=1
	s_wait_dscnt 0x0
	v_lshlrev_b32_e32 v102, 2, v101
	ds_load_b32 v104, v102 offset:4
	v_mov_b32_e32 v102, v94
.LBB39_62:                              ;   in Loop: Header=BB39_2 Depth=1
	s_or_b32 exec_lo, exec_lo, s14
	v_add_nc_u32_e32 v103, 1, v100
	v_add_nc_u32_e32 v105, 1, v101
	s_wait_dscnt 0x0
	v_cmp_lt_i32_e64 s15, v104, v102
	s_delay_alu instid0(VALU_DEP_3) | instskip(NEXT) | instid1(VALU_DEP_3)
	v_cndmask_b32_e64 v106, v103, v100, s13
	v_cndmask_b32_e64 v105, v101, v105, s13
                                        ; implicit-def: $vgpr103
	s_delay_alu instid0(VALU_DEP_2) | instskip(NEXT) | instid1(VALU_DEP_2)
	v_cmp_ge_i32_e64 s14, v106, v16
	v_cmp_lt_i32_e64 s16, v105, v17
	s_or_b32 s14, s14, s15
	s_wait_alu 0xfffe
	s_and_b32 s14, s16, s14
	s_wait_alu 0xfffe
	s_xor_b32 s15, s14, -1
	s_wait_alu 0xfffe
	s_and_saveexec_b32 s16, s15
	s_wait_alu 0xfffe
	s_xor_b32 s15, exec_lo, s16
; %bb.63:                               ;   in Loop: Header=BB39_2 Depth=1
	v_lshlrev_b32_e32 v103, 2, v106
	ds_load_b32 v103, v103 offset:4
; %bb.64:                               ;   in Loop: Header=BB39_2 Depth=1
	s_wait_alu 0xfffe
	s_or_saveexec_b32 s15, s15
	v_mov_b32_e32 v107, v104
	s_wait_alu 0xfffe
	s_xor_b32 exec_lo, exec_lo, s15
	s_cbranch_execz .LBB39_66
; %bb.65:                               ;   in Loop: Header=BB39_2 Depth=1
	s_wait_dscnt 0x0
	v_lshlrev_b32_e32 v103, 2, v105
	ds_load_b32 v107, v103 offset:4
	v_mov_b32_e32 v103, v102
.LBB39_66:                              ;   in Loop: Header=BB39_2 Depth=1
	s_or_b32 exec_lo, exec_lo, s15
	v_add_nc_u32_e32 v108, 1, v106
	v_cndmask_b32_e64 v102, v102, v104, s14
	v_add_nc_u32_e32 v104, 1, v105
	v_cndmask_b32_e64 v100, v100, v101, s13
	v_cndmask_b32_e64 v98, v98, v99, s12
	;; [unrolled: 1-line block ×5, first 2 shown]
	s_wait_dscnt 0x0
	v_cmp_lt_i32_e64 s14, v107, v103
	v_cndmask_b32_e64 v82, v83, v82, s8
	v_cmp_ge_i32_e64 s15, v101, v16
	v_cndmask_b32_e64 v86, v86, v87, s9
	v_cmp_lt_i32_e64 s16, v99, v17
	v_cndmask_b32_e64 v90, v90, v91, s10
	v_cndmask_b32_e64 v95, v95, v96, s11
	s_or_b32 s14, s15, s14
	s_wait_loadcnt 0x0
	s_wait_alu 0xfffe
	s_and_b32 s14, s16, s14
	s_barrier_signal -1
	s_wait_alu 0xfffe
	v_cndmask_b32_e64 v87, v101, v99, s14
	s_barrier_wait -1
	global_inv scope:SCOPE_SE
	ds_store_2addr_b32 v1, v70, v71 offset1:1
	ds_store_2addr_b32 v1, v72, v73 offset0:2 offset1:3
	ds_store_2addr_b32 v1, v74, v75 offset0:4 offset1:5
	;; [unrolled: 1-line block ×3, first 2 shown]
	v_lshlrev_b32_e32 v70, 2, v82
	v_lshlrev_b32_e32 v71, 2, v86
	;; [unrolled: 1-line block ×8, first 2 shown]
	s_wait_loadcnt_dscnt 0x0
	s_barrier_signal -1
	s_barrier_wait -1
	global_inv scope:SCOPE_SE
	ds_load_b32 v70, v70
	ds_load_b32 v71, v71
	;; [unrolled: 1-line block ×8, first 2 shown]
	v_cndmask_b32_e64 v80, v80, v81, s9
	v_cndmask_b32_e64 v78, v78, v79, s8
	;; [unrolled: 1-line block ×7, first 2 shown]
	s_wait_loadcnt_dscnt 0x0
	s_barrier_signal -1
	s_barrier_wait -1
	global_inv scope:SCOPE_SE
	ds_store_2addr_b32 v1, v78, v80 offset1:1
	ds_store_2addr_b32 v1, v84, v87 offset0:2 offset1:3
	ds_store_2addr_b32 v1, v86, v82 offset0:4 offset1:5
	ds_store_2addr_b32 v1, v102, v83 offset0:6 offset1:7
	v_mov_b32_e32 v80, v63
	s_wait_loadcnt_dscnt 0x0
	s_barrier_signal -1
	s_barrier_wait -1
	global_inv scope:SCOPE_SE
	s_and_saveexec_b32 s9, s2
	s_cbranch_execz .LBB39_70
; %bb.67:                               ;   in Loop: Header=BB39_2 Depth=1
	v_mov_b32_e32 v80, v63
	v_mov_b32_e32 v78, v55
	s_mov_b32 s10, 0
.LBB39_68:                              ;   Parent Loop BB39_2 Depth=1
                                        ; =>  This Inner Loop Header: Depth=2
	s_delay_alu instid0(VALU_DEP_1) | instskip(NEXT) | instid1(VALU_DEP_1)
	v_sub_nc_u32_e32 v79, v78, v80
	v_lshrrev_b32_e32 v79, 1, v79
	s_delay_alu instid0(VALU_DEP_1) | instskip(NEXT) | instid1(VALU_DEP_1)
	v_add_nc_u32_e32 v79, v79, v80
	v_not_b32_e32 v81, v79
	v_lshl_add_u32 v82, v79, 2, v21
	v_add_nc_u32_e32 v83, 1, v79
	s_delay_alu instid0(VALU_DEP_3)
	v_lshl_add_u32 v81, v81, 2, v47
	ds_load_b32 v82, v82
	ds_load_b32 v81, v81
	s_wait_dscnt 0x0
	v_cmp_lt_i32_e64 s8, v81, v82
	s_wait_alu 0xf1ff
	s_delay_alu instid0(VALU_DEP_1) | instskip(SKIP_1) | instid1(VALU_DEP_1)
	v_cndmask_b32_e64 v78, v78, v79, s8
	v_cndmask_b32_e64 v80, v83, v80, s8
	v_cmp_ge_i32_e64 s8, v80, v78
	s_wait_alu 0xfffe
	s_or_b32 s10, s8, s10
	s_wait_alu 0xfffe
	s_and_not1_b32 exec_lo, exec_lo, s10
	s_cbranch_execnz .LBB39_68
; %bb.69:                               ;   in Loop: Header=BB39_2 Depth=1
	s_or_b32 exec_lo, exec_lo, s10
.LBB39_70:                              ;   in Loop: Header=BB39_2 Depth=1
	s_wait_alu 0xfffe
	s_or_b32 exec_lo, exec_lo, s9
	v_sub_nc_u32_e32 v82, v39, v80
	v_lshl_add_u32 v81, v80, 2, v21
	v_add_nc_u32_e32 v83, v80, v4
                                        ; implicit-def: $vgpr80
	s_delay_alu instid0(VALU_DEP_3) | instskip(SKIP_1) | instid1(VALU_DEP_3)
	v_lshlrev_b32_e32 v84, 2, v82
	v_cmp_gt_i32_e64 s10, v20, v82
	v_cmp_le_i32_e64 s8, v19, v83
	ds_load_b32 v78, v81
	ds_load_b32 v79, v84
	s_wait_dscnt 0x0
	v_cmp_lt_i32_e64 s9, v79, v78
	s_or_b32 s8, s8, s9
	s_wait_alu 0xfffe
	s_and_b32 s8, s10, s8
	s_wait_alu 0xfffe
	s_xor_b32 s9, s8, -1
	s_wait_alu 0xfffe
	s_and_saveexec_b32 s10, s9
	s_wait_alu 0xfffe
	s_xor_b32 s9, exec_lo, s10
; %bb.71:                               ;   in Loop: Header=BB39_2 Depth=1
	ds_load_b32 v80, v81 offset:4
                                        ; implicit-def: $vgpr84
; %bb.72:                               ;   in Loop: Header=BB39_2 Depth=1
	s_wait_alu 0xfffe
	s_or_saveexec_b32 s9, s9
	v_mov_b32_e32 v81, v79
	s_wait_alu 0xfffe
	s_xor_b32 exec_lo, exec_lo, s9
	s_cbranch_execz .LBB39_74
; %bb.73:                               ;   in Loop: Header=BB39_2 Depth=1
	ds_load_b32 v81, v84 offset:4
	s_wait_dscnt 0x1
	v_mov_b32_e32 v80, v78
.LBB39_74:                              ;   in Loop: Header=BB39_2 Depth=1
	s_or_b32 exec_lo, exec_lo, s9
	v_add_nc_u32_e32 v84, 1, v83
	v_add_nc_u32_e32 v85, 1, v82
	s_wait_dscnt 0x0
	v_cmp_lt_i32_e64 s10, v81, v80
	s_delay_alu instid0(VALU_DEP_3) | instskip(NEXT) | instid1(VALU_DEP_3)
	v_cndmask_b32_e64 v86, v84, v83, s8
	v_cndmask_b32_e64 v87, v82, v85, s8
                                        ; implicit-def: $vgpr84
	s_delay_alu instid0(VALU_DEP_2) | instskip(NEXT) | instid1(VALU_DEP_2)
	v_cmp_ge_i32_e64 s9, v86, v19
	v_cmp_lt_i32_e64 s11, v87, v20
	s_or_b32 s9, s9, s10
	s_wait_alu 0xfffe
	s_and_b32 s9, s11, s9
	s_wait_alu 0xfffe
	s_xor_b32 s10, s9, -1
	s_wait_alu 0xfffe
	s_and_saveexec_b32 s11, s10
	s_wait_alu 0xfffe
	s_xor_b32 s10, exec_lo, s11
; %bb.75:                               ;   in Loop: Header=BB39_2 Depth=1
	v_lshlrev_b32_e32 v84, 2, v86
	ds_load_b32 v84, v84 offset:4
; %bb.76:                               ;   in Loop: Header=BB39_2 Depth=1
	s_wait_alu 0xfffe
	s_or_saveexec_b32 s10, s10
	v_mov_b32_e32 v85, v81
	s_wait_alu 0xfffe
	s_xor_b32 exec_lo, exec_lo, s10
	s_cbranch_execz .LBB39_78
; %bb.77:                               ;   in Loop: Header=BB39_2 Depth=1
	s_wait_dscnt 0x0
	v_lshlrev_b32_e32 v84, 2, v87
	ds_load_b32 v85, v84 offset:4
	v_mov_b32_e32 v84, v80
.LBB39_78:                              ;   in Loop: Header=BB39_2 Depth=1
	s_or_b32 exec_lo, exec_lo, s10
	v_add_nc_u32_e32 v88, 1, v86
	v_add_nc_u32_e32 v89, 1, v87
	s_wait_dscnt 0x0
	v_cmp_lt_i32_e64 s11, v85, v84
	s_delay_alu instid0(VALU_DEP_3) | instskip(NEXT) | instid1(VALU_DEP_3)
	v_cndmask_b32_e64 v90, v88, v86, s9
	v_cndmask_b32_e64 v91, v87, v89, s9
                                        ; implicit-def: $vgpr88
	s_delay_alu instid0(VALU_DEP_2) | instskip(NEXT) | instid1(VALU_DEP_2)
	v_cmp_ge_i32_e64 s10, v90, v19
	v_cmp_lt_i32_e64 s12, v91, v20
	s_or_b32 s10, s10, s11
	s_wait_alu 0xfffe
	s_and_b32 s10, s12, s10
	s_wait_alu 0xfffe
	s_xor_b32 s11, s10, -1
	s_wait_alu 0xfffe
	s_and_saveexec_b32 s12, s11
	s_wait_alu 0xfffe
	s_xor_b32 s11, exec_lo, s12
; %bb.79:                               ;   in Loop: Header=BB39_2 Depth=1
	v_lshlrev_b32_e32 v88, 2, v90
	ds_load_b32 v88, v88 offset:4
; %bb.80:                               ;   in Loop: Header=BB39_2 Depth=1
	s_wait_alu 0xfffe
	s_or_saveexec_b32 s11, s11
	v_mov_b32_e32 v89, v85
	s_wait_alu 0xfffe
	s_xor_b32 exec_lo, exec_lo, s11
	s_cbranch_execz .LBB39_82
; %bb.81:                               ;   in Loop: Header=BB39_2 Depth=1
	s_wait_dscnt 0x0
	v_lshlrev_b32_e32 v88, 2, v91
	ds_load_b32 v89, v88 offset:4
	v_mov_b32_e32 v88, v84
.LBB39_82:                              ;   in Loop: Header=BB39_2 Depth=1
	s_or_b32 exec_lo, exec_lo, s11
	v_add_nc_u32_e32 v92, 1, v90
	v_add_nc_u32_e32 v93, 1, v91
	s_wait_dscnt 0x0
	v_cmp_lt_i32_e64 s12, v89, v88
	s_delay_alu instid0(VALU_DEP_3) | instskip(NEXT) | instid1(VALU_DEP_3)
	v_cndmask_b32_e64 v95, v92, v90, s10
	v_cndmask_b32_e64 v96, v91, v93, s10
                                        ; implicit-def: $vgpr92
	s_delay_alu instid0(VALU_DEP_2) | instskip(NEXT) | instid1(VALU_DEP_2)
	v_cmp_ge_i32_e64 s11, v95, v19
	v_cmp_lt_i32_e64 s13, v96, v20
	s_or_b32 s11, s11, s12
	s_wait_alu 0xfffe
	s_and_b32 s11, s13, s11
	s_wait_alu 0xfffe
	s_xor_b32 s12, s11, -1
	s_wait_alu 0xfffe
	s_and_saveexec_b32 s13, s12
	s_wait_alu 0xfffe
	s_xor_b32 s12, exec_lo, s13
; %bb.83:                               ;   in Loop: Header=BB39_2 Depth=1
	v_lshlrev_b32_e32 v92, 2, v95
	ds_load_b32 v92, v92 offset:4
; %bb.84:                               ;   in Loop: Header=BB39_2 Depth=1
	s_wait_alu 0xfffe
	s_or_saveexec_b32 s12, s12
	v_mov_b32_e32 v93, v89
	s_wait_alu 0xfffe
	s_xor_b32 exec_lo, exec_lo, s12
	s_cbranch_execz .LBB39_86
; %bb.85:                               ;   in Loop: Header=BB39_2 Depth=1
	s_wait_dscnt 0x0
	v_lshlrev_b32_e32 v92, 2, v96
	ds_load_b32 v93, v92 offset:4
	v_mov_b32_e32 v92, v88
.LBB39_86:                              ;   in Loop: Header=BB39_2 Depth=1
	s_or_b32 exec_lo, exec_lo, s12
	v_add_nc_u32_e32 v94, 1, v95
	v_add_nc_u32_e32 v97, 1, v96
	s_wait_dscnt 0x0
	v_cmp_lt_i32_e64 s13, v93, v92
	s_delay_alu instid0(VALU_DEP_3) | instskip(NEXT) | instid1(VALU_DEP_3)
	v_cndmask_b32_e64 v98, v94, v95, s11
	v_cndmask_b32_e64 v99, v96, v97, s11
                                        ; implicit-def: $vgpr94
	s_delay_alu instid0(VALU_DEP_2) | instskip(NEXT) | instid1(VALU_DEP_2)
	v_cmp_ge_i32_e64 s12, v98, v19
	v_cmp_lt_i32_e64 s14, v99, v20
	s_or_b32 s12, s12, s13
	s_wait_alu 0xfffe
	s_and_b32 s12, s14, s12
	s_wait_alu 0xfffe
	s_xor_b32 s13, s12, -1
	s_wait_alu 0xfffe
	s_and_saveexec_b32 s14, s13
	s_wait_alu 0xfffe
	s_xor_b32 s13, exec_lo, s14
; %bb.87:                               ;   in Loop: Header=BB39_2 Depth=1
	v_lshlrev_b32_e32 v94, 2, v98
	ds_load_b32 v94, v94 offset:4
; %bb.88:                               ;   in Loop: Header=BB39_2 Depth=1
	s_wait_alu 0xfffe
	s_or_saveexec_b32 s13, s13
	v_mov_b32_e32 v97, v93
	s_wait_alu 0xfffe
	s_xor_b32 exec_lo, exec_lo, s13
	s_cbranch_execz .LBB39_90
; %bb.89:                               ;   in Loop: Header=BB39_2 Depth=1
	s_wait_dscnt 0x0
	v_lshlrev_b32_e32 v94, 2, v99
	ds_load_b32 v97, v94 offset:4
	v_mov_b32_e32 v94, v92
.LBB39_90:                              ;   in Loop: Header=BB39_2 Depth=1
	s_or_b32 exec_lo, exec_lo, s13
	v_add_nc_u32_e32 v100, 1, v98
	v_add_nc_u32_e32 v101, 1, v99
	s_wait_dscnt 0x0
	v_cmp_lt_i32_e64 s14, v97, v94
                                        ; implicit-def: $vgpr102
	s_delay_alu instid0(VALU_DEP_3) | instskip(NEXT) | instid1(VALU_DEP_3)
	v_cndmask_b32_e64 v100, v100, v98, s12
	v_cndmask_b32_e64 v101, v99, v101, s12
	s_delay_alu instid0(VALU_DEP_2) | instskip(NEXT) | instid1(VALU_DEP_2)
	v_cmp_ge_i32_e64 s13, v100, v19
	v_cmp_lt_i32_e64 s15, v101, v20
	s_or_b32 s13, s13, s14
	s_wait_alu 0xfffe
	s_and_b32 s13, s15, s13
	s_wait_alu 0xfffe
	s_xor_b32 s14, s13, -1
	s_wait_alu 0xfffe
	s_and_saveexec_b32 s15, s14
	s_wait_alu 0xfffe
	s_xor_b32 s14, exec_lo, s15
; %bb.91:                               ;   in Loop: Header=BB39_2 Depth=1
	v_lshlrev_b32_e32 v102, 2, v100
	ds_load_b32 v102, v102 offset:4
; %bb.92:                               ;   in Loop: Header=BB39_2 Depth=1
	s_wait_alu 0xfffe
	s_or_saveexec_b32 s14, s14
	v_mov_b32_e32 v104, v97
	s_wait_alu 0xfffe
	s_xor_b32 exec_lo, exec_lo, s14
	s_cbranch_execz .LBB39_94
; %bb.93:                               ;   in Loop: Header=BB39_2 Depth=1
	s_wait_dscnt 0x0
	v_lshlrev_b32_e32 v102, 2, v101
	ds_load_b32 v104, v102 offset:4
	v_mov_b32_e32 v102, v94
.LBB39_94:                              ;   in Loop: Header=BB39_2 Depth=1
	s_or_b32 exec_lo, exec_lo, s14
	v_add_nc_u32_e32 v103, 1, v100
	v_add_nc_u32_e32 v105, 1, v101
	s_wait_dscnt 0x0
	v_cmp_lt_i32_e64 s15, v104, v102
	s_delay_alu instid0(VALU_DEP_3) | instskip(NEXT) | instid1(VALU_DEP_3)
	v_cndmask_b32_e64 v106, v103, v100, s13
	v_cndmask_b32_e64 v105, v101, v105, s13
                                        ; implicit-def: $vgpr103
	s_delay_alu instid0(VALU_DEP_2) | instskip(NEXT) | instid1(VALU_DEP_2)
	v_cmp_ge_i32_e64 s14, v106, v19
	v_cmp_lt_i32_e64 s16, v105, v20
	s_or_b32 s14, s14, s15
	s_wait_alu 0xfffe
	s_and_b32 s14, s16, s14
	s_wait_alu 0xfffe
	s_xor_b32 s15, s14, -1
	s_wait_alu 0xfffe
	s_and_saveexec_b32 s16, s15
	s_wait_alu 0xfffe
	s_xor_b32 s15, exec_lo, s16
; %bb.95:                               ;   in Loop: Header=BB39_2 Depth=1
	v_lshlrev_b32_e32 v103, 2, v106
	ds_load_b32 v103, v103 offset:4
; %bb.96:                               ;   in Loop: Header=BB39_2 Depth=1
	s_wait_alu 0xfffe
	s_or_saveexec_b32 s15, s15
	v_mov_b32_e32 v107, v104
	s_wait_alu 0xfffe
	s_xor_b32 exec_lo, exec_lo, s15
	s_cbranch_execz .LBB39_98
; %bb.97:                               ;   in Loop: Header=BB39_2 Depth=1
	s_wait_dscnt 0x0
	v_lshlrev_b32_e32 v103, 2, v105
	ds_load_b32 v107, v103 offset:4
	v_mov_b32_e32 v103, v102
.LBB39_98:                              ;   in Loop: Header=BB39_2 Depth=1
	s_or_b32 exec_lo, exec_lo, s15
	v_add_nc_u32_e32 v108, 1, v106
	v_cndmask_b32_e64 v102, v102, v104, s14
	v_add_nc_u32_e32 v104, 1, v105
	v_cndmask_b32_e64 v100, v100, v101, s13
	v_cndmask_b32_e64 v98, v98, v99, s12
	;; [unrolled: 1-line block ×5, first 2 shown]
	s_wait_dscnt 0x0
	v_cmp_lt_i32_e64 s14, v107, v103
	v_cndmask_b32_e64 v82, v83, v82, s8
	v_cmp_ge_i32_e64 s15, v101, v19
	v_cndmask_b32_e64 v86, v86, v87, s9
	v_cmp_lt_i32_e64 s16, v99, v20
	v_cndmask_b32_e64 v90, v90, v91, s10
	v_cndmask_b32_e64 v95, v95, v96, s11
	s_or_b32 s14, s15, s14
	s_wait_loadcnt 0x0
	s_wait_alu 0xfffe
	s_and_b32 s14, s16, s14
	s_barrier_signal -1
	s_wait_alu 0xfffe
	v_cndmask_b32_e64 v87, v101, v99, s14
	s_barrier_wait -1
	global_inv scope:SCOPE_SE
	ds_store_2addr_b32 v1, v70, v71 offset1:1
	ds_store_2addr_b32 v1, v72, v73 offset0:2 offset1:3
	ds_store_2addr_b32 v1, v74, v75 offset0:4 offset1:5
	;; [unrolled: 1-line block ×3, first 2 shown]
	v_lshlrev_b32_e32 v70, 2, v82
	v_lshlrev_b32_e32 v71, 2, v86
	;; [unrolled: 1-line block ×8, first 2 shown]
	s_wait_loadcnt_dscnt 0x0
	s_barrier_signal -1
	s_barrier_wait -1
	global_inv scope:SCOPE_SE
	ds_load_b32 v70, v70
	ds_load_b32 v71, v71
	;; [unrolled: 1-line block ×8, first 2 shown]
	v_cndmask_b32_e64 v80, v80, v81, s9
	v_cndmask_b32_e64 v78, v78, v79, s8
	;; [unrolled: 1-line block ×7, first 2 shown]
	s_wait_loadcnt_dscnt 0x0
	s_barrier_signal -1
	s_barrier_wait -1
	global_inv scope:SCOPE_SE
	ds_store_2addr_b32 v1, v78, v80 offset1:1
	ds_store_2addr_b32 v1, v84, v87 offset0:2 offset1:3
	ds_store_2addr_b32 v1, v86, v82 offset0:4 offset1:5
	;; [unrolled: 1-line block ×3, first 2 shown]
	v_mov_b32_e32 v80, v64
	s_wait_loadcnt_dscnt 0x0
	s_barrier_signal -1
	s_barrier_wait -1
	global_inv scope:SCOPE_SE
	s_and_saveexec_b32 s9, s3
	s_cbranch_execz .LBB39_102
; %bb.99:                               ;   in Loop: Header=BB39_2 Depth=1
	v_mov_b32_e32 v80, v64
	v_mov_b32_e32 v78, v56
	s_mov_b32 s10, 0
.LBB39_100:                             ;   Parent Loop BB39_2 Depth=1
                                        ; =>  This Inner Loop Header: Depth=2
	s_delay_alu instid0(VALU_DEP_1) | instskip(NEXT) | instid1(VALU_DEP_1)
	v_sub_nc_u32_e32 v79, v78, v80
	v_lshrrev_b32_e32 v79, 1, v79
	s_delay_alu instid0(VALU_DEP_1) | instskip(NEXT) | instid1(VALU_DEP_1)
	v_add_nc_u32_e32 v79, v79, v80
	v_not_b32_e32 v81, v79
	v_lshl_add_u32 v82, v79, 2, v24
	v_add_nc_u32_e32 v83, 1, v79
	s_delay_alu instid0(VALU_DEP_3)
	v_lshl_add_u32 v81, v81, 2, v48
	ds_load_b32 v82, v82
	ds_load_b32 v81, v81
	s_wait_dscnt 0x0
	v_cmp_lt_i32_e64 s8, v81, v82
	s_wait_alu 0xf1ff
	s_delay_alu instid0(VALU_DEP_1) | instskip(SKIP_1) | instid1(VALU_DEP_1)
	v_cndmask_b32_e64 v78, v78, v79, s8
	v_cndmask_b32_e64 v80, v83, v80, s8
	v_cmp_ge_i32_e64 s8, v80, v78
	s_wait_alu 0xfffe
	s_or_b32 s10, s8, s10
	s_wait_alu 0xfffe
	s_and_not1_b32 exec_lo, exec_lo, s10
	s_cbranch_execnz .LBB39_100
; %bb.101:                              ;   in Loop: Header=BB39_2 Depth=1
	s_or_b32 exec_lo, exec_lo, s10
.LBB39_102:                             ;   in Loop: Header=BB39_2 Depth=1
	s_wait_alu 0xfffe
	s_or_b32 exec_lo, exec_lo, s9
	v_sub_nc_u32_e32 v82, v40, v80
	v_lshl_add_u32 v81, v80, 2, v24
	v_add_nc_u32_e32 v83, v80, v5
                                        ; implicit-def: $vgpr80
	s_delay_alu instid0(VALU_DEP_3) | instskip(SKIP_1) | instid1(VALU_DEP_3)
	v_lshlrev_b32_e32 v84, 2, v82
	v_cmp_gt_i32_e64 s10, v23, v82
	v_cmp_le_i32_e64 s8, v22, v83
	ds_load_b32 v78, v81
	ds_load_b32 v79, v84
	s_wait_dscnt 0x0
	v_cmp_lt_i32_e64 s9, v79, v78
	s_or_b32 s8, s8, s9
	s_wait_alu 0xfffe
	s_and_b32 s8, s10, s8
	s_wait_alu 0xfffe
	s_xor_b32 s9, s8, -1
	s_wait_alu 0xfffe
	s_and_saveexec_b32 s10, s9
	s_wait_alu 0xfffe
	s_xor_b32 s9, exec_lo, s10
; %bb.103:                              ;   in Loop: Header=BB39_2 Depth=1
	ds_load_b32 v80, v81 offset:4
                                        ; implicit-def: $vgpr84
; %bb.104:                              ;   in Loop: Header=BB39_2 Depth=1
	s_wait_alu 0xfffe
	s_or_saveexec_b32 s9, s9
	v_mov_b32_e32 v81, v79
	s_wait_alu 0xfffe
	s_xor_b32 exec_lo, exec_lo, s9
	s_cbranch_execz .LBB39_106
; %bb.105:                              ;   in Loop: Header=BB39_2 Depth=1
	ds_load_b32 v81, v84 offset:4
	s_wait_dscnt 0x1
	v_mov_b32_e32 v80, v78
.LBB39_106:                             ;   in Loop: Header=BB39_2 Depth=1
	s_or_b32 exec_lo, exec_lo, s9
	v_add_nc_u32_e32 v84, 1, v83
	v_add_nc_u32_e32 v85, 1, v82
	s_wait_dscnt 0x0
	v_cmp_lt_i32_e64 s10, v81, v80
	s_delay_alu instid0(VALU_DEP_3) | instskip(NEXT) | instid1(VALU_DEP_3)
	v_cndmask_b32_e64 v86, v84, v83, s8
	v_cndmask_b32_e64 v87, v82, v85, s8
                                        ; implicit-def: $vgpr84
	s_delay_alu instid0(VALU_DEP_2) | instskip(NEXT) | instid1(VALU_DEP_2)
	v_cmp_ge_i32_e64 s9, v86, v22
	v_cmp_lt_i32_e64 s11, v87, v23
	s_or_b32 s9, s9, s10
	s_wait_alu 0xfffe
	s_and_b32 s9, s11, s9
	s_wait_alu 0xfffe
	s_xor_b32 s10, s9, -1
	s_wait_alu 0xfffe
	s_and_saveexec_b32 s11, s10
	s_wait_alu 0xfffe
	s_xor_b32 s10, exec_lo, s11
; %bb.107:                              ;   in Loop: Header=BB39_2 Depth=1
	v_lshlrev_b32_e32 v84, 2, v86
	ds_load_b32 v84, v84 offset:4
; %bb.108:                              ;   in Loop: Header=BB39_2 Depth=1
	s_wait_alu 0xfffe
	s_or_saveexec_b32 s10, s10
	v_mov_b32_e32 v85, v81
	s_wait_alu 0xfffe
	s_xor_b32 exec_lo, exec_lo, s10
	s_cbranch_execz .LBB39_110
; %bb.109:                              ;   in Loop: Header=BB39_2 Depth=1
	s_wait_dscnt 0x0
	v_lshlrev_b32_e32 v84, 2, v87
	ds_load_b32 v85, v84 offset:4
	v_mov_b32_e32 v84, v80
.LBB39_110:                             ;   in Loop: Header=BB39_2 Depth=1
	s_or_b32 exec_lo, exec_lo, s10
	v_add_nc_u32_e32 v88, 1, v86
	v_add_nc_u32_e32 v89, 1, v87
	s_wait_dscnt 0x0
	v_cmp_lt_i32_e64 s11, v85, v84
	s_delay_alu instid0(VALU_DEP_3) | instskip(NEXT) | instid1(VALU_DEP_3)
	v_cndmask_b32_e64 v90, v88, v86, s9
	v_cndmask_b32_e64 v91, v87, v89, s9
                                        ; implicit-def: $vgpr88
	s_delay_alu instid0(VALU_DEP_2) | instskip(NEXT) | instid1(VALU_DEP_2)
	v_cmp_ge_i32_e64 s10, v90, v22
	v_cmp_lt_i32_e64 s12, v91, v23
	s_or_b32 s10, s10, s11
	s_wait_alu 0xfffe
	s_and_b32 s10, s12, s10
	s_wait_alu 0xfffe
	s_xor_b32 s11, s10, -1
	s_wait_alu 0xfffe
	s_and_saveexec_b32 s12, s11
	s_wait_alu 0xfffe
	s_xor_b32 s11, exec_lo, s12
; %bb.111:                              ;   in Loop: Header=BB39_2 Depth=1
	v_lshlrev_b32_e32 v88, 2, v90
	ds_load_b32 v88, v88 offset:4
; %bb.112:                              ;   in Loop: Header=BB39_2 Depth=1
	s_wait_alu 0xfffe
	s_or_saveexec_b32 s11, s11
	v_mov_b32_e32 v89, v85
	s_wait_alu 0xfffe
	s_xor_b32 exec_lo, exec_lo, s11
	s_cbranch_execz .LBB39_114
; %bb.113:                              ;   in Loop: Header=BB39_2 Depth=1
	s_wait_dscnt 0x0
	v_lshlrev_b32_e32 v88, 2, v91
	ds_load_b32 v89, v88 offset:4
	v_mov_b32_e32 v88, v84
.LBB39_114:                             ;   in Loop: Header=BB39_2 Depth=1
	s_or_b32 exec_lo, exec_lo, s11
	v_add_nc_u32_e32 v92, 1, v90
	v_add_nc_u32_e32 v93, 1, v91
	s_wait_dscnt 0x0
	v_cmp_lt_i32_e64 s12, v89, v88
	s_delay_alu instid0(VALU_DEP_3) | instskip(NEXT) | instid1(VALU_DEP_3)
	v_cndmask_b32_e64 v95, v92, v90, s10
	v_cndmask_b32_e64 v96, v91, v93, s10
                                        ; implicit-def: $vgpr92
	s_delay_alu instid0(VALU_DEP_2) | instskip(NEXT) | instid1(VALU_DEP_2)
	v_cmp_ge_i32_e64 s11, v95, v22
	v_cmp_lt_i32_e64 s13, v96, v23
	s_or_b32 s11, s11, s12
	s_wait_alu 0xfffe
	s_and_b32 s11, s13, s11
	s_wait_alu 0xfffe
	s_xor_b32 s12, s11, -1
	s_wait_alu 0xfffe
	s_and_saveexec_b32 s13, s12
	s_wait_alu 0xfffe
	s_xor_b32 s12, exec_lo, s13
; %bb.115:                              ;   in Loop: Header=BB39_2 Depth=1
	v_lshlrev_b32_e32 v92, 2, v95
	ds_load_b32 v92, v92 offset:4
; %bb.116:                              ;   in Loop: Header=BB39_2 Depth=1
	s_wait_alu 0xfffe
	s_or_saveexec_b32 s12, s12
	v_mov_b32_e32 v93, v89
	s_wait_alu 0xfffe
	s_xor_b32 exec_lo, exec_lo, s12
	s_cbranch_execz .LBB39_118
; %bb.117:                              ;   in Loop: Header=BB39_2 Depth=1
	s_wait_dscnt 0x0
	v_lshlrev_b32_e32 v92, 2, v96
	ds_load_b32 v93, v92 offset:4
	v_mov_b32_e32 v92, v88
.LBB39_118:                             ;   in Loop: Header=BB39_2 Depth=1
	s_or_b32 exec_lo, exec_lo, s12
	v_add_nc_u32_e32 v94, 1, v95
	v_add_nc_u32_e32 v97, 1, v96
	s_wait_dscnt 0x0
	v_cmp_lt_i32_e64 s13, v93, v92
	s_delay_alu instid0(VALU_DEP_3) | instskip(NEXT) | instid1(VALU_DEP_3)
	v_cndmask_b32_e64 v98, v94, v95, s11
	v_cndmask_b32_e64 v99, v96, v97, s11
                                        ; implicit-def: $vgpr94
	s_delay_alu instid0(VALU_DEP_2) | instskip(NEXT) | instid1(VALU_DEP_2)
	v_cmp_ge_i32_e64 s12, v98, v22
	v_cmp_lt_i32_e64 s14, v99, v23
	s_or_b32 s12, s12, s13
	s_wait_alu 0xfffe
	s_and_b32 s12, s14, s12
	s_wait_alu 0xfffe
	s_xor_b32 s13, s12, -1
	s_wait_alu 0xfffe
	s_and_saveexec_b32 s14, s13
	s_wait_alu 0xfffe
	s_xor_b32 s13, exec_lo, s14
; %bb.119:                              ;   in Loop: Header=BB39_2 Depth=1
	v_lshlrev_b32_e32 v94, 2, v98
	ds_load_b32 v94, v94 offset:4
; %bb.120:                              ;   in Loop: Header=BB39_2 Depth=1
	s_wait_alu 0xfffe
	s_or_saveexec_b32 s13, s13
	v_mov_b32_e32 v97, v93
	s_wait_alu 0xfffe
	s_xor_b32 exec_lo, exec_lo, s13
	s_cbranch_execz .LBB39_122
; %bb.121:                              ;   in Loop: Header=BB39_2 Depth=1
	s_wait_dscnt 0x0
	v_lshlrev_b32_e32 v94, 2, v99
	ds_load_b32 v97, v94 offset:4
	v_mov_b32_e32 v94, v92
.LBB39_122:                             ;   in Loop: Header=BB39_2 Depth=1
	s_or_b32 exec_lo, exec_lo, s13
	v_add_nc_u32_e32 v100, 1, v98
	v_add_nc_u32_e32 v101, 1, v99
	s_wait_dscnt 0x0
	v_cmp_lt_i32_e64 s14, v97, v94
                                        ; implicit-def: $vgpr102
	s_delay_alu instid0(VALU_DEP_3) | instskip(NEXT) | instid1(VALU_DEP_3)
	v_cndmask_b32_e64 v100, v100, v98, s12
	v_cndmask_b32_e64 v101, v99, v101, s12
	s_delay_alu instid0(VALU_DEP_2) | instskip(NEXT) | instid1(VALU_DEP_2)
	v_cmp_ge_i32_e64 s13, v100, v22
	v_cmp_lt_i32_e64 s15, v101, v23
	s_or_b32 s13, s13, s14
	s_wait_alu 0xfffe
	s_and_b32 s13, s15, s13
	s_wait_alu 0xfffe
	s_xor_b32 s14, s13, -1
	s_wait_alu 0xfffe
	s_and_saveexec_b32 s15, s14
	s_wait_alu 0xfffe
	s_xor_b32 s14, exec_lo, s15
; %bb.123:                              ;   in Loop: Header=BB39_2 Depth=1
	v_lshlrev_b32_e32 v102, 2, v100
	ds_load_b32 v102, v102 offset:4
; %bb.124:                              ;   in Loop: Header=BB39_2 Depth=1
	s_wait_alu 0xfffe
	s_or_saveexec_b32 s14, s14
	v_mov_b32_e32 v104, v97
	s_wait_alu 0xfffe
	s_xor_b32 exec_lo, exec_lo, s14
	s_cbranch_execz .LBB39_126
; %bb.125:                              ;   in Loop: Header=BB39_2 Depth=1
	s_wait_dscnt 0x0
	v_lshlrev_b32_e32 v102, 2, v101
	ds_load_b32 v104, v102 offset:4
	v_mov_b32_e32 v102, v94
.LBB39_126:                             ;   in Loop: Header=BB39_2 Depth=1
	s_or_b32 exec_lo, exec_lo, s14
	v_add_nc_u32_e32 v103, 1, v100
	v_add_nc_u32_e32 v105, 1, v101
	s_wait_dscnt 0x0
	v_cmp_lt_i32_e64 s15, v104, v102
	s_delay_alu instid0(VALU_DEP_3) | instskip(NEXT) | instid1(VALU_DEP_3)
	v_cndmask_b32_e64 v106, v103, v100, s13
	v_cndmask_b32_e64 v105, v101, v105, s13
                                        ; implicit-def: $vgpr103
	s_delay_alu instid0(VALU_DEP_2) | instskip(NEXT) | instid1(VALU_DEP_2)
	v_cmp_ge_i32_e64 s14, v106, v22
	v_cmp_lt_i32_e64 s16, v105, v23
	s_or_b32 s14, s14, s15
	s_wait_alu 0xfffe
	s_and_b32 s14, s16, s14
	s_wait_alu 0xfffe
	s_xor_b32 s15, s14, -1
	s_wait_alu 0xfffe
	s_and_saveexec_b32 s16, s15
	s_wait_alu 0xfffe
	s_xor_b32 s15, exec_lo, s16
; %bb.127:                              ;   in Loop: Header=BB39_2 Depth=1
	v_lshlrev_b32_e32 v103, 2, v106
	ds_load_b32 v103, v103 offset:4
; %bb.128:                              ;   in Loop: Header=BB39_2 Depth=1
	s_wait_alu 0xfffe
	s_or_saveexec_b32 s15, s15
	v_mov_b32_e32 v107, v104
	s_wait_alu 0xfffe
	s_xor_b32 exec_lo, exec_lo, s15
	s_cbranch_execz .LBB39_130
; %bb.129:                              ;   in Loop: Header=BB39_2 Depth=1
	s_wait_dscnt 0x0
	v_lshlrev_b32_e32 v103, 2, v105
	ds_load_b32 v107, v103 offset:4
	v_mov_b32_e32 v103, v102
.LBB39_130:                             ;   in Loop: Header=BB39_2 Depth=1
	s_or_b32 exec_lo, exec_lo, s15
	v_add_nc_u32_e32 v108, 1, v106
	v_cndmask_b32_e64 v102, v102, v104, s14
	v_add_nc_u32_e32 v104, 1, v105
	v_cndmask_b32_e64 v100, v100, v101, s13
	v_cndmask_b32_e64 v98, v98, v99, s12
	v_cndmask_b32_e64 v101, v108, v106, s14
	v_cndmask_b32_e64 v109, v106, v105, s14
	v_cndmask_b32_e64 v99, v105, v104, s14
	s_wait_dscnt 0x0
	v_cmp_lt_i32_e64 s14, v107, v103
	v_cndmask_b32_e64 v82, v83, v82, s8
	v_cmp_ge_i32_e64 s15, v101, v22
	v_cndmask_b32_e64 v86, v86, v87, s9
	v_cmp_lt_i32_e64 s16, v99, v23
	v_cndmask_b32_e64 v90, v90, v91, s10
	v_cndmask_b32_e64 v95, v95, v96, s11
	s_or_b32 s14, s15, s14
	s_wait_loadcnt 0x0
	s_wait_alu 0xfffe
	s_and_b32 s14, s16, s14
	s_barrier_signal -1
	s_wait_alu 0xfffe
	v_cndmask_b32_e64 v87, v101, v99, s14
	s_barrier_wait -1
	global_inv scope:SCOPE_SE
	ds_store_2addr_b32 v1, v70, v71 offset1:1
	ds_store_2addr_b32 v1, v72, v73 offset0:2 offset1:3
	ds_store_2addr_b32 v1, v74, v75 offset0:4 offset1:5
	;; [unrolled: 1-line block ×3, first 2 shown]
	v_lshlrev_b32_e32 v70, 2, v82
	v_lshlrev_b32_e32 v71, 2, v86
	;; [unrolled: 1-line block ×8, first 2 shown]
	s_wait_loadcnt_dscnt 0x0
	s_barrier_signal -1
	s_barrier_wait -1
	global_inv scope:SCOPE_SE
	ds_load_b32 v70, v70
	ds_load_b32 v71, v71
	ds_load_b32 v72, v72
	ds_load_b32 v73, v73
	ds_load_b32 v74, v74
	ds_load_b32 v75, v75
	ds_load_b32 v76, v76
	ds_load_b32 v77, v77
	v_cndmask_b32_e64 v80, v80, v81, s9
	v_cndmask_b32_e64 v78, v78, v79, s8
	;; [unrolled: 1-line block ×7, first 2 shown]
	s_wait_loadcnt_dscnt 0x0
	s_barrier_signal -1
	s_barrier_wait -1
	global_inv scope:SCOPE_SE
	ds_store_2addr_b32 v1, v78, v80 offset1:1
	ds_store_2addr_b32 v1, v84, v87 offset0:2 offset1:3
	ds_store_2addr_b32 v1, v86, v82 offset0:4 offset1:5
	;; [unrolled: 1-line block ×3, first 2 shown]
	v_mov_b32_e32 v80, v65
	s_wait_loadcnt_dscnt 0x0
	s_barrier_signal -1
	s_barrier_wait -1
	global_inv scope:SCOPE_SE
	s_and_saveexec_b32 s9, s4
	s_cbranch_execz .LBB39_134
; %bb.131:                              ;   in Loop: Header=BB39_2 Depth=1
	v_mov_b32_e32 v80, v65
	v_mov_b32_e32 v78, v57
	s_mov_b32 s10, 0
.LBB39_132:                             ;   Parent Loop BB39_2 Depth=1
                                        ; =>  This Inner Loop Header: Depth=2
	s_delay_alu instid0(VALU_DEP_1) | instskip(NEXT) | instid1(VALU_DEP_1)
	v_sub_nc_u32_e32 v79, v78, v80
	v_lshrrev_b32_e32 v79, 1, v79
	s_delay_alu instid0(VALU_DEP_1) | instskip(NEXT) | instid1(VALU_DEP_1)
	v_add_nc_u32_e32 v79, v79, v80
	v_not_b32_e32 v81, v79
	v_lshl_add_u32 v82, v79, 2, v27
	v_add_nc_u32_e32 v83, 1, v79
	s_delay_alu instid0(VALU_DEP_3)
	v_lshl_add_u32 v81, v81, 2, v49
	ds_load_b32 v82, v82
	ds_load_b32 v81, v81
	s_wait_dscnt 0x0
	v_cmp_lt_i32_e64 s8, v81, v82
	s_wait_alu 0xf1ff
	s_delay_alu instid0(VALU_DEP_1) | instskip(SKIP_1) | instid1(VALU_DEP_1)
	v_cndmask_b32_e64 v78, v78, v79, s8
	v_cndmask_b32_e64 v80, v83, v80, s8
	v_cmp_ge_i32_e64 s8, v80, v78
	s_wait_alu 0xfffe
	s_or_b32 s10, s8, s10
	s_wait_alu 0xfffe
	s_and_not1_b32 exec_lo, exec_lo, s10
	s_cbranch_execnz .LBB39_132
; %bb.133:                              ;   in Loop: Header=BB39_2 Depth=1
	s_or_b32 exec_lo, exec_lo, s10
.LBB39_134:                             ;   in Loop: Header=BB39_2 Depth=1
	s_wait_alu 0xfffe
	s_or_b32 exec_lo, exec_lo, s9
	v_sub_nc_u32_e32 v82, v41, v80
	v_lshl_add_u32 v81, v80, 2, v27
	v_add_nc_u32_e32 v83, v80, v6
                                        ; implicit-def: $vgpr80
	s_delay_alu instid0(VALU_DEP_3) | instskip(SKIP_1) | instid1(VALU_DEP_3)
	v_lshlrev_b32_e32 v84, 2, v82
	v_cmp_gt_i32_e64 s10, v26, v82
	v_cmp_le_i32_e64 s8, v25, v83
	ds_load_b32 v78, v81
	ds_load_b32 v79, v84
	s_wait_dscnt 0x0
	v_cmp_lt_i32_e64 s9, v79, v78
	s_or_b32 s8, s8, s9
	s_wait_alu 0xfffe
	s_and_b32 s8, s10, s8
	s_wait_alu 0xfffe
	s_xor_b32 s9, s8, -1
	s_wait_alu 0xfffe
	s_and_saveexec_b32 s10, s9
	s_wait_alu 0xfffe
	s_xor_b32 s9, exec_lo, s10
; %bb.135:                              ;   in Loop: Header=BB39_2 Depth=1
	ds_load_b32 v80, v81 offset:4
                                        ; implicit-def: $vgpr84
; %bb.136:                              ;   in Loop: Header=BB39_2 Depth=1
	s_wait_alu 0xfffe
	s_or_saveexec_b32 s9, s9
	v_mov_b32_e32 v81, v79
	s_wait_alu 0xfffe
	s_xor_b32 exec_lo, exec_lo, s9
	s_cbranch_execz .LBB39_138
; %bb.137:                              ;   in Loop: Header=BB39_2 Depth=1
	ds_load_b32 v81, v84 offset:4
	s_wait_dscnt 0x1
	v_mov_b32_e32 v80, v78
.LBB39_138:                             ;   in Loop: Header=BB39_2 Depth=1
	s_or_b32 exec_lo, exec_lo, s9
	v_add_nc_u32_e32 v84, 1, v83
	v_add_nc_u32_e32 v85, 1, v82
	s_wait_dscnt 0x0
	v_cmp_lt_i32_e64 s10, v81, v80
	s_delay_alu instid0(VALU_DEP_3) | instskip(NEXT) | instid1(VALU_DEP_3)
	v_cndmask_b32_e64 v86, v84, v83, s8
	v_cndmask_b32_e64 v87, v82, v85, s8
                                        ; implicit-def: $vgpr84
	s_delay_alu instid0(VALU_DEP_2) | instskip(NEXT) | instid1(VALU_DEP_2)
	v_cmp_ge_i32_e64 s9, v86, v25
	v_cmp_lt_i32_e64 s11, v87, v26
	s_or_b32 s9, s9, s10
	s_wait_alu 0xfffe
	s_and_b32 s9, s11, s9
	s_wait_alu 0xfffe
	s_xor_b32 s10, s9, -1
	s_wait_alu 0xfffe
	s_and_saveexec_b32 s11, s10
	s_wait_alu 0xfffe
	s_xor_b32 s10, exec_lo, s11
; %bb.139:                              ;   in Loop: Header=BB39_2 Depth=1
	v_lshlrev_b32_e32 v84, 2, v86
	ds_load_b32 v84, v84 offset:4
; %bb.140:                              ;   in Loop: Header=BB39_2 Depth=1
	s_wait_alu 0xfffe
	s_or_saveexec_b32 s10, s10
	v_mov_b32_e32 v85, v81
	s_wait_alu 0xfffe
	s_xor_b32 exec_lo, exec_lo, s10
	s_cbranch_execz .LBB39_142
; %bb.141:                              ;   in Loop: Header=BB39_2 Depth=1
	s_wait_dscnt 0x0
	v_lshlrev_b32_e32 v84, 2, v87
	ds_load_b32 v85, v84 offset:4
	v_mov_b32_e32 v84, v80
.LBB39_142:                             ;   in Loop: Header=BB39_2 Depth=1
	s_or_b32 exec_lo, exec_lo, s10
	v_add_nc_u32_e32 v88, 1, v86
	v_add_nc_u32_e32 v89, 1, v87
	s_wait_dscnt 0x0
	v_cmp_lt_i32_e64 s11, v85, v84
	s_delay_alu instid0(VALU_DEP_3) | instskip(NEXT) | instid1(VALU_DEP_3)
	v_cndmask_b32_e64 v90, v88, v86, s9
	v_cndmask_b32_e64 v91, v87, v89, s9
                                        ; implicit-def: $vgpr88
	s_delay_alu instid0(VALU_DEP_2) | instskip(NEXT) | instid1(VALU_DEP_2)
	v_cmp_ge_i32_e64 s10, v90, v25
	v_cmp_lt_i32_e64 s12, v91, v26
	s_or_b32 s10, s10, s11
	s_wait_alu 0xfffe
	s_and_b32 s10, s12, s10
	s_wait_alu 0xfffe
	s_xor_b32 s11, s10, -1
	s_wait_alu 0xfffe
	s_and_saveexec_b32 s12, s11
	s_wait_alu 0xfffe
	s_xor_b32 s11, exec_lo, s12
; %bb.143:                              ;   in Loop: Header=BB39_2 Depth=1
	v_lshlrev_b32_e32 v88, 2, v90
	ds_load_b32 v88, v88 offset:4
; %bb.144:                              ;   in Loop: Header=BB39_2 Depth=1
	s_wait_alu 0xfffe
	s_or_saveexec_b32 s11, s11
	v_mov_b32_e32 v89, v85
	s_wait_alu 0xfffe
	s_xor_b32 exec_lo, exec_lo, s11
	s_cbranch_execz .LBB39_146
; %bb.145:                              ;   in Loop: Header=BB39_2 Depth=1
	s_wait_dscnt 0x0
	v_lshlrev_b32_e32 v88, 2, v91
	ds_load_b32 v89, v88 offset:4
	v_mov_b32_e32 v88, v84
.LBB39_146:                             ;   in Loop: Header=BB39_2 Depth=1
	s_or_b32 exec_lo, exec_lo, s11
	v_add_nc_u32_e32 v92, 1, v90
	v_add_nc_u32_e32 v93, 1, v91
	s_wait_dscnt 0x0
	v_cmp_lt_i32_e64 s12, v89, v88
	s_delay_alu instid0(VALU_DEP_3) | instskip(NEXT) | instid1(VALU_DEP_3)
	v_cndmask_b32_e64 v95, v92, v90, s10
	v_cndmask_b32_e64 v96, v91, v93, s10
                                        ; implicit-def: $vgpr92
	s_delay_alu instid0(VALU_DEP_2) | instskip(NEXT) | instid1(VALU_DEP_2)
	v_cmp_ge_i32_e64 s11, v95, v25
	v_cmp_lt_i32_e64 s13, v96, v26
	s_or_b32 s11, s11, s12
	s_wait_alu 0xfffe
	s_and_b32 s11, s13, s11
	s_wait_alu 0xfffe
	s_xor_b32 s12, s11, -1
	s_wait_alu 0xfffe
	s_and_saveexec_b32 s13, s12
	s_wait_alu 0xfffe
	s_xor_b32 s12, exec_lo, s13
; %bb.147:                              ;   in Loop: Header=BB39_2 Depth=1
	v_lshlrev_b32_e32 v92, 2, v95
	ds_load_b32 v92, v92 offset:4
; %bb.148:                              ;   in Loop: Header=BB39_2 Depth=1
	s_wait_alu 0xfffe
	s_or_saveexec_b32 s12, s12
	v_mov_b32_e32 v93, v89
	s_wait_alu 0xfffe
	s_xor_b32 exec_lo, exec_lo, s12
	s_cbranch_execz .LBB39_150
; %bb.149:                              ;   in Loop: Header=BB39_2 Depth=1
	s_wait_dscnt 0x0
	v_lshlrev_b32_e32 v92, 2, v96
	ds_load_b32 v93, v92 offset:4
	v_mov_b32_e32 v92, v88
.LBB39_150:                             ;   in Loop: Header=BB39_2 Depth=1
	s_or_b32 exec_lo, exec_lo, s12
	v_add_nc_u32_e32 v94, 1, v95
	v_add_nc_u32_e32 v97, 1, v96
	s_wait_dscnt 0x0
	v_cmp_lt_i32_e64 s13, v93, v92
	s_delay_alu instid0(VALU_DEP_3) | instskip(NEXT) | instid1(VALU_DEP_3)
	v_cndmask_b32_e64 v98, v94, v95, s11
	v_cndmask_b32_e64 v99, v96, v97, s11
                                        ; implicit-def: $vgpr94
	s_delay_alu instid0(VALU_DEP_2) | instskip(NEXT) | instid1(VALU_DEP_2)
	v_cmp_ge_i32_e64 s12, v98, v25
	v_cmp_lt_i32_e64 s14, v99, v26
	s_or_b32 s12, s12, s13
	s_wait_alu 0xfffe
	s_and_b32 s12, s14, s12
	s_wait_alu 0xfffe
	s_xor_b32 s13, s12, -1
	s_wait_alu 0xfffe
	s_and_saveexec_b32 s14, s13
	s_wait_alu 0xfffe
	s_xor_b32 s13, exec_lo, s14
; %bb.151:                              ;   in Loop: Header=BB39_2 Depth=1
	v_lshlrev_b32_e32 v94, 2, v98
	ds_load_b32 v94, v94 offset:4
; %bb.152:                              ;   in Loop: Header=BB39_2 Depth=1
	s_wait_alu 0xfffe
	s_or_saveexec_b32 s13, s13
	v_mov_b32_e32 v97, v93
	s_wait_alu 0xfffe
	s_xor_b32 exec_lo, exec_lo, s13
	s_cbranch_execz .LBB39_154
; %bb.153:                              ;   in Loop: Header=BB39_2 Depth=1
	s_wait_dscnt 0x0
	v_lshlrev_b32_e32 v94, 2, v99
	ds_load_b32 v97, v94 offset:4
	v_mov_b32_e32 v94, v92
.LBB39_154:                             ;   in Loop: Header=BB39_2 Depth=1
	s_or_b32 exec_lo, exec_lo, s13
	v_add_nc_u32_e32 v100, 1, v98
	v_add_nc_u32_e32 v101, 1, v99
	s_wait_dscnt 0x0
	v_cmp_lt_i32_e64 s14, v97, v94
                                        ; implicit-def: $vgpr102
	s_delay_alu instid0(VALU_DEP_3) | instskip(NEXT) | instid1(VALU_DEP_3)
	v_cndmask_b32_e64 v100, v100, v98, s12
	v_cndmask_b32_e64 v101, v99, v101, s12
	s_delay_alu instid0(VALU_DEP_2) | instskip(NEXT) | instid1(VALU_DEP_2)
	v_cmp_ge_i32_e64 s13, v100, v25
	v_cmp_lt_i32_e64 s15, v101, v26
	s_or_b32 s13, s13, s14
	s_wait_alu 0xfffe
	s_and_b32 s13, s15, s13
	s_wait_alu 0xfffe
	s_xor_b32 s14, s13, -1
	s_wait_alu 0xfffe
	s_and_saveexec_b32 s15, s14
	s_wait_alu 0xfffe
	s_xor_b32 s14, exec_lo, s15
; %bb.155:                              ;   in Loop: Header=BB39_2 Depth=1
	v_lshlrev_b32_e32 v102, 2, v100
	ds_load_b32 v102, v102 offset:4
; %bb.156:                              ;   in Loop: Header=BB39_2 Depth=1
	s_wait_alu 0xfffe
	s_or_saveexec_b32 s14, s14
	v_mov_b32_e32 v104, v97
	s_wait_alu 0xfffe
	s_xor_b32 exec_lo, exec_lo, s14
	s_cbranch_execz .LBB39_158
; %bb.157:                              ;   in Loop: Header=BB39_2 Depth=1
	s_wait_dscnt 0x0
	v_lshlrev_b32_e32 v102, 2, v101
	ds_load_b32 v104, v102 offset:4
	v_mov_b32_e32 v102, v94
.LBB39_158:                             ;   in Loop: Header=BB39_2 Depth=1
	s_or_b32 exec_lo, exec_lo, s14
	v_add_nc_u32_e32 v103, 1, v100
	v_add_nc_u32_e32 v105, 1, v101
	s_wait_dscnt 0x0
	v_cmp_lt_i32_e64 s15, v104, v102
	s_delay_alu instid0(VALU_DEP_3) | instskip(NEXT) | instid1(VALU_DEP_3)
	v_cndmask_b32_e64 v106, v103, v100, s13
	v_cndmask_b32_e64 v105, v101, v105, s13
                                        ; implicit-def: $vgpr103
	s_delay_alu instid0(VALU_DEP_2) | instskip(NEXT) | instid1(VALU_DEP_2)
	v_cmp_ge_i32_e64 s14, v106, v25
	v_cmp_lt_i32_e64 s16, v105, v26
	s_or_b32 s14, s14, s15
	s_wait_alu 0xfffe
	s_and_b32 s14, s16, s14
	s_wait_alu 0xfffe
	s_xor_b32 s15, s14, -1
	s_wait_alu 0xfffe
	s_and_saveexec_b32 s16, s15
	s_wait_alu 0xfffe
	s_xor_b32 s15, exec_lo, s16
; %bb.159:                              ;   in Loop: Header=BB39_2 Depth=1
	v_lshlrev_b32_e32 v103, 2, v106
	ds_load_b32 v103, v103 offset:4
; %bb.160:                              ;   in Loop: Header=BB39_2 Depth=1
	s_wait_alu 0xfffe
	s_or_saveexec_b32 s15, s15
	v_mov_b32_e32 v107, v104
	s_wait_alu 0xfffe
	s_xor_b32 exec_lo, exec_lo, s15
	s_cbranch_execz .LBB39_162
; %bb.161:                              ;   in Loop: Header=BB39_2 Depth=1
	s_wait_dscnt 0x0
	v_lshlrev_b32_e32 v103, 2, v105
	ds_load_b32 v107, v103 offset:4
	v_mov_b32_e32 v103, v102
.LBB39_162:                             ;   in Loop: Header=BB39_2 Depth=1
	s_or_b32 exec_lo, exec_lo, s15
	v_add_nc_u32_e32 v108, 1, v106
	v_cndmask_b32_e64 v102, v102, v104, s14
	v_add_nc_u32_e32 v104, 1, v105
	v_cndmask_b32_e64 v100, v100, v101, s13
	v_cndmask_b32_e64 v98, v98, v99, s12
	;; [unrolled: 1-line block ×5, first 2 shown]
	s_wait_dscnt 0x0
	v_cmp_lt_i32_e64 s14, v107, v103
	v_cndmask_b32_e64 v82, v83, v82, s8
	v_cmp_ge_i32_e64 s15, v101, v25
	v_cndmask_b32_e64 v86, v86, v87, s9
	v_cmp_lt_i32_e64 s16, v99, v26
	v_cndmask_b32_e64 v90, v90, v91, s10
	v_cndmask_b32_e64 v95, v95, v96, s11
	s_or_b32 s14, s15, s14
	s_wait_loadcnt 0x0
	s_wait_alu 0xfffe
	s_and_b32 s14, s16, s14
	s_barrier_signal -1
	s_wait_alu 0xfffe
	v_cndmask_b32_e64 v87, v101, v99, s14
	s_barrier_wait -1
	global_inv scope:SCOPE_SE
	ds_store_2addr_b32 v1, v70, v71 offset1:1
	ds_store_2addr_b32 v1, v72, v73 offset0:2 offset1:3
	ds_store_2addr_b32 v1, v74, v75 offset0:4 offset1:5
	;; [unrolled: 1-line block ×3, first 2 shown]
	v_lshlrev_b32_e32 v70, 2, v82
	v_lshlrev_b32_e32 v71, 2, v86
	;; [unrolled: 1-line block ×8, first 2 shown]
	s_wait_loadcnt_dscnt 0x0
	s_barrier_signal -1
	s_barrier_wait -1
	global_inv scope:SCOPE_SE
	ds_load_b32 v70, v70
	ds_load_b32 v71, v71
	;; [unrolled: 1-line block ×8, first 2 shown]
	v_cndmask_b32_e64 v80, v80, v81, s9
	v_cndmask_b32_e64 v78, v78, v79, s8
	;; [unrolled: 1-line block ×7, first 2 shown]
	s_wait_loadcnt_dscnt 0x0
	s_barrier_signal -1
	s_barrier_wait -1
	global_inv scope:SCOPE_SE
	ds_store_2addr_b32 v1, v78, v80 offset1:1
	ds_store_2addr_b32 v1, v84, v87 offset0:2 offset1:3
	ds_store_2addr_b32 v1, v86, v82 offset0:4 offset1:5
	ds_store_2addr_b32 v1, v102, v83 offset0:6 offset1:7
	v_mov_b32_e32 v80, v66
	s_wait_loadcnt_dscnt 0x0
	s_barrier_signal -1
	s_barrier_wait -1
	global_inv scope:SCOPE_SE
	s_and_saveexec_b32 s9, s5
	s_cbranch_execz .LBB39_166
; %bb.163:                              ;   in Loop: Header=BB39_2 Depth=1
	v_mov_b32_e32 v80, v66
	v_mov_b32_e32 v78, v58
	s_mov_b32 s10, 0
.LBB39_164:                             ;   Parent Loop BB39_2 Depth=1
                                        ; =>  This Inner Loop Header: Depth=2
	s_delay_alu instid0(VALU_DEP_1) | instskip(NEXT) | instid1(VALU_DEP_1)
	v_sub_nc_u32_e32 v79, v78, v80
	v_lshrrev_b32_e32 v79, 1, v79
	s_delay_alu instid0(VALU_DEP_1) | instskip(NEXT) | instid1(VALU_DEP_1)
	v_add_nc_u32_e32 v79, v79, v80
	v_not_b32_e32 v81, v79
	v_lshl_add_u32 v82, v79, 2, v30
	v_add_nc_u32_e32 v83, 1, v79
	s_delay_alu instid0(VALU_DEP_3)
	v_lshl_add_u32 v81, v81, 2, v50
	ds_load_b32 v82, v82
	ds_load_b32 v81, v81
	s_wait_dscnt 0x0
	v_cmp_lt_i32_e64 s8, v81, v82
	s_wait_alu 0xf1ff
	s_delay_alu instid0(VALU_DEP_1) | instskip(SKIP_1) | instid1(VALU_DEP_1)
	v_cndmask_b32_e64 v78, v78, v79, s8
	v_cndmask_b32_e64 v80, v83, v80, s8
	v_cmp_ge_i32_e64 s8, v80, v78
	s_wait_alu 0xfffe
	s_or_b32 s10, s8, s10
	s_wait_alu 0xfffe
	s_and_not1_b32 exec_lo, exec_lo, s10
	s_cbranch_execnz .LBB39_164
; %bb.165:                              ;   in Loop: Header=BB39_2 Depth=1
	s_or_b32 exec_lo, exec_lo, s10
.LBB39_166:                             ;   in Loop: Header=BB39_2 Depth=1
	s_wait_alu 0xfffe
	s_or_b32 exec_lo, exec_lo, s9
	v_sub_nc_u32_e32 v82, v42, v80
	v_lshl_add_u32 v81, v80, 2, v30
	v_add_nc_u32_e32 v83, v80, v7
                                        ; implicit-def: $vgpr80
	s_delay_alu instid0(VALU_DEP_3) | instskip(SKIP_1) | instid1(VALU_DEP_3)
	v_lshlrev_b32_e32 v84, 2, v82
	v_cmp_gt_i32_e64 s10, v29, v82
	v_cmp_le_i32_e64 s8, v28, v83
	ds_load_b32 v78, v81
	ds_load_b32 v79, v84
	s_wait_dscnt 0x0
	v_cmp_lt_i32_e64 s9, v79, v78
	s_or_b32 s8, s8, s9
	s_wait_alu 0xfffe
	s_and_b32 s8, s10, s8
	s_wait_alu 0xfffe
	s_xor_b32 s9, s8, -1
	s_wait_alu 0xfffe
	s_and_saveexec_b32 s10, s9
	s_wait_alu 0xfffe
	s_xor_b32 s9, exec_lo, s10
; %bb.167:                              ;   in Loop: Header=BB39_2 Depth=1
	ds_load_b32 v80, v81 offset:4
                                        ; implicit-def: $vgpr84
; %bb.168:                              ;   in Loop: Header=BB39_2 Depth=1
	s_wait_alu 0xfffe
	s_or_saveexec_b32 s9, s9
	v_mov_b32_e32 v81, v79
	s_wait_alu 0xfffe
	s_xor_b32 exec_lo, exec_lo, s9
	s_cbranch_execz .LBB39_170
; %bb.169:                              ;   in Loop: Header=BB39_2 Depth=1
	ds_load_b32 v81, v84 offset:4
	s_wait_dscnt 0x1
	v_mov_b32_e32 v80, v78
.LBB39_170:                             ;   in Loop: Header=BB39_2 Depth=1
	s_or_b32 exec_lo, exec_lo, s9
	v_add_nc_u32_e32 v84, 1, v83
	v_add_nc_u32_e32 v85, 1, v82
	s_wait_dscnt 0x0
	v_cmp_lt_i32_e64 s10, v81, v80
	s_delay_alu instid0(VALU_DEP_3) | instskip(NEXT) | instid1(VALU_DEP_3)
	v_cndmask_b32_e64 v86, v84, v83, s8
	v_cndmask_b32_e64 v87, v82, v85, s8
                                        ; implicit-def: $vgpr84
	s_delay_alu instid0(VALU_DEP_2) | instskip(NEXT) | instid1(VALU_DEP_2)
	v_cmp_ge_i32_e64 s9, v86, v28
	v_cmp_lt_i32_e64 s11, v87, v29
	s_or_b32 s9, s9, s10
	s_wait_alu 0xfffe
	s_and_b32 s9, s11, s9
	s_wait_alu 0xfffe
	s_xor_b32 s10, s9, -1
	s_wait_alu 0xfffe
	s_and_saveexec_b32 s11, s10
	s_wait_alu 0xfffe
	s_xor_b32 s10, exec_lo, s11
; %bb.171:                              ;   in Loop: Header=BB39_2 Depth=1
	v_lshlrev_b32_e32 v84, 2, v86
	ds_load_b32 v84, v84 offset:4
; %bb.172:                              ;   in Loop: Header=BB39_2 Depth=1
	s_wait_alu 0xfffe
	s_or_saveexec_b32 s10, s10
	v_mov_b32_e32 v85, v81
	s_wait_alu 0xfffe
	s_xor_b32 exec_lo, exec_lo, s10
	s_cbranch_execz .LBB39_174
; %bb.173:                              ;   in Loop: Header=BB39_2 Depth=1
	s_wait_dscnt 0x0
	v_lshlrev_b32_e32 v84, 2, v87
	ds_load_b32 v85, v84 offset:4
	v_mov_b32_e32 v84, v80
.LBB39_174:                             ;   in Loop: Header=BB39_2 Depth=1
	s_or_b32 exec_lo, exec_lo, s10
	v_add_nc_u32_e32 v88, 1, v86
	v_add_nc_u32_e32 v89, 1, v87
	s_wait_dscnt 0x0
	v_cmp_lt_i32_e64 s11, v85, v84
	s_delay_alu instid0(VALU_DEP_3) | instskip(NEXT) | instid1(VALU_DEP_3)
	v_cndmask_b32_e64 v90, v88, v86, s9
	v_cndmask_b32_e64 v91, v87, v89, s9
                                        ; implicit-def: $vgpr88
	s_delay_alu instid0(VALU_DEP_2) | instskip(NEXT) | instid1(VALU_DEP_2)
	v_cmp_ge_i32_e64 s10, v90, v28
	v_cmp_lt_i32_e64 s12, v91, v29
	s_or_b32 s10, s10, s11
	s_wait_alu 0xfffe
	s_and_b32 s10, s12, s10
	s_wait_alu 0xfffe
	s_xor_b32 s11, s10, -1
	s_wait_alu 0xfffe
	s_and_saveexec_b32 s12, s11
	s_wait_alu 0xfffe
	s_xor_b32 s11, exec_lo, s12
; %bb.175:                              ;   in Loop: Header=BB39_2 Depth=1
	v_lshlrev_b32_e32 v88, 2, v90
	ds_load_b32 v88, v88 offset:4
; %bb.176:                              ;   in Loop: Header=BB39_2 Depth=1
	s_wait_alu 0xfffe
	s_or_saveexec_b32 s11, s11
	v_mov_b32_e32 v89, v85
	s_wait_alu 0xfffe
	s_xor_b32 exec_lo, exec_lo, s11
	s_cbranch_execz .LBB39_178
; %bb.177:                              ;   in Loop: Header=BB39_2 Depth=1
	s_wait_dscnt 0x0
	v_lshlrev_b32_e32 v88, 2, v91
	ds_load_b32 v89, v88 offset:4
	v_mov_b32_e32 v88, v84
.LBB39_178:                             ;   in Loop: Header=BB39_2 Depth=1
	s_or_b32 exec_lo, exec_lo, s11
	v_add_nc_u32_e32 v92, 1, v90
	v_add_nc_u32_e32 v93, 1, v91
	s_wait_dscnt 0x0
	v_cmp_lt_i32_e64 s12, v89, v88
	s_delay_alu instid0(VALU_DEP_3) | instskip(NEXT) | instid1(VALU_DEP_3)
	v_cndmask_b32_e64 v95, v92, v90, s10
	v_cndmask_b32_e64 v96, v91, v93, s10
                                        ; implicit-def: $vgpr92
	s_delay_alu instid0(VALU_DEP_2) | instskip(NEXT) | instid1(VALU_DEP_2)
	v_cmp_ge_i32_e64 s11, v95, v28
	v_cmp_lt_i32_e64 s13, v96, v29
	s_or_b32 s11, s11, s12
	s_wait_alu 0xfffe
	s_and_b32 s11, s13, s11
	s_wait_alu 0xfffe
	s_xor_b32 s12, s11, -1
	s_wait_alu 0xfffe
	s_and_saveexec_b32 s13, s12
	s_wait_alu 0xfffe
	s_xor_b32 s12, exec_lo, s13
; %bb.179:                              ;   in Loop: Header=BB39_2 Depth=1
	v_lshlrev_b32_e32 v92, 2, v95
	ds_load_b32 v92, v92 offset:4
; %bb.180:                              ;   in Loop: Header=BB39_2 Depth=1
	s_wait_alu 0xfffe
	s_or_saveexec_b32 s12, s12
	v_mov_b32_e32 v93, v89
	s_wait_alu 0xfffe
	s_xor_b32 exec_lo, exec_lo, s12
	s_cbranch_execz .LBB39_182
; %bb.181:                              ;   in Loop: Header=BB39_2 Depth=1
	s_wait_dscnt 0x0
	v_lshlrev_b32_e32 v92, 2, v96
	ds_load_b32 v93, v92 offset:4
	v_mov_b32_e32 v92, v88
.LBB39_182:                             ;   in Loop: Header=BB39_2 Depth=1
	s_or_b32 exec_lo, exec_lo, s12
	v_add_nc_u32_e32 v94, 1, v95
	v_add_nc_u32_e32 v97, 1, v96
	s_wait_dscnt 0x0
	v_cmp_lt_i32_e64 s13, v93, v92
	s_delay_alu instid0(VALU_DEP_3) | instskip(NEXT) | instid1(VALU_DEP_3)
	v_cndmask_b32_e64 v98, v94, v95, s11
	v_cndmask_b32_e64 v99, v96, v97, s11
                                        ; implicit-def: $vgpr94
	s_delay_alu instid0(VALU_DEP_2) | instskip(NEXT) | instid1(VALU_DEP_2)
	v_cmp_ge_i32_e64 s12, v98, v28
	v_cmp_lt_i32_e64 s14, v99, v29
	s_or_b32 s12, s12, s13
	s_wait_alu 0xfffe
	s_and_b32 s12, s14, s12
	s_wait_alu 0xfffe
	s_xor_b32 s13, s12, -1
	s_wait_alu 0xfffe
	s_and_saveexec_b32 s14, s13
	s_wait_alu 0xfffe
	s_xor_b32 s13, exec_lo, s14
; %bb.183:                              ;   in Loop: Header=BB39_2 Depth=1
	v_lshlrev_b32_e32 v94, 2, v98
	ds_load_b32 v94, v94 offset:4
; %bb.184:                              ;   in Loop: Header=BB39_2 Depth=1
	s_wait_alu 0xfffe
	s_or_saveexec_b32 s13, s13
	v_mov_b32_e32 v97, v93
	s_wait_alu 0xfffe
	s_xor_b32 exec_lo, exec_lo, s13
	s_cbranch_execz .LBB39_186
; %bb.185:                              ;   in Loop: Header=BB39_2 Depth=1
	s_wait_dscnt 0x0
	v_lshlrev_b32_e32 v94, 2, v99
	ds_load_b32 v97, v94 offset:4
	v_mov_b32_e32 v94, v92
.LBB39_186:                             ;   in Loop: Header=BB39_2 Depth=1
	s_or_b32 exec_lo, exec_lo, s13
	v_add_nc_u32_e32 v100, 1, v98
	v_add_nc_u32_e32 v101, 1, v99
	s_wait_dscnt 0x0
	v_cmp_lt_i32_e64 s14, v97, v94
                                        ; implicit-def: $vgpr102
	s_delay_alu instid0(VALU_DEP_3) | instskip(NEXT) | instid1(VALU_DEP_3)
	v_cndmask_b32_e64 v100, v100, v98, s12
	v_cndmask_b32_e64 v101, v99, v101, s12
	s_delay_alu instid0(VALU_DEP_2) | instskip(NEXT) | instid1(VALU_DEP_2)
	v_cmp_ge_i32_e64 s13, v100, v28
	v_cmp_lt_i32_e64 s15, v101, v29
	s_or_b32 s13, s13, s14
	s_wait_alu 0xfffe
	s_and_b32 s13, s15, s13
	s_wait_alu 0xfffe
	s_xor_b32 s14, s13, -1
	s_wait_alu 0xfffe
	s_and_saveexec_b32 s15, s14
	s_wait_alu 0xfffe
	s_xor_b32 s14, exec_lo, s15
; %bb.187:                              ;   in Loop: Header=BB39_2 Depth=1
	v_lshlrev_b32_e32 v102, 2, v100
	ds_load_b32 v102, v102 offset:4
; %bb.188:                              ;   in Loop: Header=BB39_2 Depth=1
	s_wait_alu 0xfffe
	s_or_saveexec_b32 s14, s14
	v_mov_b32_e32 v104, v97
	s_wait_alu 0xfffe
	s_xor_b32 exec_lo, exec_lo, s14
	s_cbranch_execz .LBB39_190
; %bb.189:                              ;   in Loop: Header=BB39_2 Depth=1
	s_wait_dscnt 0x0
	v_lshlrev_b32_e32 v102, 2, v101
	ds_load_b32 v104, v102 offset:4
	v_mov_b32_e32 v102, v94
.LBB39_190:                             ;   in Loop: Header=BB39_2 Depth=1
	s_or_b32 exec_lo, exec_lo, s14
	v_add_nc_u32_e32 v103, 1, v100
	v_add_nc_u32_e32 v105, 1, v101
	s_wait_dscnt 0x0
	v_cmp_lt_i32_e64 s15, v104, v102
	s_delay_alu instid0(VALU_DEP_3) | instskip(NEXT) | instid1(VALU_DEP_3)
	v_cndmask_b32_e64 v106, v103, v100, s13
	v_cndmask_b32_e64 v105, v101, v105, s13
                                        ; implicit-def: $vgpr103
	s_delay_alu instid0(VALU_DEP_2) | instskip(NEXT) | instid1(VALU_DEP_2)
	v_cmp_ge_i32_e64 s14, v106, v28
	v_cmp_lt_i32_e64 s16, v105, v29
	s_or_b32 s14, s14, s15
	s_wait_alu 0xfffe
	s_and_b32 s14, s16, s14
	s_wait_alu 0xfffe
	s_xor_b32 s15, s14, -1
	s_wait_alu 0xfffe
	s_and_saveexec_b32 s16, s15
	s_wait_alu 0xfffe
	s_xor_b32 s15, exec_lo, s16
; %bb.191:                              ;   in Loop: Header=BB39_2 Depth=1
	v_lshlrev_b32_e32 v103, 2, v106
	ds_load_b32 v103, v103 offset:4
; %bb.192:                              ;   in Loop: Header=BB39_2 Depth=1
	s_wait_alu 0xfffe
	s_or_saveexec_b32 s15, s15
	v_mov_b32_e32 v107, v104
	s_wait_alu 0xfffe
	s_xor_b32 exec_lo, exec_lo, s15
	s_cbranch_execz .LBB39_194
; %bb.193:                              ;   in Loop: Header=BB39_2 Depth=1
	s_wait_dscnt 0x0
	v_lshlrev_b32_e32 v103, 2, v105
	ds_load_b32 v107, v103 offset:4
	v_mov_b32_e32 v103, v102
.LBB39_194:                             ;   in Loop: Header=BB39_2 Depth=1
	s_or_b32 exec_lo, exec_lo, s15
	v_add_nc_u32_e32 v108, 1, v106
	v_cndmask_b32_e64 v102, v102, v104, s14
	v_add_nc_u32_e32 v104, 1, v105
	v_cndmask_b32_e64 v100, v100, v101, s13
	v_cndmask_b32_e64 v98, v98, v99, s12
	;; [unrolled: 1-line block ×5, first 2 shown]
	s_wait_dscnt 0x0
	v_cmp_lt_i32_e64 s14, v107, v103
	v_cndmask_b32_e64 v82, v83, v82, s8
	v_cmp_ge_i32_e64 s15, v101, v28
	v_cndmask_b32_e64 v86, v86, v87, s9
	v_cmp_lt_i32_e64 s16, v99, v29
	v_cndmask_b32_e64 v90, v90, v91, s10
	v_cndmask_b32_e64 v95, v95, v96, s11
	s_or_b32 s14, s15, s14
	s_wait_loadcnt 0x0
	s_wait_alu 0xfffe
	s_and_b32 s14, s16, s14
	s_barrier_signal -1
	s_wait_alu 0xfffe
	v_cndmask_b32_e64 v87, v101, v99, s14
	s_barrier_wait -1
	global_inv scope:SCOPE_SE
	ds_store_2addr_b32 v1, v70, v71 offset1:1
	ds_store_2addr_b32 v1, v72, v73 offset0:2 offset1:3
	ds_store_2addr_b32 v1, v74, v75 offset0:4 offset1:5
	;; [unrolled: 1-line block ×3, first 2 shown]
	v_lshlrev_b32_e32 v70, 2, v82
	v_lshlrev_b32_e32 v71, 2, v86
	;; [unrolled: 1-line block ×8, first 2 shown]
	s_wait_loadcnt_dscnt 0x0
	s_barrier_signal -1
	s_barrier_wait -1
	global_inv scope:SCOPE_SE
	ds_load_b32 v70, v70
	ds_load_b32 v71, v71
	ds_load_b32 v72, v72
	ds_load_b32 v73, v73
	ds_load_b32 v74, v74
	ds_load_b32 v75, v75
	ds_load_b32 v76, v76
	ds_load_b32 v77, v77
	v_cndmask_b32_e64 v80, v80, v81, s9
	v_cndmask_b32_e64 v78, v78, v79, s8
	;; [unrolled: 1-line block ×7, first 2 shown]
	s_wait_loadcnt_dscnt 0x0
	s_barrier_signal -1
	s_barrier_wait -1
	global_inv scope:SCOPE_SE
	ds_store_2addr_b32 v1, v78, v80 offset1:1
	ds_store_2addr_b32 v1, v84, v87 offset0:2 offset1:3
	ds_store_2addr_b32 v1, v86, v82 offset0:4 offset1:5
	;; [unrolled: 1-line block ×3, first 2 shown]
	v_mov_b32_e32 v80, v67
	s_wait_loadcnt_dscnt 0x0
	s_barrier_signal -1
	s_barrier_wait -1
	global_inv scope:SCOPE_SE
	s_and_saveexec_b32 s9, s6
	s_cbranch_execz .LBB39_198
; %bb.195:                              ;   in Loop: Header=BB39_2 Depth=1
	v_mov_b32_e32 v80, v67
	v_mov_b32_e32 v78, v59
	s_mov_b32 s10, 0
.LBB39_196:                             ;   Parent Loop BB39_2 Depth=1
                                        ; =>  This Inner Loop Header: Depth=2
	s_delay_alu instid0(VALU_DEP_1) | instskip(NEXT) | instid1(VALU_DEP_1)
	v_sub_nc_u32_e32 v79, v78, v80
	v_lshrrev_b32_e32 v79, 1, v79
	s_delay_alu instid0(VALU_DEP_1) | instskip(NEXT) | instid1(VALU_DEP_1)
	v_add_nc_u32_e32 v79, v79, v80
	v_not_b32_e32 v81, v79
	v_lshl_add_u32 v82, v79, 2, v33
	v_add_nc_u32_e32 v83, 1, v79
	s_delay_alu instid0(VALU_DEP_3)
	v_lshl_add_u32 v81, v81, 2, v51
	ds_load_b32 v82, v82
	ds_load_b32 v81, v81
	s_wait_dscnt 0x0
	v_cmp_lt_i32_e64 s8, v81, v82
	s_wait_alu 0xf1ff
	s_delay_alu instid0(VALU_DEP_1) | instskip(SKIP_1) | instid1(VALU_DEP_1)
	v_cndmask_b32_e64 v78, v78, v79, s8
	v_cndmask_b32_e64 v80, v83, v80, s8
	v_cmp_ge_i32_e64 s8, v80, v78
	s_wait_alu 0xfffe
	s_or_b32 s10, s8, s10
	s_wait_alu 0xfffe
	s_and_not1_b32 exec_lo, exec_lo, s10
	s_cbranch_execnz .LBB39_196
; %bb.197:                              ;   in Loop: Header=BB39_2 Depth=1
	s_or_b32 exec_lo, exec_lo, s10
.LBB39_198:                             ;   in Loop: Header=BB39_2 Depth=1
	s_wait_alu 0xfffe
	s_or_b32 exec_lo, exec_lo, s9
	v_sub_nc_u32_e32 v82, v43, v80
	v_lshl_add_u32 v81, v80, 2, v33
	v_add_nc_u32_e32 v83, v80, v8
                                        ; implicit-def: $vgpr80
	s_delay_alu instid0(VALU_DEP_3) | instskip(SKIP_1) | instid1(VALU_DEP_3)
	v_lshlrev_b32_e32 v84, 2, v82
	v_cmp_gt_i32_e64 s10, v32, v82
	v_cmp_le_i32_e64 s8, v31, v83
	ds_load_b32 v78, v81
	ds_load_b32 v79, v84
	s_wait_dscnt 0x0
	v_cmp_lt_i32_e64 s9, v79, v78
	s_or_b32 s8, s8, s9
	s_wait_alu 0xfffe
	s_and_b32 s8, s10, s8
	s_wait_alu 0xfffe
	s_xor_b32 s9, s8, -1
	s_wait_alu 0xfffe
	s_and_saveexec_b32 s10, s9
	s_wait_alu 0xfffe
	s_xor_b32 s9, exec_lo, s10
; %bb.199:                              ;   in Loop: Header=BB39_2 Depth=1
	ds_load_b32 v80, v81 offset:4
                                        ; implicit-def: $vgpr84
; %bb.200:                              ;   in Loop: Header=BB39_2 Depth=1
	s_wait_alu 0xfffe
	s_or_saveexec_b32 s9, s9
	v_mov_b32_e32 v81, v79
	s_wait_alu 0xfffe
	s_xor_b32 exec_lo, exec_lo, s9
	s_cbranch_execz .LBB39_202
; %bb.201:                              ;   in Loop: Header=BB39_2 Depth=1
	ds_load_b32 v81, v84 offset:4
	s_wait_dscnt 0x1
	v_mov_b32_e32 v80, v78
.LBB39_202:                             ;   in Loop: Header=BB39_2 Depth=1
	s_or_b32 exec_lo, exec_lo, s9
	v_add_nc_u32_e32 v84, 1, v83
	v_add_nc_u32_e32 v85, 1, v82
	s_wait_dscnt 0x0
	v_cmp_lt_i32_e64 s10, v81, v80
	s_delay_alu instid0(VALU_DEP_3) | instskip(NEXT) | instid1(VALU_DEP_3)
	v_cndmask_b32_e64 v86, v84, v83, s8
	v_cndmask_b32_e64 v87, v82, v85, s8
                                        ; implicit-def: $vgpr84
	s_delay_alu instid0(VALU_DEP_2) | instskip(NEXT) | instid1(VALU_DEP_2)
	v_cmp_ge_i32_e64 s9, v86, v31
	v_cmp_lt_i32_e64 s11, v87, v32
	s_or_b32 s9, s9, s10
	s_wait_alu 0xfffe
	s_and_b32 s9, s11, s9
	s_wait_alu 0xfffe
	s_xor_b32 s10, s9, -1
	s_wait_alu 0xfffe
	s_and_saveexec_b32 s11, s10
	s_wait_alu 0xfffe
	s_xor_b32 s10, exec_lo, s11
; %bb.203:                              ;   in Loop: Header=BB39_2 Depth=1
	v_lshlrev_b32_e32 v84, 2, v86
	ds_load_b32 v84, v84 offset:4
; %bb.204:                              ;   in Loop: Header=BB39_2 Depth=1
	s_wait_alu 0xfffe
	s_or_saveexec_b32 s10, s10
	v_mov_b32_e32 v85, v81
	s_wait_alu 0xfffe
	s_xor_b32 exec_lo, exec_lo, s10
	s_cbranch_execz .LBB39_206
; %bb.205:                              ;   in Loop: Header=BB39_2 Depth=1
	s_wait_dscnt 0x0
	v_lshlrev_b32_e32 v84, 2, v87
	ds_load_b32 v85, v84 offset:4
	v_mov_b32_e32 v84, v80
.LBB39_206:                             ;   in Loop: Header=BB39_2 Depth=1
	s_or_b32 exec_lo, exec_lo, s10
	v_add_nc_u32_e32 v88, 1, v86
	v_add_nc_u32_e32 v89, 1, v87
	s_wait_dscnt 0x0
	v_cmp_lt_i32_e64 s11, v85, v84
	s_delay_alu instid0(VALU_DEP_3) | instskip(NEXT) | instid1(VALU_DEP_3)
	v_cndmask_b32_e64 v90, v88, v86, s9
	v_cndmask_b32_e64 v91, v87, v89, s9
                                        ; implicit-def: $vgpr88
	s_delay_alu instid0(VALU_DEP_2) | instskip(NEXT) | instid1(VALU_DEP_2)
	v_cmp_ge_i32_e64 s10, v90, v31
	v_cmp_lt_i32_e64 s12, v91, v32
	s_or_b32 s10, s10, s11
	s_wait_alu 0xfffe
	s_and_b32 s10, s12, s10
	s_wait_alu 0xfffe
	s_xor_b32 s11, s10, -1
	s_wait_alu 0xfffe
	s_and_saveexec_b32 s12, s11
	s_wait_alu 0xfffe
	s_xor_b32 s11, exec_lo, s12
; %bb.207:                              ;   in Loop: Header=BB39_2 Depth=1
	v_lshlrev_b32_e32 v88, 2, v90
	ds_load_b32 v88, v88 offset:4
; %bb.208:                              ;   in Loop: Header=BB39_2 Depth=1
	s_wait_alu 0xfffe
	s_or_saveexec_b32 s11, s11
	v_mov_b32_e32 v89, v85
	s_wait_alu 0xfffe
	s_xor_b32 exec_lo, exec_lo, s11
	s_cbranch_execz .LBB39_210
; %bb.209:                              ;   in Loop: Header=BB39_2 Depth=1
	s_wait_dscnt 0x0
	v_lshlrev_b32_e32 v88, 2, v91
	ds_load_b32 v89, v88 offset:4
	v_mov_b32_e32 v88, v84
.LBB39_210:                             ;   in Loop: Header=BB39_2 Depth=1
	s_or_b32 exec_lo, exec_lo, s11
	v_add_nc_u32_e32 v92, 1, v90
	v_add_nc_u32_e32 v93, 1, v91
	s_wait_dscnt 0x0
	v_cmp_lt_i32_e64 s12, v89, v88
	s_delay_alu instid0(VALU_DEP_3) | instskip(NEXT) | instid1(VALU_DEP_3)
	v_cndmask_b32_e64 v95, v92, v90, s10
	v_cndmask_b32_e64 v96, v91, v93, s10
                                        ; implicit-def: $vgpr92
	s_delay_alu instid0(VALU_DEP_2) | instskip(NEXT) | instid1(VALU_DEP_2)
	v_cmp_ge_i32_e64 s11, v95, v31
	v_cmp_lt_i32_e64 s13, v96, v32
	s_or_b32 s11, s11, s12
	s_wait_alu 0xfffe
	s_and_b32 s11, s13, s11
	s_wait_alu 0xfffe
	s_xor_b32 s12, s11, -1
	s_wait_alu 0xfffe
	s_and_saveexec_b32 s13, s12
	s_wait_alu 0xfffe
	s_xor_b32 s12, exec_lo, s13
; %bb.211:                              ;   in Loop: Header=BB39_2 Depth=1
	v_lshlrev_b32_e32 v92, 2, v95
	ds_load_b32 v92, v92 offset:4
; %bb.212:                              ;   in Loop: Header=BB39_2 Depth=1
	s_wait_alu 0xfffe
	s_or_saveexec_b32 s12, s12
	v_mov_b32_e32 v93, v89
	s_wait_alu 0xfffe
	s_xor_b32 exec_lo, exec_lo, s12
	s_cbranch_execz .LBB39_214
; %bb.213:                              ;   in Loop: Header=BB39_2 Depth=1
	s_wait_dscnt 0x0
	v_lshlrev_b32_e32 v92, 2, v96
	ds_load_b32 v93, v92 offset:4
	v_mov_b32_e32 v92, v88
.LBB39_214:                             ;   in Loop: Header=BB39_2 Depth=1
	s_or_b32 exec_lo, exec_lo, s12
	v_add_nc_u32_e32 v94, 1, v95
	v_add_nc_u32_e32 v97, 1, v96
	s_wait_dscnt 0x0
	v_cmp_lt_i32_e64 s13, v93, v92
	s_delay_alu instid0(VALU_DEP_3) | instskip(NEXT) | instid1(VALU_DEP_3)
	v_cndmask_b32_e64 v98, v94, v95, s11
	v_cndmask_b32_e64 v99, v96, v97, s11
                                        ; implicit-def: $vgpr94
	s_delay_alu instid0(VALU_DEP_2) | instskip(NEXT) | instid1(VALU_DEP_2)
	v_cmp_ge_i32_e64 s12, v98, v31
	v_cmp_lt_i32_e64 s14, v99, v32
	s_or_b32 s12, s12, s13
	s_wait_alu 0xfffe
	s_and_b32 s12, s14, s12
	s_wait_alu 0xfffe
	s_xor_b32 s13, s12, -1
	s_wait_alu 0xfffe
	s_and_saveexec_b32 s14, s13
	s_wait_alu 0xfffe
	s_xor_b32 s13, exec_lo, s14
; %bb.215:                              ;   in Loop: Header=BB39_2 Depth=1
	v_lshlrev_b32_e32 v94, 2, v98
	ds_load_b32 v94, v94 offset:4
; %bb.216:                              ;   in Loop: Header=BB39_2 Depth=1
	s_wait_alu 0xfffe
	s_or_saveexec_b32 s13, s13
	v_mov_b32_e32 v97, v93
	s_wait_alu 0xfffe
	s_xor_b32 exec_lo, exec_lo, s13
	s_cbranch_execz .LBB39_218
; %bb.217:                              ;   in Loop: Header=BB39_2 Depth=1
	s_wait_dscnt 0x0
	v_lshlrev_b32_e32 v94, 2, v99
	ds_load_b32 v97, v94 offset:4
	v_mov_b32_e32 v94, v92
.LBB39_218:                             ;   in Loop: Header=BB39_2 Depth=1
	s_or_b32 exec_lo, exec_lo, s13
	v_add_nc_u32_e32 v100, 1, v98
	v_add_nc_u32_e32 v101, 1, v99
	s_wait_dscnt 0x0
	v_cmp_lt_i32_e64 s14, v97, v94
                                        ; implicit-def: $vgpr102
	s_delay_alu instid0(VALU_DEP_3) | instskip(NEXT) | instid1(VALU_DEP_3)
	v_cndmask_b32_e64 v100, v100, v98, s12
	v_cndmask_b32_e64 v101, v99, v101, s12
	s_delay_alu instid0(VALU_DEP_2) | instskip(NEXT) | instid1(VALU_DEP_2)
	v_cmp_ge_i32_e64 s13, v100, v31
	v_cmp_lt_i32_e64 s15, v101, v32
	s_or_b32 s13, s13, s14
	s_wait_alu 0xfffe
	s_and_b32 s13, s15, s13
	s_wait_alu 0xfffe
	s_xor_b32 s14, s13, -1
	s_wait_alu 0xfffe
	s_and_saveexec_b32 s15, s14
	s_wait_alu 0xfffe
	s_xor_b32 s14, exec_lo, s15
; %bb.219:                              ;   in Loop: Header=BB39_2 Depth=1
	v_lshlrev_b32_e32 v102, 2, v100
	ds_load_b32 v102, v102 offset:4
; %bb.220:                              ;   in Loop: Header=BB39_2 Depth=1
	s_wait_alu 0xfffe
	s_or_saveexec_b32 s14, s14
	v_mov_b32_e32 v104, v97
	s_wait_alu 0xfffe
	s_xor_b32 exec_lo, exec_lo, s14
	s_cbranch_execz .LBB39_222
; %bb.221:                              ;   in Loop: Header=BB39_2 Depth=1
	s_wait_dscnt 0x0
	v_lshlrev_b32_e32 v102, 2, v101
	ds_load_b32 v104, v102 offset:4
	v_mov_b32_e32 v102, v94
.LBB39_222:                             ;   in Loop: Header=BB39_2 Depth=1
	s_or_b32 exec_lo, exec_lo, s14
	v_add_nc_u32_e32 v103, 1, v100
	v_add_nc_u32_e32 v105, 1, v101
	s_wait_dscnt 0x0
	v_cmp_lt_i32_e64 s15, v104, v102
	s_delay_alu instid0(VALU_DEP_3) | instskip(NEXT) | instid1(VALU_DEP_3)
	v_cndmask_b32_e64 v106, v103, v100, s13
	v_cndmask_b32_e64 v105, v101, v105, s13
                                        ; implicit-def: $vgpr103
	s_delay_alu instid0(VALU_DEP_2) | instskip(NEXT) | instid1(VALU_DEP_2)
	v_cmp_ge_i32_e64 s14, v106, v31
	v_cmp_lt_i32_e64 s16, v105, v32
	s_or_b32 s14, s14, s15
	s_wait_alu 0xfffe
	s_and_b32 s14, s16, s14
	s_wait_alu 0xfffe
	s_xor_b32 s15, s14, -1
	s_wait_alu 0xfffe
	s_and_saveexec_b32 s16, s15
	s_wait_alu 0xfffe
	s_xor_b32 s15, exec_lo, s16
; %bb.223:                              ;   in Loop: Header=BB39_2 Depth=1
	v_lshlrev_b32_e32 v103, 2, v106
	ds_load_b32 v103, v103 offset:4
; %bb.224:                              ;   in Loop: Header=BB39_2 Depth=1
	s_wait_alu 0xfffe
	s_or_saveexec_b32 s15, s15
	v_mov_b32_e32 v107, v104
	s_wait_alu 0xfffe
	s_xor_b32 exec_lo, exec_lo, s15
	s_cbranch_execz .LBB39_226
; %bb.225:                              ;   in Loop: Header=BB39_2 Depth=1
	s_wait_dscnt 0x0
	v_lshlrev_b32_e32 v103, 2, v105
	ds_load_b32 v107, v103 offset:4
	v_mov_b32_e32 v103, v102
.LBB39_226:                             ;   in Loop: Header=BB39_2 Depth=1
	s_or_b32 exec_lo, exec_lo, s15
	v_add_nc_u32_e32 v108, 1, v106
	v_cndmask_b32_e64 v102, v102, v104, s14
	v_add_nc_u32_e32 v104, 1, v105
	v_cndmask_b32_e64 v100, v100, v101, s13
	v_cndmask_b32_e64 v98, v98, v99, s12
	;; [unrolled: 1-line block ×5, first 2 shown]
	s_wait_dscnt 0x0
	v_cmp_lt_i32_e64 s14, v107, v103
	v_cndmask_b32_e64 v82, v83, v82, s8
	v_cmp_ge_i32_e64 s15, v101, v31
	v_cndmask_b32_e64 v86, v86, v87, s9
	v_cmp_lt_i32_e64 s16, v99, v32
	v_cndmask_b32_e64 v90, v90, v91, s10
	v_cndmask_b32_e64 v95, v95, v96, s11
	s_or_b32 s14, s15, s14
	s_wait_loadcnt 0x0
	s_wait_alu 0xfffe
	s_and_b32 s14, s16, s14
	s_barrier_signal -1
	s_wait_alu 0xfffe
	v_cndmask_b32_e64 v87, v101, v99, s14
	s_barrier_wait -1
	global_inv scope:SCOPE_SE
	ds_store_2addr_b32 v1, v70, v71 offset1:1
	ds_store_2addr_b32 v1, v72, v73 offset0:2 offset1:3
	ds_store_2addr_b32 v1, v74, v75 offset0:4 offset1:5
	;; [unrolled: 1-line block ×3, first 2 shown]
	v_lshlrev_b32_e32 v70, 2, v82
	v_lshlrev_b32_e32 v71, 2, v86
	;; [unrolled: 1-line block ×8, first 2 shown]
	s_wait_loadcnt_dscnt 0x0
	s_barrier_signal -1
	s_barrier_wait -1
	global_inv scope:SCOPE_SE
	ds_load_b32 v70, v70
	ds_load_b32 v71, v71
	;; [unrolled: 1-line block ×8, first 2 shown]
	v_cndmask_b32_e64 v80, v80, v81, s9
	v_cndmask_b32_e64 v78, v78, v79, s8
	;; [unrolled: 1-line block ×7, first 2 shown]
	s_wait_loadcnt_dscnt 0x0
	s_barrier_signal -1
	s_barrier_wait -1
	global_inv scope:SCOPE_SE
	ds_store_2addr_b32 v1, v78, v80 offset1:1
	ds_store_2addr_b32 v1, v84, v87 offset0:2 offset1:3
	ds_store_2addr_b32 v1, v86, v82 offset0:4 offset1:5
	;; [unrolled: 1-line block ×3, first 2 shown]
	v_mov_b32_e32 v80, v68
	s_wait_loadcnt_dscnt 0x0
	s_barrier_signal -1
	s_barrier_wait -1
	global_inv scope:SCOPE_SE
	s_and_saveexec_b32 s9, s7
	s_cbranch_execz .LBB39_230
; %bb.227:                              ;   in Loop: Header=BB39_2 Depth=1
	v_mov_b32_e32 v80, v68
	v_mov_b32_e32 v78, v60
	s_mov_b32 s10, 0
.LBB39_228:                             ;   Parent Loop BB39_2 Depth=1
                                        ; =>  This Inner Loop Header: Depth=2
	s_delay_alu instid0(VALU_DEP_1) | instskip(NEXT) | instid1(VALU_DEP_1)
	v_sub_nc_u32_e32 v79, v78, v80
	v_lshrrev_b32_e32 v79, 1, v79
	s_delay_alu instid0(VALU_DEP_1) | instskip(NEXT) | instid1(VALU_DEP_1)
	v_add_nc_u32_e32 v79, v79, v80
	v_not_b32_e32 v81, v79
	v_lshl_add_u32 v82, v79, 2, v36
	v_add_nc_u32_e32 v83, 1, v79
	s_delay_alu instid0(VALU_DEP_3)
	v_lshl_add_u32 v81, v81, 2, v52
	ds_load_b32 v82, v82
	ds_load_b32 v81, v81
	s_wait_dscnt 0x0
	v_cmp_lt_i32_e64 s8, v81, v82
	s_wait_alu 0xf1ff
	s_delay_alu instid0(VALU_DEP_1) | instskip(SKIP_1) | instid1(VALU_DEP_1)
	v_cndmask_b32_e64 v78, v78, v79, s8
	v_cndmask_b32_e64 v80, v83, v80, s8
	v_cmp_ge_i32_e64 s8, v80, v78
	s_wait_alu 0xfffe
	s_or_b32 s10, s8, s10
	s_wait_alu 0xfffe
	s_and_not1_b32 exec_lo, exec_lo, s10
	s_cbranch_execnz .LBB39_228
; %bb.229:                              ;   in Loop: Header=BB39_2 Depth=1
	s_or_b32 exec_lo, exec_lo, s10
.LBB39_230:                             ;   in Loop: Header=BB39_2 Depth=1
	s_wait_alu 0xfffe
	s_or_b32 exec_lo, exec_lo, s9
	v_sub_nc_u32_e32 v82, v44, v80
	v_lshl_add_u32 v81, v80, 2, v36
	v_add_nc_u32_e32 v83, v80, v9
                                        ; implicit-def: $vgpr80
	s_delay_alu instid0(VALU_DEP_3) | instskip(SKIP_1) | instid1(VALU_DEP_3)
	v_lshlrev_b32_e32 v84, 2, v82
	v_cmp_gt_i32_e64 s10, v35, v82
	v_cmp_le_i32_e64 s8, v34, v83
	ds_load_b32 v78, v81
	ds_load_b32 v79, v84
	s_wait_dscnt 0x0
	v_cmp_lt_i32_e64 s9, v79, v78
	s_or_b32 s8, s8, s9
	s_wait_alu 0xfffe
	s_and_b32 s8, s10, s8
	s_wait_alu 0xfffe
	s_xor_b32 s9, s8, -1
	s_wait_alu 0xfffe
	s_and_saveexec_b32 s10, s9
	s_wait_alu 0xfffe
	s_xor_b32 s9, exec_lo, s10
; %bb.231:                              ;   in Loop: Header=BB39_2 Depth=1
	ds_load_b32 v80, v81 offset:4
                                        ; implicit-def: $vgpr84
; %bb.232:                              ;   in Loop: Header=BB39_2 Depth=1
	s_wait_alu 0xfffe
	s_or_saveexec_b32 s9, s9
	v_mov_b32_e32 v81, v79
	s_wait_alu 0xfffe
	s_xor_b32 exec_lo, exec_lo, s9
	s_cbranch_execz .LBB39_234
; %bb.233:                              ;   in Loop: Header=BB39_2 Depth=1
	ds_load_b32 v81, v84 offset:4
	s_wait_dscnt 0x1
	v_mov_b32_e32 v80, v78
.LBB39_234:                             ;   in Loop: Header=BB39_2 Depth=1
	s_or_b32 exec_lo, exec_lo, s9
	v_add_nc_u32_e32 v84, 1, v83
	v_add_nc_u32_e32 v85, 1, v82
	s_wait_dscnt 0x0
	v_cmp_lt_i32_e64 s10, v81, v80
	s_delay_alu instid0(VALU_DEP_3) | instskip(NEXT) | instid1(VALU_DEP_3)
	v_cndmask_b32_e64 v86, v84, v83, s8
	v_cndmask_b32_e64 v87, v82, v85, s8
                                        ; implicit-def: $vgpr84
	s_delay_alu instid0(VALU_DEP_2) | instskip(NEXT) | instid1(VALU_DEP_2)
	v_cmp_ge_i32_e64 s9, v86, v34
	v_cmp_lt_i32_e64 s11, v87, v35
	s_or_b32 s9, s9, s10
	s_wait_alu 0xfffe
	s_and_b32 s9, s11, s9
	s_wait_alu 0xfffe
	s_xor_b32 s10, s9, -1
	s_wait_alu 0xfffe
	s_and_saveexec_b32 s11, s10
	s_wait_alu 0xfffe
	s_xor_b32 s10, exec_lo, s11
; %bb.235:                              ;   in Loop: Header=BB39_2 Depth=1
	v_lshlrev_b32_e32 v84, 2, v86
	ds_load_b32 v84, v84 offset:4
; %bb.236:                              ;   in Loop: Header=BB39_2 Depth=1
	s_wait_alu 0xfffe
	s_or_saveexec_b32 s10, s10
	v_mov_b32_e32 v85, v81
	s_wait_alu 0xfffe
	s_xor_b32 exec_lo, exec_lo, s10
	s_cbranch_execz .LBB39_238
; %bb.237:                              ;   in Loop: Header=BB39_2 Depth=1
	s_wait_dscnt 0x0
	v_lshlrev_b32_e32 v84, 2, v87
	ds_load_b32 v85, v84 offset:4
	v_mov_b32_e32 v84, v80
.LBB39_238:                             ;   in Loop: Header=BB39_2 Depth=1
	s_or_b32 exec_lo, exec_lo, s10
	v_add_nc_u32_e32 v88, 1, v86
	v_add_nc_u32_e32 v89, 1, v87
	s_wait_dscnt 0x0
	v_cmp_lt_i32_e64 s11, v85, v84
	s_delay_alu instid0(VALU_DEP_3) | instskip(NEXT) | instid1(VALU_DEP_3)
	v_cndmask_b32_e64 v90, v88, v86, s9
	v_cndmask_b32_e64 v91, v87, v89, s9
                                        ; implicit-def: $vgpr88
	s_delay_alu instid0(VALU_DEP_2) | instskip(NEXT) | instid1(VALU_DEP_2)
	v_cmp_ge_i32_e64 s10, v90, v34
	v_cmp_lt_i32_e64 s12, v91, v35
	s_or_b32 s10, s10, s11
	s_wait_alu 0xfffe
	s_and_b32 s10, s12, s10
	s_wait_alu 0xfffe
	s_xor_b32 s11, s10, -1
	s_wait_alu 0xfffe
	s_and_saveexec_b32 s12, s11
	s_wait_alu 0xfffe
	s_xor_b32 s11, exec_lo, s12
; %bb.239:                              ;   in Loop: Header=BB39_2 Depth=1
	v_lshlrev_b32_e32 v88, 2, v90
	ds_load_b32 v88, v88 offset:4
; %bb.240:                              ;   in Loop: Header=BB39_2 Depth=1
	s_wait_alu 0xfffe
	s_or_saveexec_b32 s11, s11
	v_mov_b32_e32 v89, v85
	s_wait_alu 0xfffe
	s_xor_b32 exec_lo, exec_lo, s11
	s_cbranch_execz .LBB39_242
; %bb.241:                              ;   in Loop: Header=BB39_2 Depth=1
	s_wait_dscnt 0x0
	v_lshlrev_b32_e32 v88, 2, v91
	ds_load_b32 v89, v88 offset:4
	v_mov_b32_e32 v88, v84
.LBB39_242:                             ;   in Loop: Header=BB39_2 Depth=1
	s_or_b32 exec_lo, exec_lo, s11
	v_add_nc_u32_e32 v92, 1, v90
	v_add_nc_u32_e32 v93, 1, v91
	s_wait_dscnt 0x0
	v_cmp_lt_i32_e64 s12, v89, v88
	s_delay_alu instid0(VALU_DEP_3) | instskip(NEXT) | instid1(VALU_DEP_3)
	v_cndmask_b32_e64 v95, v92, v90, s10
	v_cndmask_b32_e64 v96, v91, v93, s10
                                        ; implicit-def: $vgpr92
	s_delay_alu instid0(VALU_DEP_2) | instskip(NEXT) | instid1(VALU_DEP_2)
	v_cmp_ge_i32_e64 s11, v95, v34
	v_cmp_lt_i32_e64 s13, v96, v35
	s_or_b32 s11, s11, s12
	s_wait_alu 0xfffe
	s_and_b32 s11, s13, s11
	s_wait_alu 0xfffe
	s_xor_b32 s12, s11, -1
	s_wait_alu 0xfffe
	s_and_saveexec_b32 s13, s12
	s_wait_alu 0xfffe
	s_xor_b32 s12, exec_lo, s13
; %bb.243:                              ;   in Loop: Header=BB39_2 Depth=1
	v_lshlrev_b32_e32 v92, 2, v95
	ds_load_b32 v92, v92 offset:4
; %bb.244:                              ;   in Loop: Header=BB39_2 Depth=1
	s_wait_alu 0xfffe
	s_or_saveexec_b32 s12, s12
	v_mov_b32_e32 v93, v89
	s_wait_alu 0xfffe
	s_xor_b32 exec_lo, exec_lo, s12
	s_cbranch_execz .LBB39_246
; %bb.245:                              ;   in Loop: Header=BB39_2 Depth=1
	s_wait_dscnt 0x0
	v_lshlrev_b32_e32 v92, 2, v96
	ds_load_b32 v93, v92 offset:4
	v_mov_b32_e32 v92, v88
.LBB39_246:                             ;   in Loop: Header=BB39_2 Depth=1
	s_or_b32 exec_lo, exec_lo, s12
	v_add_nc_u32_e32 v94, 1, v95
	v_add_nc_u32_e32 v97, 1, v96
	s_wait_dscnt 0x0
	v_cmp_lt_i32_e64 s13, v93, v92
	s_delay_alu instid0(VALU_DEP_3) | instskip(NEXT) | instid1(VALU_DEP_3)
	v_cndmask_b32_e64 v98, v94, v95, s11
	v_cndmask_b32_e64 v99, v96, v97, s11
                                        ; implicit-def: $vgpr94
	s_delay_alu instid0(VALU_DEP_2) | instskip(NEXT) | instid1(VALU_DEP_2)
	v_cmp_ge_i32_e64 s12, v98, v34
	v_cmp_lt_i32_e64 s14, v99, v35
	s_or_b32 s12, s12, s13
	s_wait_alu 0xfffe
	s_and_b32 s12, s14, s12
	s_wait_alu 0xfffe
	s_xor_b32 s13, s12, -1
	s_wait_alu 0xfffe
	s_and_saveexec_b32 s14, s13
	s_wait_alu 0xfffe
	s_xor_b32 s13, exec_lo, s14
; %bb.247:                              ;   in Loop: Header=BB39_2 Depth=1
	v_lshlrev_b32_e32 v94, 2, v98
	ds_load_b32 v94, v94 offset:4
; %bb.248:                              ;   in Loop: Header=BB39_2 Depth=1
	s_wait_alu 0xfffe
	s_or_saveexec_b32 s13, s13
	v_mov_b32_e32 v97, v93
	s_wait_alu 0xfffe
	s_xor_b32 exec_lo, exec_lo, s13
	s_cbranch_execz .LBB39_250
; %bb.249:                              ;   in Loop: Header=BB39_2 Depth=1
	s_wait_dscnt 0x0
	v_lshlrev_b32_e32 v94, 2, v99
	ds_load_b32 v97, v94 offset:4
	v_mov_b32_e32 v94, v92
.LBB39_250:                             ;   in Loop: Header=BB39_2 Depth=1
	s_or_b32 exec_lo, exec_lo, s13
	v_add_nc_u32_e32 v100, 1, v98
	v_add_nc_u32_e32 v101, 1, v99
	s_wait_dscnt 0x0
	v_cmp_lt_i32_e64 s14, v97, v94
                                        ; implicit-def: $vgpr102
	s_delay_alu instid0(VALU_DEP_3) | instskip(NEXT) | instid1(VALU_DEP_3)
	v_cndmask_b32_e64 v100, v100, v98, s12
	v_cndmask_b32_e64 v101, v99, v101, s12
	s_delay_alu instid0(VALU_DEP_2) | instskip(NEXT) | instid1(VALU_DEP_2)
	v_cmp_ge_i32_e64 s13, v100, v34
	v_cmp_lt_i32_e64 s15, v101, v35
	s_or_b32 s13, s13, s14
	s_wait_alu 0xfffe
	s_and_b32 s13, s15, s13
	s_wait_alu 0xfffe
	s_xor_b32 s14, s13, -1
	s_wait_alu 0xfffe
	s_and_saveexec_b32 s15, s14
	s_wait_alu 0xfffe
	s_xor_b32 s14, exec_lo, s15
; %bb.251:                              ;   in Loop: Header=BB39_2 Depth=1
	v_lshlrev_b32_e32 v102, 2, v100
	ds_load_b32 v102, v102 offset:4
; %bb.252:                              ;   in Loop: Header=BB39_2 Depth=1
	s_wait_alu 0xfffe
	s_or_saveexec_b32 s14, s14
	v_mov_b32_e32 v104, v97
	s_wait_alu 0xfffe
	s_xor_b32 exec_lo, exec_lo, s14
	s_cbranch_execz .LBB39_254
; %bb.253:                              ;   in Loop: Header=BB39_2 Depth=1
	s_wait_dscnt 0x0
	v_lshlrev_b32_e32 v102, 2, v101
	ds_load_b32 v104, v102 offset:4
	v_mov_b32_e32 v102, v94
.LBB39_254:                             ;   in Loop: Header=BB39_2 Depth=1
	s_or_b32 exec_lo, exec_lo, s14
	v_add_nc_u32_e32 v103, 1, v100
	v_add_nc_u32_e32 v105, 1, v101
	s_wait_dscnt 0x0
	v_cmp_lt_i32_e64 s15, v104, v102
	s_delay_alu instid0(VALU_DEP_3) | instskip(NEXT) | instid1(VALU_DEP_3)
	v_cndmask_b32_e64 v106, v103, v100, s13
	v_cndmask_b32_e64 v105, v101, v105, s13
                                        ; implicit-def: $vgpr103
	s_delay_alu instid0(VALU_DEP_2) | instskip(NEXT) | instid1(VALU_DEP_2)
	v_cmp_ge_i32_e64 s14, v106, v34
	v_cmp_lt_i32_e64 s16, v105, v35
	s_or_b32 s14, s14, s15
	s_wait_alu 0xfffe
	s_and_b32 s14, s16, s14
	s_wait_alu 0xfffe
	s_xor_b32 s15, s14, -1
	s_wait_alu 0xfffe
	s_and_saveexec_b32 s16, s15
	s_wait_alu 0xfffe
	s_xor_b32 s15, exec_lo, s16
; %bb.255:                              ;   in Loop: Header=BB39_2 Depth=1
	v_lshlrev_b32_e32 v103, 2, v106
	ds_load_b32 v103, v103 offset:4
; %bb.256:                              ;   in Loop: Header=BB39_2 Depth=1
	s_wait_alu 0xfffe
	s_or_saveexec_b32 s15, s15
	v_mov_b32_e32 v107, v104
	s_wait_alu 0xfffe
	s_xor_b32 exec_lo, exec_lo, s15
	s_cbranch_execz .LBB39_258
; %bb.257:                              ;   in Loop: Header=BB39_2 Depth=1
	s_wait_dscnt 0x0
	v_lshlrev_b32_e32 v103, 2, v105
	ds_load_b32 v107, v103 offset:4
	v_mov_b32_e32 v103, v102
.LBB39_258:                             ;   in Loop: Header=BB39_2 Depth=1
	s_or_b32 exec_lo, exec_lo, s15
	v_add_nc_u32_e32 v108, 1, v106
	v_cndmask_b32_e64 v102, v102, v104, s14
	v_add_nc_u32_e32 v104, 1, v105
	v_cndmask_b32_e64 v100, v100, v101, s13
	v_cndmask_b32_e64 v98, v98, v99, s12
	;; [unrolled: 1-line block ×5, first 2 shown]
	s_wait_dscnt 0x0
	v_cmp_lt_i32_e64 s14, v107, v103
	v_cndmask_b32_e64 v82, v83, v82, s8
	v_cmp_ge_i32_e64 s15, v101, v34
	v_cndmask_b32_e64 v86, v86, v87, s9
	v_cmp_lt_i32_e64 s16, v99, v35
	v_cndmask_b32_e64 v90, v90, v91, s10
	v_cndmask_b32_e64 v95, v95, v96, s11
	s_or_b32 s14, s15, s14
	s_wait_loadcnt 0x0
	s_wait_alu 0xfffe
	s_and_b32 s14, s16, s14
	s_barrier_signal -1
	s_wait_alu 0xfffe
	v_cndmask_b32_e64 v87, v101, v99, s14
	s_barrier_wait -1
	global_inv scope:SCOPE_SE
	ds_store_2addr_b32 v1, v70, v71 offset1:1
	ds_store_2addr_b32 v1, v72, v73 offset0:2 offset1:3
	ds_store_2addr_b32 v1, v74, v75 offset0:4 offset1:5
	;; [unrolled: 1-line block ×3, first 2 shown]
	v_lshlrev_b32_e32 v70, 2, v82
	v_lshlrev_b32_e32 v71, 2, v86
	;; [unrolled: 1-line block ×8, first 2 shown]
	s_wait_loadcnt_dscnt 0x0
	s_barrier_signal -1
	s_barrier_wait -1
	global_inv scope:SCOPE_SE
	ds_load_b32 v70, v70
	ds_load_b32 v71, v71
	;; [unrolled: 1-line block ×8, first 2 shown]
	v_cndmask_b32_e64 v80, v80, v81, s9
	v_cndmask_b32_e64 v78, v78, v79, s8
	v_cndmask_b32_e64 v87, v88, v89, s11
	v_cndmask_b32_e64 v84, v84, v85, s10
	v_cndmask_b32_e64 v82, v94, v97, s13
	v_cndmask_b32_e64 v86, v92, v93, s12
	v_cndmask_b32_e64 v83, v103, v107, s14
	s_wait_loadcnt_dscnt 0x0
	s_barrier_signal -1
	s_barrier_wait -1
	global_inv scope:SCOPE_SE
	ds_store_2addr_b32 v1, v78, v80 offset1:1
	ds_store_2addr_b32 v1, v84, v87 offset0:2 offset1:3
	ds_store_2addr_b32 v1, v86, v82 offset0:4 offset1:5
	;; [unrolled: 1-line block ×3, first 2 shown]
	v_mov_b32_e32 v78, v10
	s_wait_loadcnt_dscnt 0x0
	s_barrier_signal -1
	s_barrier_wait -1
	global_inv scope:SCOPE_SE
	s_and_saveexec_b32 s9, vcc_lo
	s_cbranch_execz .LBB39_262
; %bb.259:                              ;   in Loop: Header=BB39_2 Depth=1
	v_dual_mov_b32 v78, v10 :: v_dual_mov_b32 v79, v11
	s_mov_b32 s10, 0
.LBB39_260:                             ;   Parent Loop BB39_2 Depth=1
                                        ; =>  This Inner Loop Header: Depth=2
	s_delay_alu instid0(VALU_DEP_1) | instskip(NEXT) | instid1(VALU_DEP_1)
	v_sub_nc_u32_e32 v80, v79, v78
	v_lshrrev_b32_e32 v80, 1, v80
	s_delay_alu instid0(VALU_DEP_1) | instskip(NEXT) | instid1(VALU_DEP_1)
	v_add_nc_u32_e32 v80, v80, v78
	v_not_b32_e32 v81, v80
	v_lshlrev_b32_e32 v82, 2, v80
	v_add_nc_u32_e32 v83, 1, v80
	s_delay_alu instid0(VALU_DEP_3)
	v_lshl_add_u32 v81, v81, 2, v69
	ds_load_b32 v82, v82
	ds_load_b32 v81, v81
	s_wait_dscnt 0x0
	v_cmp_lt_i32_e64 s8, v81, v82
	s_wait_alu 0xf1ff
	s_delay_alu instid0(VALU_DEP_1) | instskip(SKIP_1) | instid1(VALU_DEP_1)
	v_cndmask_b32_e64 v79, v79, v80, s8
	v_cndmask_b32_e64 v78, v83, v78, s8
	v_cmp_ge_i32_e64 s8, v78, v79
	s_wait_alu 0xfffe
	s_or_b32 s10, s8, s10
	s_wait_alu 0xfffe
	s_and_not1_b32 exec_lo, exec_lo, s10
	s_cbranch_execnz .LBB39_260
; %bb.261:                              ;   in Loop: Header=BB39_2 Depth=1
	s_or_b32 exec_lo, exec_lo, s10
.LBB39_262:                             ;   in Loop: Header=BB39_2 Depth=1
	s_wait_alu 0xfffe
	s_or_b32 exec_lo, exec_lo, s9
	v_sub_nc_u32_e32 v83, v12, v78
	v_lshlrev_b32_e32 v82, 2, v78
	v_cmp_le_i32_e64 s8, 0x800, v78
                                        ; implicit-def: $vgpr81
	s_delay_alu instid0(VALU_DEP_3)
	v_lshlrev_b32_e32 v84, 2, v83
	v_cmp_gt_i32_e64 s10, 0x1000, v83
	ds_load_b32 v79, v82
	ds_load_b32 v80, v84
	s_wait_dscnt 0x0
	v_cmp_lt_i32_e64 s9, v80, v79
	s_or_b32 s8, s8, s9
	s_wait_alu 0xfffe
	s_and_b32 s8, s10, s8
	s_wait_alu 0xfffe
	s_xor_b32 s9, s8, -1
	s_wait_alu 0xfffe
	s_and_saveexec_b32 s10, s9
	s_wait_alu 0xfffe
	s_xor_b32 s9, exec_lo, s10
; %bb.263:                              ;   in Loop: Header=BB39_2 Depth=1
	ds_load_b32 v81, v82 offset:4
                                        ; implicit-def: $vgpr84
; %bb.264:                              ;   in Loop: Header=BB39_2 Depth=1
	s_wait_alu 0xfffe
	s_or_saveexec_b32 s9, s9
	v_mov_b32_e32 v82, v80
	s_wait_alu 0xfffe
	s_xor_b32 exec_lo, exec_lo, s9
	s_cbranch_execz .LBB39_266
; %bb.265:                              ;   in Loop: Header=BB39_2 Depth=1
	ds_load_b32 v82, v84 offset:4
	s_wait_dscnt 0x1
	v_mov_b32_e32 v81, v79
.LBB39_266:                             ;   in Loop: Header=BB39_2 Depth=1
	s_or_b32 exec_lo, exec_lo, s9
	v_add_nc_u32_e32 v84, 1, v78
	v_add_nc_u32_e32 v85, 1, v83
	s_wait_dscnt 0x0
	v_cmp_lt_i32_e64 s10, v82, v81
                                        ; implicit-def: $vgpr86
	s_delay_alu instid0(VALU_DEP_3) | instskip(NEXT) | instid1(VALU_DEP_3)
	v_cndmask_b32_e64 v84, v84, v78, s8
	v_cndmask_b32_e64 v85, v83, v85, s8
	s_delay_alu instid0(VALU_DEP_2) | instskip(NEXT) | instid1(VALU_DEP_2)
	v_cmp_le_i32_e64 s9, 0x800, v84
	v_cmp_gt_i32_e64 s11, 0x1000, v85
	s_or_b32 s9, s9, s10
	s_wait_alu 0xfffe
	s_and_b32 s9, s11, s9
	s_wait_alu 0xfffe
	s_xor_b32 s10, s9, -1
	s_wait_alu 0xfffe
	s_and_saveexec_b32 s11, s10
	s_wait_alu 0xfffe
	s_xor_b32 s10, exec_lo, s11
; %bb.267:                              ;   in Loop: Header=BB39_2 Depth=1
	v_lshlrev_b32_e32 v86, 2, v84
	ds_load_b32 v86, v86 offset:4
; %bb.268:                              ;   in Loop: Header=BB39_2 Depth=1
	s_wait_alu 0xfffe
	s_or_saveexec_b32 s10, s10
	v_mov_b32_e32 v87, v82
	s_wait_alu 0xfffe
	s_xor_b32 exec_lo, exec_lo, s10
	s_cbranch_execz .LBB39_270
; %bb.269:                              ;   in Loop: Header=BB39_2 Depth=1
	s_wait_dscnt 0x0
	v_lshlrev_b32_e32 v86, 2, v85
	ds_load_b32 v87, v86 offset:4
	v_mov_b32_e32 v86, v81
.LBB39_270:                             ;   in Loop: Header=BB39_2 Depth=1
	s_or_b32 exec_lo, exec_lo, s10
	v_add_nc_u32_e32 v88, 1, v84
	v_add_nc_u32_e32 v89, 1, v85
	s_wait_dscnt 0x0
	v_cmp_lt_i32_e64 s11, v87, v86
	s_delay_alu instid0(VALU_DEP_3) | instskip(NEXT) | instid1(VALU_DEP_3)
	v_cndmask_b32_e64 v90, v88, v84, s9
	v_cndmask_b32_e64 v91, v85, v89, s9
                                        ; implicit-def: $vgpr88
	s_delay_alu instid0(VALU_DEP_2) | instskip(NEXT) | instid1(VALU_DEP_2)
	v_cmp_le_i32_e64 s10, 0x800, v90
	v_cmp_gt_i32_e64 s12, 0x1000, v91
	s_or_b32 s10, s10, s11
	s_wait_alu 0xfffe
	s_and_b32 s10, s12, s10
	s_wait_alu 0xfffe
	s_xor_b32 s11, s10, -1
	s_wait_alu 0xfffe
	s_and_saveexec_b32 s12, s11
	s_wait_alu 0xfffe
	s_xor_b32 s11, exec_lo, s12
; %bb.271:                              ;   in Loop: Header=BB39_2 Depth=1
	v_lshlrev_b32_e32 v88, 2, v90
	ds_load_b32 v88, v88 offset:4
; %bb.272:                              ;   in Loop: Header=BB39_2 Depth=1
	s_wait_alu 0xfffe
	s_or_saveexec_b32 s11, s11
	v_mov_b32_e32 v89, v87
	s_wait_alu 0xfffe
	s_xor_b32 exec_lo, exec_lo, s11
	s_cbranch_execz .LBB39_274
; %bb.273:                              ;   in Loop: Header=BB39_2 Depth=1
	s_wait_dscnt 0x0
	v_lshlrev_b32_e32 v88, 2, v91
	ds_load_b32 v89, v88 offset:4
	v_mov_b32_e32 v88, v86
.LBB39_274:                             ;   in Loop: Header=BB39_2 Depth=1
	s_or_b32 exec_lo, exec_lo, s11
	v_add_nc_u32_e32 v92, 1, v90
	v_add_nc_u32_e32 v93, 1, v91
	s_wait_dscnt 0x0
	v_cmp_lt_i32_e64 s12, v89, v88
	s_delay_alu instid0(VALU_DEP_3) | instskip(NEXT) | instid1(VALU_DEP_3)
	v_cndmask_b32_e64 v94, v92, v90, s10
	v_cndmask_b32_e64 v95, v91, v93, s10
                                        ; implicit-def: $vgpr92
	s_delay_alu instid0(VALU_DEP_2) | instskip(NEXT) | instid1(VALU_DEP_2)
	v_cmp_le_i32_e64 s11, 0x800, v94
	v_cmp_gt_i32_e64 s13, 0x1000, v95
	s_or_b32 s11, s11, s12
	s_wait_alu 0xfffe
	s_and_b32 s11, s13, s11
	s_wait_alu 0xfffe
	s_xor_b32 s12, s11, -1
	s_wait_alu 0xfffe
	s_and_saveexec_b32 s13, s12
	s_wait_alu 0xfffe
	s_xor_b32 s12, exec_lo, s13
; %bb.275:                              ;   in Loop: Header=BB39_2 Depth=1
	v_lshlrev_b32_e32 v92, 2, v94
	ds_load_b32 v92, v92 offset:4
; %bb.276:                              ;   in Loop: Header=BB39_2 Depth=1
	s_wait_alu 0xfffe
	s_or_saveexec_b32 s12, s12
	v_mov_b32_e32 v93, v89
	s_wait_alu 0xfffe
	s_xor_b32 exec_lo, exec_lo, s12
	s_cbranch_execz .LBB39_278
; %bb.277:                              ;   in Loop: Header=BB39_2 Depth=1
	s_wait_dscnt 0x0
	v_lshlrev_b32_e32 v92, 2, v95
	ds_load_b32 v93, v92 offset:4
	v_mov_b32_e32 v92, v88
.LBB39_278:                             ;   in Loop: Header=BB39_2 Depth=1
	s_or_b32 exec_lo, exec_lo, s12
	v_add_nc_u32_e32 v96, 1, v94
	v_add_nc_u32_e32 v97, 1, v95
	s_wait_dscnt 0x0
	v_cmp_lt_i32_e64 s13, v93, v92
	s_delay_alu instid0(VALU_DEP_3) | instskip(NEXT) | instid1(VALU_DEP_3)
	v_cndmask_b32_e64 v99, v96, v94, s11
	v_cndmask_b32_e64 v100, v95, v97, s11
                                        ; implicit-def: $vgpr96
	s_delay_alu instid0(VALU_DEP_2) | instskip(NEXT) | instid1(VALU_DEP_2)
	v_cmp_le_i32_e64 s12, 0x800, v99
	v_cmp_gt_i32_e64 s14, 0x1000, v100
	s_or_b32 s12, s12, s13
	s_wait_alu 0xfffe
	s_and_b32 s12, s14, s12
	s_wait_alu 0xfffe
	s_xor_b32 s13, s12, -1
	s_wait_alu 0xfffe
	s_and_saveexec_b32 s14, s13
	s_wait_alu 0xfffe
	s_xor_b32 s13, exec_lo, s14
; %bb.279:                              ;   in Loop: Header=BB39_2 Depth=1
	v_lshlrev_b32_e32 v96, 2, v99
	ds_load_b32 v96, v96 offset:4
; %bb.280:                              ;   in Loop: Header=BB39_2 Depth=1
	s_wait_alu 0xfffe
	s_or_saveexec_b32 s13, s13
	v_mov_b32_e32 v97, v93
	s_wait_alu 0xfffe
	s_xor_b32 exec_lo, exec_lo, s13
	s_cbranch_execz .LBB39_282
; %bb.281:                              ;   in Loop: Header=BB39_2 Depth=1
	s_wait_dscnt 0x0
	v_lshlrev_b32_e32 v96, 2, v100
	ds_load_b32 v97, v96 offset:4
	v_mov_b32_e32 v96, v92
.LBB39_282:                             ;   in Loop: Header=BB39_2 Depth=1
	s_or_b32 exec_lo, exec_lo, s13
	v_add_nc_u32_e32 v98, 1, v99
	v_add_nc_u32_e32 v101, 1, v100
	s_wait_dscnt 0x0
	v_cmp_lt_i32_e64 s14, v97, v96
	s_delay_alu instid0(VALU_DEP_3) | instskip(NEXT) | instid1(VALU_DEP_3)
	v_cndmask_b32_e64 v102, v98, v99, s12
	v_cndmask_b32_e64 v103, v100, v101, s12
                                        ; implicit-def: $vgpr98
	s_delay_alu instid0(VALU_DEP_2) | instskip(NEXT) | instid1(VALU_DEP_2)
	v_cmp_le_i32_e64 s13, 0x800, v102
	v_cmp_gt_i32_e64 s15, 0x1000, v103
	s_or_b32 s13, s13, s14
	s_wait_alu 0xfffe
	s_and_b32 s13, s15, s13
	s_wait_alu 0xfffe
	s_xor_b32 s14, s13, -1
	s_wait_alu 0xfffe
	s_and_saveexec_b32 s15, s14
	s_wait_alu 0xfffe
	s_xor_b32 s14, exec_lo, s15
; %bb.283:                              ;   in Loop: Header=BB39_2 Depth=1
	v_lshlrev_b32_e32 v98, 2, v102
	ds_load_b32 v98, v98 offset:4
; %bb.284:                              ;   in Loop: Header=BB39_2 Depth=1
	s_wait_alu 0xfffe
	s_or_saveexec_b32 s14, s14
	v_mov_b32_e32 v101, v97
	s_wait_alu 0xfffe
	s_xor_b32 exec_lo, exec_lo, s14
	s_cbranch_execz .LBB39_286
; %bb.285:                              ;   in Loop: Header=BB39_2 Depth=1
	s_wait_dscnt 0x0
	v_lshlrev_b32_e32 v98, 2, v103
	ds_load_b32 v101, v98 offset:4
	v_mov_b32_e32 v98, v96
.LBB39_286:                             ;   in Loop: Header=BB39_2 Depth=1
	s_or_b32 exec_lo, exec_lo, s14
	v_add_nc_u32_e32 v104, 1, v102
	v_add_nc_u32_e32 v105, 1, v103
	s_wait_dscnt 0x0
	v_cmp_lt_i32_e64 s15, v101, v98
                                        ; implicit-def: $vgpr107
                                        ; implicit-def: $vgpr106
	s_delay_alu instid0(VALU_DEP_3) | instskip(NEXT) | instid1(VALU_DEP_3)
	v_cndmask_b32_e64 v108, v104, v102, s13
	v_cndmask_b32_e64 v104, v103, v105, s13
	s_delay_alu instid0(VALU_DEP_2) | instskip(NEXT) | instid1(VALU_DEP_2)
	v_cmp_le_i32_e64 s14, 0x800, v108
	v_cmp_gt_i32_e64 s16, 0x1000, v104
	s_or_b32 s14, s14, s15
	s_wait_alu 0xfffe
	s_and_b32 s14, s16, s14
	s_wait_alu 0xfffe
	s_xor_b32 s15, s14, -1
	s_wait_alu 0xfffe
	s_and_saveexec_b32 s16, s15
	s_wait_alu 0xfffe
	s_xor_b32 s15, exec_lo, s16
; %bb.287:                              ;   in Loop: Header=BB39_2 Depth=1
	v_lshlrev_b32_e32 v105, 2, v108
	v_add_nc_u32_e32 v106, 1, v108
	ds_load_b32 v107, v105 offset:4
; %bb.288:                              ;   in Loop: Header=BB39_2 Depth=1
	s_wait_alu 0xfffe
	s_or_saveexec_b32 s15, s15
	v_mov_b32_e32 v105, v108
	v_mov_b32_e32 v109, v101
	s_wait_alu 0xfffe
	s_xor_b32 exec_lo, exec_lo, s15
	s_cbranch_execz .LBB39_1
; %bb.289:                              ;   in Loop: Header=BB39_2 Depth=1
	v_dual_mov_b32 v106, v108 :: v_dual_lshlrev_b32 v105, 2, v104
	s_wait_dscnt 0x0
	v_add_nc_u32_e32 v107, 1, v104
	ds_load_b32 v109, v105 offset:4
	v_dual_mov_b32 v105, v104 :: v_dual_mov_b32 v104, v107
	v_mov_b32_e32 v107, v98
	s_branch .LBB39_1
.LBB39_290:
	s_wait_dscnt 0x7
	v_add_nc_u32_e32 v1, v84, v73
	v_lshlrev_b32_e32 v0, 2, v0
	s_wait_dscnt 0x6
	v_add_nc_u32_e32 v2, v85, v76
	s_wait_dscnt 0x5
	v_add_nc_u32_e32 v3, v81, v74
	;; [unrolled: 2-line block ×3, first 2 shown]
	s_add_nc_u64 s[0:1], s[46:47], s[48:49]
	s_wait_dscnt 0x3
	v_add_nc_u32_e32 v5, v82, v75
	s_wait_dscnt 0x2
	v_add_nc_u32_e32 v6, v80, v72
	;; [unrolled: 2-line block ×4, first 2 shown]
	s_clause 0x7
	global_store_b32 v0, v1, s[0:1]
	global_store_b32 v0, v2, s[0:1] offset:2048
	global_store_b32 v0, v3, s[0:1] offset:4096
	global_store_b32 v0, v4, s[0:1] offset:6144
	global_store_b32 v0, v5, s[0:1] offset:8192
	global_store_b32 v0, v6, s[0:1] offset:10240
	global_store_b32 v0, v7, s[0:1] offset:12288
	global_store_b32 v0, v8, s[0:1] offset:14336
	s_nop 0
	s_sendmsg sendmsg(MSG_DEALLOC_VGPRS)
	s_endpgm
	.section	.rodata,"a",@progbits
	.p2align	6, 0x0
	.amdhsa_kernel _Z17sort_pairs_kernelIiLj512ELj8EN10test_utils4lessELj10EEvPKT_PS2_T2_
		.amdhsa_group_segment_fixed_size 16388
		.amdhsa_private_segment_fixed_size 0
		.amdhsa_kernarg_size 20
		.amdhsa_user_sgpr_count 2
		.amdhsa_user_sgpr_dispatch_ptr 0
		.amdhsa_user_sgpr_queue_ptr 0
		.amdhsa_user_sgpr_kernarg_segment_ptr 1
		.amdhsa_user_sgpr_dispatch_id 0
		.amdhsa_user_sgpr_private_segment_size 0
		.amdhsa_wavefront_size32 1
		.amdhsa_uses_dynamic_stack 0
		.amdhsa_enable_private_segment 0
		.amdhsa_system_sgpr_workgroup_id_x 1
		.amdhsa_system_sgpr_workgroup_id_y 0
		.amdhsa_system_sgpr_workgroup_id_z 0
		.amdhsa_system_sgpr_workgroup_info 0
		.amdhsa_system_vgpr_workitem_id 0
		.amdhsa_next_free_vgpr 110
		.amdhsa_next_free_sgpr 52
		.amdhsa_reserve_vcc 1
		.amdhsa_float_round_mode_32 0
		.amdhsa_float_round_mode_16_64 0
		.amdhsa_float_denorm_mode_32 3
		.amdhsa_float_denorm_mode_16_64 3
		.amdhsa_fp16_overflow 0
		.amdhsa_workgroup_processor_mode 1
		.amdhsa_memory_ordered 1
		.amdhsa_forward_progress 1
		.amdhsa_inst_pref_size 139
		.amdhsa_round_robin_scheduling 0
		.amdhsa_exception_fp_ieee_invalid_op 0
		.amdhsa_exception_fp_denorm_src 0
		.amdhsa_exception_fp_ieee_div_zero 0
		.amdhsa_exception_fp_ieee_overflow 0
		.amdhsa_exception_fp_ieee_underflow 0
		.amdhsa_exception_fp_ieee_inexact 0
		.amdhsa_exception_int_div_zero 0
	.end_amdhsa_kernel
	.section	.text._Z17sort_pairs_kernelIiLj512ELj8EN10test_utils4lessELj10EEvPKT_PS2_T2_,"axG",@progbits,_Z17sort_pairs_kernelIiLj512ELj8EN10test_utils4lessELj10EEvPKT_PS2_T2_,comdat
.Lfunc_end39:
	.size	_Z17sort_pairs_kernelIiLj512ELj8EN10test_utils4lessELj10EEvPKT_PS2_T2_, .Lfunc_end39-_Z17sort_pairs_kernelIiLj512ELj8EN10test_utils4lessELj10EEvPKT_PS2_T2_
                                        ; -- End function
	.set _Z17sort_pairs_kernelIiLj512ELj8EN10test_utils4lessELj10EEvPKT_PS2_T2_.num_vgpr, 110
	.set _Z17sort_pairs_kernelIiLj512ELj8EN10test_utils4lessELj10EEvPKT_PS2_T2_.num_agpr, 0
	.set _Z17sort_pairs_kernelIiLj512ELj8EN10test_utils4lessELj10EEvPKT_PS2_T2_.numbered_sgpr, 52
	.set _Z17sort_pairs_kernelIiLj512ELj8EN10test_utils4lessELj10EEvPKT_PS2_T2_.num_named_barrier, 0
	.set _Z17sort_pairs_kernelIiLj512ELj8EN10test_utils4lessELj10EEvPKT_PS2_T2_.private_seg_size, 0
	.set _Z17sort_pairs_kernelIiLj512ELj8EN10test_utils4lessELj10EEvPKT_PS2_T2_.uses_vcc, 1
	.set _Z17sort_pairs_kernelIiLj512ELj8EN10test_utils4lessELj10EEvPKT_PS2_T2_.uses_flat_scratch, 0
	.set _Z17sort_pairs_kernelIiLj512ELj8EN10test_utils4lessELj10EEvPKT_PS2_T2_.has_dyn_sized_stack, 0
	.set _Z17sort_pairs_kernelIiLj512ELj8EN10test_utils4lessELj10EEvPKT_PS2_T2_.has_recursion, 0
	.set _Z17sort_pairs_kernelIiLj512ELj8EN10test_utils4lessELj10EEvPKT_PS2_T2_.has_indirect_call, 0
	.section	.AMDGPU.csdata,"",@progbits
; Kernel info:
; codeLenInByte = 17772
; TotalNumSgprs: 54
; NumVgprs: 110
; ScratchSize: 0
; MemoryBound: 0
; FloatMode: 240
; IeeeMode: 1
; LDSByteSize: 16388 bytes/workgroup (compile time only)
; SGPRBlocks: 0
; VGPRBlocks: 13
; NumSGPRsForWavesPerEU: 54
; NumVGPRsForWavesPerEU: 110
; Occupancy: 12
; WaveLimiterHint : 1
; COMPUTE_PGM_RSRC2:SCRATCH_EN: 0
; COMPUTE_PGM_RSRC2:USER_SGPR: 2
; COMPUTE_PGM_RSRC2:TRAP_HANDLER: 0
; COMPUTE_PGM_RSRC2:TGID_X_EN: 1
; COMPUTE_PGM_RSRC2:TGID_Y_EN: 0
; COMPUTE_PGM_RSRC2:TGID_Z_EN: 0
; COMPUTE_PGM_RSRC2:TIDIG_COMP_CNT: 0
	.section	.text._Z16sort_keys_kernelIaLj64ELj1EN10test_utils4lessELj10EEvPKT_PS2_T2_,"axG",@progbits,_Z16sort_keys_kernelIaLj64ELj1EN10test_utils4lessELj10EEvPKT_PS2_T2_,comdat
	.protected	_Z16sort_keys_kernelIaLj64ELj1EN10test_utils4lessELj10EEvPKT_PS2_T2_ ; -- Begin function _Z16sort_keys_kernelIaLj64ELj1EN10test_utils4lessELj10EEvPKT_PS2_T2_
	.globl	_Z16sort_keys_kernelIaLj64ELj1EN10test_utils4lessELj10EEvPKT_PS2_T2_
	.p2align	8
	.type	_Z16sort_keys_kernelIaLj64ELj1EN10test_utils4lessELj10EEvPKT_PS2_T2_,@function
_Z16sort_keys_kernelIaLj64ELj1EN10test_utils4lessELj10EEvPKT_PS2_T2_: ; @_Z16sort_keys_kernelIaLj64ELj1EN10test_utils4lessELj10EEvPKT_PS2_T2_
; %bb.0:
	s_load_b128 s[8:11], s[0:1], 0x0
	s_lshl_b32 s12, ttmp9, 6
	s_mov_b32 s13, 0
	v_and_b32_e32 v13, 1, v0
	v_and_b32_e32 v6, 56, v0
	;; [unrolled: 1-line block ×5, first 2 shown]
	v_add_nc_u32_e32 v7, -1, v13
	v_cmp_lt_i32_e32 vcc_lo, 0, v13
	v_and_b32_e32 v2, 60, v0
	v_or_b32_e32 v22, 4, v6
	v_add_nc_u32_e32 v10, 8, v6
	v_or_b32_e32 v32, 16, v17
	v_cndmask_b32_e32 v7, 0, v7, vcc_lo
	v_or_b32_e32 v14, 2, v2
	v_add_nc_u32_e32 v4, 4, v2
	v_sub_nc_u32_e32 v18, v10, v22
	v_add_nc_u32_e32 v21, 32, v17
	v_and_b32_e32 v33, 15, v0
	s_wait_kmcnt 0x0
	s_add_nc_u64 s[0:1], s[8:9], s[12:13]
	v_sub_nc_u32_e32 v11, v4, v14
	global_load_u8 v34, v0, s[0:1]
	v_sub_nc_u32_e32 v9, v14, v2
	v_add_nc_u32_e32 v14, v14, v15
	v_sub_nc_u32_e32 v19, v23, v18
	v_sub_nc_u32_e32 v12, v15, v11
	v_cmp_ge_i32_e32 vcc_lo, v15, v11
	v_cmp_ge_i32_e64 s1, v23, v18
	v_and_b32_e32 v1, 62, v0
	v_sub_nc_u32_e32 v16, v22, v6
	v_and_b32_e32 v35, 31, v0
	s_wait_alu 0xfffd
	v_cndmask_b32_e32 v11, 0, v12, vcc_lo
	v_min_i32_e32 v12, v15, v9
	v_and_b32_e32 v15, 48, v0
	v_cndmask_b32_e64 v18, 0, v19, s1
	v_sub_nc_u32_e32 v27, v21, v32
	v_or_b32_e32 v3, 1, v1
	v_min_i32_e32 v20, v23, v16
	v_or_b32_e32 v31, 8, v15
	v_add_nc_u32_e32 v19, 16, v15
	v_add_nc_u32_e32 v22, v22, v23
	v_sub_nc_u32_e32 v24, v32, v17
	v_sub_nc_u32_e32 v28, v35, v27
	;; [unrolled: 1-line block ×5, first 2 shown]
	v_sub_nc_u32_e64 v29, v0, 32 clamp
	v_min_i32_e32 v30, 32, v0
	v_cmp_lt_i32_e64 s0, v11, v12
	v_sub_nc_u32_e32 v26, v33, v25
	v_cmp_ge_i32_e64 s2, v33, v25
	v_min_i32_e32 v8, v13, v5
	v_add_nc_u32_e32 v13, v3, v13
	v_cmp_lt_i32_e64 s1, v18, v20
	v_add_nc_u32_e32 v31, v31, v33
	v_cndmask_b32_e64 v25, 0, v26, s2
	v_cmp_ge_i32_e64 s2, v35, v27
	v_min_i32_e32 v26, v33, v23
	v_add_nc_u32_e32 v32, v32, v35
	v_cmp_lt_i32_e64 s4, v29, v30
	v_add_nc_u32_e32 v33, 32, v0
	s_wait_alu 0xf1ff
	v_cndmask_b32_e64 v27, 0, v28, s2
	v_min_i32_e32 v28, v35, v24
	v_cmp_lt_i32_e64 s2, v25, v26
	s_mov_b32 s8, s13
	v_cmp_lt_i32_e32 vcc_lo, v7, v8
	v_cmp_lt_i32_e64 s3, v27, v28
	s_branch .LBB40_2
.LBB40_1:                               ;   in Loop: Header=BB40_2 Depth=1
	s_or_b32 exec_lo, exec_lo, s6
	v_sub_nc_u32_e32 v35, v33, v34
	v_cmp_le_i32_e64 s5, 32, v34
	s_add_co_i32 s8, s8, 1
	ds_load_u8 v36, v34
	ds_load_u8 v37, v35
	v_cmp_gt_i32_e64 s7, 64, v35
	s_wait_dscnt 0x1
	v_bfe_i32 v38, v36, 0, 8
	s_wait_dscnt 0x0
	v_bfe_i32 v39, v37, 0, 8
	s_delay_alu instid0(VALU_DEP_1)
	v_cmp_lt_i16_e64 s6, v39, v38
	s_or_b32 s5, s5, s6
	s_wait_alu 0xfffe
	s_and_b32 s5, s7, s5
	s_cmp_eq_u32 s8, 10
	s_wait_alu 0xfffe
	v_cndmask_b32_e64 v34, v36, v37, s5
	s_cbranch_scc1 .LBB40_26
.LBB40_2:                               ; =>This Loop Header: Depth=1
                                        ;     Child Loop BB40_4 Depth 2
                                        ;     Child Loop BB40_8 Depth 2
                                        ;     Child Loop BB40_12 Depth 2
                                        ;     Child Loop BB40_16 Depth 2
                                        ;     Child Loop BB40_20 Depth 2
                                        ;     Child Loop BB40_24 Depth 2
	s_wait_loadcnt 0x0
	s_barrier_signal -1
	s_barrier_wait -1
	global_inv scope:SCOPE_SE
	ds_store_b8 v0, v34
	v_mov_b32_e32 v34, v7
	s_wait_loadcnt_dscnt 0x0
	s_barrier_signal -1
	s_barrier_wait -1
	global_inv scope:SCOPE_SE
	s_and_saveexec_b32 s6, vcc_lo
	s_cbranch_execz .LBB40_6
; %bb.3:                                ;   in Loop: Header=BB40_2 Depth=1
	v_dual_mov_b32 v34, v7 :: v_dual_mov_b32 v35, v8
	s_mov_b32 s7, 0
.LBB40_4:                               ;   Parent Loop BB40_2 Depth=1
                                        ; =>  This Inner Loop Header: Depth=2
	s_delay_alu instid0(VALU_DEP_1) | instskip(NEXT) | instid1(VALU_DEP_1)
	v_sub_nc_u32_e32 v36, v35, v34
	v_lshrrev_b32_e32 v36, 1, v36
	s_delay_alu instid0(VALU_DEP_1) | instskip(NEXT) | instid1(VALU_DEP_1)
	v_add_nc_u32_e32 v36, v36, v34
	v_add_nc_u32_e32 v37, v1, v36
	v_xad_u32 v38, v36, -1, v13
	v_add_nc_u32_e32 v39, 1, v36
	ds_load_i8 v37, v37
	ds_load_i8 v38, v38
	s_wait_dscnt 0x0
	v_cmp_lt_i16_e64 s5, v38, v37
	s_wait_alu 0xf1ff
	s_delay_alu instid0(VALU_DEP_1) | instskip(SKIP_1) | instid1(VALU_DEP_1)
	v_cndmask_b32_e64 v35, v35, v36, s5
	v_cndmask_b32_e64 v34, v39, v34, s5
	v_cmp_ge_i32_e64 s5, v34, v35
	s_or_b32 s7, s5, s7
	s_delay_alu instid0(SALU_CYCLE_1)
	s_and_not1_b32 exec_lo, exec_lo, s7
	s_cbranch_execnz .LBB40_4
; %bb.5:                                ;   in Loop: Header=BB40_2 Depth=1
	s_or_b32 exec_lo, exec_lo, s7
.LBB40_6:                               ;   in Loop: Header=BB40_2 Depth=1
	s_delay_alu instid0(SALU_CYCLE_1)
	s_or_b32 exec_lo, exec_lo, s6
	v_add_nc_u32_e32 v35, v1, v34
	v_sub_nc_u32_e32 v36, v13, v34
	v_cmp_ge_i32_e64 s5, v34, v5
	v_mov_b32_e32 v34, v11
	ds_load_u8 v35, v35
	ds_load_u8 v37, v36
	v_cmp_ge_i32_e64 s7, v3, v36
	s_wait_loadcnt_dscnt 0x0
	s_barrier_signal -1
	s_barrier_wait -1
	global_inv scope:SCOPE_SE
	v_bfe_i32 v38, v35, 0, 8
	v_bfe_i32 v39, v37, 0, 8
	s_delay_alu instid0(VALU_DEP_1)
	v_cmp_lt_i16_e64 s6, v39, v38
	s_or_b32 s5, s5, s6
	s_wait_alu 0xfffe
	s_and_b32 s5, s7, s5
	s_wait_alu 0xfffe
	v_cndmask_b32_e64 v35, v35, v37, s5
	ds_store_b8 v0, v35
	s_wait_loadcnt_dscnt 0x0
	s_barrier_signal -1
	s_barrier_wait -1
	global_inv scope:SCOPE_SE
	s_and_saveexec_b32 s6, s0
	s_cbranch_execz .LBB40_10
; %bb.7:                                ;   in Loop: Header=BB40_2 Depth=1
	v_dual_mov_b32 v34, v11 :: v_dual_mov_b32 v35, v12
	s_mov_b32 s7, 0
.LBB40_8:                               ;   Parent Loop BB40_2 Depth=1
                                        ; =>  This Inner Loop Header: Depth=2
	s_delay_alu instid0(VALU_DEP_1) | instskip(NEXT) | instid1(VALU_DEP_1)
	v_sub_nc_u32_e32 v36, v35, v34
	v_lshrrev_b32_e32 v36, 1, v36
	s_delay_alu instid0(VALU_DEP_1) | instskip(NEXT) | instid1(VALU_DEP_1)
	v_add_nc_u32_e32 v36, v36, v34
	v_add_nc_u32_e32 v37, v2, v36
	v_xad_u32 v38, v36, -1, v14
	v_add_nc_u32_e32 v39, 1, v36
	ds_load_i8 v37, v37
	ds_load_i8 v38, v38
	s_wait_dscnt 0x0
	v_cmp_lt_i16_e64 s5, v38, v37
	s_wait_alu 0xf1ff
	s_delay_alu instid0(VALU_DEP_1) | instskip(SKIP_1) | instid1(VALU_DEP_1)
	v_cndmask_b32_e64 v35, v35, v36, s5
	v_cndmask_b32_e64 v34, v39, v34, s5
	v_cmp_ge_i32_e64 s5, v34, v35
	s_or_b32 s7, s5, s7
	s_delay_alu instid0(SALU_CYCLE_1)
	s_and_not1_b32 exec_lo, exec_lo, s7
	s_cbranch_execnz .LBB40_8
; %bb.9:                                ;   in Loop: Header=BB40_2 Depth=1
	s_or_b32 exec_lo, exec_lo, s7
.LBB40_10:                              ;   in Loop: Header=BB40_2 Depth=1
	s_delay_alu instid0(SALU_CYCLE_1)
	s_or_b32 exec_lo, exec_lo, s6
	v_add_nc_u32_e32 v35, v2, v34
	v_sub_nc_u32_e32 v36, v14, v34
	v_cmp_ge_i32_e64 s5, v34, v9
	v_mov_b32_e32 v34, v18
	ds_load_u8 v35, v35
	ds_load_u8 v37, v36
	v_cmp_gt_i32_e64 s7, v4, v36
	s_wait_loadcnt_dscnt 0x0
	s_barrier_signal -1
	s_barrier_wait -1
	global_inv scope:SCOPE_SE
	v_bfe_i32 v38, v35, 0, 8
	v_bfe_i32 v39, v37, 0, 8
	s_delay_alu instid0(VALU_DEP_1)
	v_cmp_lt_i16_e64 s6, v39, v38
	s_or_b32 s5, s5, s6
	s_wait_alu 0xfffe
	s_and_b32 s5, s7, s5
	s_wait_alu 0xfffe
	v_cndmask_b32_e64 v35, v35, v37, s5
	ds_store_b8 v0, v35
	s_wait_loadcnt_dscnt 0x0
	s_barrier_signal -1
	s_barrier_wait -1
	global_inv scope:SCOPE_SE
	s_and_saveexec_b32 s6, s1
	s_cbranch_execz .LBB40_14
; %bb.11:                               ;   in Loop: Header=BB40_2 Depth=1
	v_dual_mov_b32 v34, v18 :: v_dual_mov_b32 v35, v20
	s_mov_b32 s7, 0
.LBB40_12:                              ;   Parent Loop BB40_2 Depth=1
                                        ; =>  This Inner Loop Header: Depth=2
	s_delay_alu instid0(VALU_DEP_1) | instskip(NEXT) | instid1(VALU_DEP_1)
	v_sub_nc_u32_e32 v36, v35, v34
	v_lshrrev_b32_e32 v36, 1, v36
	s_delay_alu instid0(VALU_DEP_1) | instskip(NEXT) | instid1(VALU_DEP_1)
	v_add_nc_u32_e32 v36, v36, v34
	v_add_nc_u32_e32 v37, v6, v36
	v_xad_u32 v38, v36, -1, v22
	v_add_nc_u32_e32 v39, 1, v36
	ds_load_i8 v37, v37
	ds_load_i8 v38, v38
	s_wait_dscnt 0x0
	v_cmp_lt_i16_e64 s5, v38, v37
	s_wait_alu 0xf1ff
	s_delay_alu instid0(VALU_DEP_1) | instskip(SKIP_1) | instid1(VALU_DEP_1)
	v_cndmask_b32_e64 v35, v35, v36, s5
	v_cndmask_b32_e64 v34, v39, v34, s5
	v_cmp_ge_i32_e64 s5, v34, v35
	s_or_b32 s7, s5, s7
	s_delay_alu instid0(SALU_CYCLE_1)
	s_and_not1_b32 exec_lo, exec_lo, s7
	s_cbranch_execnz .LBB40_12
; %bb.13:                               ;   in Loop: Header=BB40_2 Depth=1
	s_or_b32 exec_lo, exec_lo, s7
.LBB40_14:                              ;   in Loop: Header=BB40_2 Depth=1
	s_delay_alu instid0(SALU_CYCLE_1)
	s_or_b32 exec_lo, exec_lo, s6
	v_add_nc_u32_e32 v35, v6, v34
	v_sub_nc_u32_e32 v36, v22, v34
	v_cmp_ge_i32_e64 s5, v34, v16
	v_mov_b32_e32 v34, v25
	ds_load_u8 v35, v35
	ds_load_u8 v37, v36
	v_cmp_gt_i32_e64 s7, v10, v36
	s_wait_loadcnt_dscnt 0x0
	s_barrier_signal -1
	s_barrier_wait -1
	global_inv scope:SCOPE_SE
	v_bfe_i32 v38, v35, 0, 8
	v_bfe_i32 v39, v37, 0, 8
	s_delay_alu instid0(VALU_DEP_1)
	v_cmp_lt_i16_e64 s6, v39, v38
	s_or_b32 s5, s5, s6
	s_wait_alu 0xfffe
	s_and_b32 s5, s7, s5
	s_wait_alu 0xfffe
	v_cndmask_b32_e64 v35, v35, v37, s5
	ds_store_b8 v0, v35
	s_wait_loadcnt_dscnt 0x0
	s_barrier_signal -1
	s_barrier_wait -1
	global_inv scope:SCOPE_SE
	s_and_saveexec_b32 s6, s2
	s_cbranch_execz .LBB40_18
; %bb.15:                               ;   in Loop: Header=BB40_2 Depth=1
	v_dual_mov_b32 v34, v25 :: v_dual_mov_b32 v35, v26
	s_mov_b32 s7, 0
.LBB40_16:                              ;   Parent Loop BB40_2 Depth=1
                                        ; =>  This Inner Loop Header: Depth=2
	s_delay_alu instid0(VALU_DEP_1) | instskip(NEXT) | instid1(VALU_DEP_1)
	v_sub_nc_u32_e32 v36, v35, v34
	v_lshrrev_b32_e32 v36, 1, v36
	s_delay_alu instid0(VALU_DEP_1) | instskip(NEXT) | instid1(VALU_DEP_1)
	v_add_nc_u32_e32 v36, v36, v34
	v_add_nc_u32_e32 v37, v15, v36
	v_xad_u32 v38, v36, -1, v31
	v_add_nc_u32_e32 v39, 1, v36
	ds_load_i8 v37, v37
	ds_load_i8 v38, v38
	s_wait_dscnt 0x0
	v_cmp_lt_i16_e64 s5, v38, v37
	s_wait_alu 0xf1ff
	s_delay_alu instid0(VALU_DEP_1) | instskip(SKIP_1) | instid1(VALU_DEP_1)
	v_cndmask_b32_e64 v35, v35, v36, s5
	v_cndmask_b32_e64 v34, v39, v34, s5
	v_cmp_ge_i32_e64 s5, v34, v35
	s_or_b32 s7, s5, s7
	s_delay_alu instid0(SALU_CYCLE_1)
	s_and_not1_b32 exec_lo, exec_lo, s7
	s_cbranch_execnz .LBB40_16
; %bb.17:                               ;   in Loop: Header=BB40_2 Depth=1
	s_or_b32 exec_lo, exec_lo, s7
.LBB40_18:                              ;   in Loop: Header=BB40_2 Depth=1
	;; [unrolled: 58-line block ×3, first 2 shown]
	s_delay_alu instid0(SALU_CYCLE_1)
	s_or_b32 exec_lo, exec_lo, s6
	v_add_nc_u32_e32 v35, v17, v34
	v_sub_nc_u32_e32 v36, v32, v34
	v_cmp_ge_i32_e64 s5, v34, v24
	v_mov_b32_e32 v34, v29
	ds_load_u8 v35, v35
	ds_load_u8 v37, v36
	v_cmp_gt_i32_e64 s7, v21, v36
	s_wait_loadcnt_dscnt 0x0
	s_barrier_signal -1
	s_barrier_wait -1
	global_inv scope:SCOPE_SE
	v_bfe_i32 v38, v35, 0, 8
	v_bfe_i32 v39, v37, 0, 8
	s_delay_alu instid0(VALU_DEP_1)
	v_cmp_lt_i16_e64 s6, v39, v38
	s_or_b32 s5, s5, s6
	s_wait_alu 0xfffe
	s_and_b32 s5, s7, s5
	s_wait_alu 0xfffe
	v_cndmask_b32_e64 v35, v35, v37, s5
	ds_store_b8 v0, v35
	s_wait_loadcnt_dscnt 0x0
	s_barrier_signal -1
	s_barrier_wait -1
	global_inv scope:SCOPE_SE
	s_and_saveexec_b32 s6, s4
	s_cbranch_execz .LBB40_1
; %bb.23:                               ;   in Loop: Header=BB40_2 Depth=1
	v_dual_mov_b32 v34, v29 :: v_dual_mov_b32 v35, v30
	s_mov_b32 s7, 0
.LBB40_24:                              ;   Parent Loop BB40_2 Depth=1
                                        ; =>  This Inner Loop Header: Depth=2
	s_delay_alu instid0(VALU_DEP_1) | instskip(NEXT) | instid1(VALU_DEP_1)
	v_sub_nc_u32_e32 v36, v35, v34
	v_lshrrev_b32_e32 v36, 1, v36
	s_delay_alu instid0(VALU_DEP_1) | instskip(NEXT) | instid1(VALU_DEP_1)
	v_add_nc_u32_e32 v36, v36, v34
	v_xad_u32 v37, v36, -1, v33
	v_add_nc_u32_e32 v39, 1, v36
	ds_load_i8 v38, v36
	ds_load_i8 v37, v37
	s_wait_dscnt 0x0
	v_cmp_lt_i16_e64 s5, v37, v38
	s_wait_alu 0xf1ff
	s_delay_alu instid0(VALU_DEP_1) | instskip(SKIP_1) | instid1(VALU_DEP_1)
	v_cndmask_b32_e64 v35, v35, v36, s5
	v_cndmask_b32_e64 v34, v39, v34, s5
	v_cmp_ge_i32_e64 s5, v34, v35
	s_or_b32 s7, s5, s7
	s_delay_alu instid0(SALU_CYCLE_1)
	s_and_not1_b32 exec_lo, exec_lo, s7
	s_cbranch_execnz .LBB40_24
; %bb.25:                               ;   in Loop: Header=BB40_2 Depth=1
	s_or_b32 exec_lo, exec_lo, s7
	s_branch .LBB40_1
.LBB40_26:
	s_add_nc_u64 s[0:1], s[10:11], s[12:13]
	s_wait_alu 0xfffe
	v_add_co_u32 v0, s0, s0, v0
	s_wait_alu 0xf1ff
	v_add_co_ci_u32_e64 v1, null, s1, 0, s0
	global_store_b8 v[0:1], v34, off
	s_endpgm
	.section	.rodata,"a",@progbits
	.p2align	6, 0x0
	.amdhsa_kernel _Z16sort_keys_kernelIaLj64ELj1EN10test_utils4lessELj10EEvPKT_PS2_T2_
		.amdhsa_group_segment_fixed_size 65
		.amdhsa_private_segment_fixed_size 0
		.amdhsa_kernarg_size 20
		.amdhsa_user_sgpr_count 2
		.amdhsa_user_sgpr_dispatch_ptr 0
		.amdhsa_user_sgpr_queue_ptr 0
		.amdhsa_user_sgpr_kernarg_segment_ptr 1
		.amdhsa_user_sgpr_dispatch_id 0
		.amdhsa_user_sgpr_private_segment_size 0
		.amdhsa_wavefront_size32 1
		.amdhsa_uses_dynamic_stack 0
		.amdhsa_enable_private_segment 0
		.amdhsa_system_sgpr_workgroup_id_x 1
		.amdhsa_system_sgpr_workgroup_id_y 0
		.amdhsa_system_sgpr_workgroup_id_z 0
		.amdhsa_system_sgpr_workgroup_info 0
		.amdhsa_system_vgpr_workitem_id 0
		.amdhsa_next_free_vgpr 40
		.amdhsa_next_free_sgpr 14
		.amdhsa_reserve_vcc 1
		.amdhsa_float_round_mode_32 0
		.amdhsa_float_round_mode_16_64 0
		.amdhsa_float_denorm_mode_32 3
		.amdhsa_float_denorm_mode_16_64 3
		.amdhsa_fp16_overflow 0
		.amdhsa_workgroup_processor_mode 1
		.amdhsa_memory_ordered 1
		.amdhsa_forward_progress 1
		.amdhsa_inst_pref_size 18
		.amdhsa_round_robin_scheduling 0
		.amdhsa_exception_fp_ieee_invalid_op 0
		.amdhsa_exception_fp_denorm_src 0
		.amdhsa_exception_fp_ieee_div_zero 0
		.amdhsa_exception_fp_ieee_overflow 0
		.amdhsa_exception_fp_ieee_underflow 0
		.amdhsa_exception_fp_ieee_inexact 0
		.amdhsa_exception_int_div_zero 0
	.end_amdhsa_kernel
	.section	.text._Z16sort_keys_kernelIaLj64ELj1EN10test_utils4lessELj10EEvPKT_PS2_T2_,"axG",@progbits,_Z16sort_keys_kernelIaLj64ELj1EN10test_utils4lessELj10EEvPKT_PS2_T2_,comdat
.Lfunc_end40:
	.size	_Z16sort_keys_kernelIaLj64ELj1EN10test_utils4lessELj10EEvPKT_PS2_T2_, .Lfunc_end40-_Z16sort_keys_kernelIaLj64ELj1EN10test_utils4lessELj10EEvPKT_PS2_T2_
                                        ; -- End function
	.set _Z16sort_keys_kernelIaLj64ELj1EN10test_utils4lessELj10EEvPKT_PS2_T2_.num_vgpr, 40
	.set _Z16sort_keys_kernelIaLj64ELj1EN10test_utils4lessELj10EEvPKT_PS2_T2_.num_agpr, 0
	.set _Z16sort_keys_kernelIaLj64ELj1EN10test_utils4lessELj10EEvPKT_PS2_T2_.numbered_sgpr, 14
	.set _Z16sort_keys_kernelIaLj64ELj1EN10test_utils4lessELj10EEvPKT_PS2_T2_.num_named_barrier, 0
	.set _Z16sort_keys_kernelIaLj64ELj1EN10test_utils4lessELj10EEvPKT_PS2_T2_.private_seg_size, 0
	.set _Z16sort_keys_kernelIaLj64ELj1EN10test_utils4lessELj10EEvPKT_PS2_T2_.uses_vcc, 1
	.set _Z16sort_keys_kernelIaLj64ELj1EN10test_utils4lessELj10EEvPKT_PS2_T2_.uses_flat_scratch, 0
	.set _Z16sort_keys_kernelIaLj64ELj1EN10test_utils4lessELj10EEvPKT_PS2_T2_.has_dyn_sized_stack, 0
	.set _Z16sort_keys_kernelIaLj64ELj1EN10test_utils4lessELj10EEvPKT_PS2_T2_.has_recursion, 0
	.set _Z16sort_keys_kernelIaLj64ELj1EN10test_utils4lessELj10EEvPKT_PS2_T2_.has_indirect_call, 0
	.section	.AMDGPU.csdata,"",@progbits
; Kernel info:
; codeLenInByte = 2180
; TotalNumSgprs: 16
; NumVgprs: 40
; ScratchSize: 0
; MemoryBound: 0
; FloatMode: 240
; IeeeMode: 1
; LDSByteSize: 65 bytes/workgroup (compile time only)
; SGPRBlocks: 0
; VGPRBlocks: 4
; NumSGPRsForWavesPerEU: 16
; NumVGPRsForWavesPerEU: 40
; Occupancy: 16
; WaveLimiterHint : 0
; COMPUTE_PGM_RSRC2:SCRATCH_EN: 0
; COMPUTE_PGM_RSRC2:USER_SGPR: 2
; COMPUTE_PGM_RSRC2:TRAP_HANDLER: 0
; COMPUTE_PGM_RSRC2:TGID_X_EN: 1
; COMPUTE_PGM_RSRC2:TGID_Y_EN: 0
; COMPUTE_PGM_RSRC2:TGID_Z_EN: 0
; COMPUTE_PGM_RSRC2:TIDIG_COMP_CNT: 0
	.section	.text._Z17sort_pairs_kernelIaLj64ELj1EN10test_utils4lessELj10EEvPKT_PS2_T2_,"axG",@progbits,_Z17sort_pairs_kernelIaLj64ELj1EN10test_utils4lessELj10EEvPKT_PS2_T2_,comdat
	.protected	_Z17sort_pairs_kernelIaLj64ELj1EN10test_utils4lessELj10EEvPKT_PS2_T2_ ; -- Begin function _Z17sort_pairs_kernelIaLj64ELj1EN10test_utils4lessELj10EEvPKT_PS2_T2_
	.globl	_Z17sort_pairs_kernelIaLj64ELj1EN10test_utils4lessELj10EEvPKT_PS2_T2_
	.p2align	8
	.type	_Z17sort_pairs_kernelIaLj64ELj1EN10test_utils4lessELj10EEvPKT_PS2_T2_,@function
_Z17sort_pairs_kernelIaLj64ELj1EN10test_utils4lessELj10EEvPKT_PS2_T2_: ; @_Z17sort_pairs_kernelIaLj64ELj1EN10test_utils4lessELj10EEvPKT_PS2_T2_
; %bb.0:
	s_load_b128 s[8:11], s[0:1], 0x0
	s_lshl_b32 s12, ttmp9, 6
	s_mov_b32 s13, 0
	v_and_b32_e32 v2, 60, v0
	v_and_b32_e32 v1, 62, v0
	;; [unrolled: 1-line block ×5, first 2 shown]
	v_or_b32_e32 v9, 2, v2
	v_add_nc_u32_e32 v10, 4, v2
	v_and_b32_e32 v4, 48, v0
	v_or_b32_e32 v8, 1, v1
	v_add_nc_u32_e32 v17, -1, v23
	v_or_b32_e32 v11, 4, v3
	v_add_nc_u32_e32 v12, 8, v3
	v_sub_nc_u32_e32 v32, v10, v9
	v_and_b32_e32 v29, 7, v0
	v_and_b32_e32 v5, 32, v0
	v_or_b32_e32 v13, 8, v4
	v_add_nc_u32_e32 v14, 16, v4
	s_wait_kmcnt 0x0
	s_add_nc_u64 s[0:1], s[8:9], s[12:13]
	v_sub_nc_u32_e32 v24, v8, v1
	global_load_u8 v33, v0, s[0:1]
	v_cmp_lt_i32_e64 s0, 0, v23
	v_sub_nc_u32_e32 v25, v9, v2
	v_sub_nc_u32_e32 v34, v12, v11
	v_sub_nc_u32_e32 v38, v28, v32
	v_and_b32_e32 v30, 15, v0
	v_cndmask_b32_e64 v17, 0, v17, s0
	v_cmp_ge_i32_e64 s0, v28, v32
	v_or_b32_e32 v15, 16, v5
	v_add_nc_u32_e32 v16, 32, v5
	v_add_nc_u32_e32 v18, v8, v23
	;; [unrolled: 1-line block ×3, first 2 shown]
	v_sub_nc_u32_e32 v26, v11, v3
	v_sub_nc_u32_e32 v35, v14, v13
	v_min_i32_e32 v23, v23, v24
	v_min_i32_e32 v24, v28, v25
	v_sub_nc_u32_e32 v39, v29, v34
	s_wait_alu 0xf1ff
	v_cndmask_b32_e64 v28, 0, v38, s0
	v_cmp_ge_i32_e64 s0, v29, v34
	v_and_b32_e32 v31, 31, v0
	v_add_nc_u32_e32 v20, v11, v29
	v_sub_nc_u32_e32 v27, v13, v4
	v_sub_nc_u32_e32 v37, v16, v15
	v_min_i32_e32 v25, v29, v26
	v_sub_nc_u32_e32 v40, v30, v35
	s_wait_alu 0xf1ff
	v_cndmask_b32_e64 v29, 0, v39, s0
	v_cmp_ge_i32_e64 s0, v30, v35
	v_add_nc_u32_e32 v21, v13, v30
	v_sub_nc_u32_e32 v36, v15, v5
	v_min_i32_e32 v26, v30, v27
	v_sub_nc_u32_e32 v41, v31, v37
	s_wait_alu 0xf1ff
	v_cndmask_b32_e64 v30, 0, v40, s0
	v_cmp_ge_i32_e64 s0, v31, v37
	v_add_nc_u32_e32 v22, v15, v31
	v_min_i32_e32 v27, v31, v36
	v_sub_nc_u32_e64 v6, v0, 32 clamp
	v_min_i32_e32 v7, 32, v0
	s_wait_alu 0xf1ff
	v_cndmask_b32_e64 v31, 0, v41, s0
	v_cmp_lt_i32_e64 s0, v17, v23
	v_cmp_lt_i32_e64 s1, v28, v24
	v_cmp_lt_i32_e64 s2, v29, v25
	v_cmp_lt_i32_e64 s3, v30, v26
	v_cmp_lt_i32_e64 s4, v31, v27
	v_add_nc_u32_e32 v32, 32, v0
	s_mov_b32 s8, s13
	v_cmp_lt_i32_e32 vcc_lo, v6, v7
	s_wait_loadcnt 0x0
	v_add_nc_u16 v34, v33, 1
	s_branch .LBB41_2
.LBB41_1:                               ;   in Loop: Header=BB41_2 Depth=1
	s_or_b32 exec_lo, exec_lo, s6
	v_sub_nc_u32_e32 v36, v32, v35
	v_cmp_le_i32_e64 s5, 32, v35
	s_add_co_i32 s8, s8, 1
	ds_load_u8 v33, v35
	ds_load_u8 v37, v36
	v_cmp_gt_i32_e64 s7, 64, v36
	s_wait_loadcnt_dscnt 0x0
	s_barrier_signal -1
	s_barrier_wait -1
	global_inv scope:SCOPE_SE
	ds_store_b8 v0, v34
	s_wait_loadcnt_dscnt 0x0
	s_barrier_signal -1
	s_barrier_wait -1
	global_inv scope:SCOPE_SE
	v_bfe_i32 v38, v33, 0, 8
	v_bfe_i32 v39, v37, 0, 8
	s_delay_alu instid0(VALU_DEP_1)
	v_cmp_lt_i16_e64 s6, v39, v38
	s_or_b32 s5, s5, s6
	s_wait_alu 0xfffe
	s_and_b32 s5, s7, s5
	s_cmp_eq_u32 s8, 10
	s_wait_alu 0xfffe
	v_cndmask_b32_e64 v35, v35, v36, s5
	v_cndmask_b32_e64 v33, v33, v37, s5
	ds_load_u8 v34, v35
	s_cbranch_scc1 .LBB41_26
.LBB41_2:                               ; =>This Loop Header: Depth=1
                                        ;     Child Loop BB41_4 Depth 2
                                        ;     Child Loop BB41_8 Depth 2
	;; [unrolled: 1-line block ×6, first 2 shown]
	s_barrier_signal -1
	s_barrier_wait -1
	global_inv scope:SCOPE_SE
	ds_store_b8 v0, v33
	v_mov_b32_e32 v33, v17
	s_wait_loadcnt_dscnt 0x0
	s_barrier_signal -1
	s_barrier_wait -1
	global_inv scope:SCOPE_SE
	s_and_saveexec_b32 s6, s0
	s_cbranch_execz .LBB41_6
; %bb.3:                                ;   in Loop: Header=BB41_2 Depth=1
	v_mov_b32_e32 v33, v17
	v_mov_b32_e32 v35, v23
	s_mov_b32 s7, 0
.LBB41_4:                               ;   Parent Loop BB41_2 Depth=1
                                        ; =>  This Inner Loop Header: Depth=2
	s_delay_alu instid0(VALU_DEP_1) | instskip(NEXT) | instid1(VALU_DEP_1)
	v_sub_nc_u32_e32 v36, v35, v33
	v_lshrrev_b32_e32 v36, 1, v36
	s_delay_alu instid0(VALU_DEP_1) | instskip(NEXT) | instid1(VALU_DEP_1)
	v_add_nc_u32_e32 v36, v36, v33
	v_add_nc_u32_e32 v37, v1, v36
	v_xad_u32 v38, v36, -1, v18
	v_add_nc_u32_e32 v39, 1, v36
	ds_load_i8 v37, v37
	ds_load_i8 v38, v38
	s_wait_dscnt 0x0
	v_cmp_lt_i16_e64 s5, v38, v37
	s_wait_alu 0xf1ff
	s_delay_alu instid0(VALU_DEP_1) | instskip(SKIP_1) | instid1(VALU_DEP_1)
	v_cndmask_b32_e64 v35, v35, v36, s5
	v_cndmask_b32_e64 v33, v39, v33, s5
	v_cmp_ge_i32_e64 s5, v33, v35
	s_or_b32 s7, s5, s7
	s_delay_alu instid0(SALU_CYCLE_1)
	s_and_not1_b32 exec_lo, exec_lo, s7
	s_cbranch_execnz .LBB41_4
; %bb.5:                                ;   in Loop: Header=BB41_2 Depth=1
	s_or_b32 exec_lo, exec_lo, s7
.LBB41_6:                               ;   in Loop: Header=BB41_2 Depth=1
	s_delay_alu instid0(SALU_CYCLE_1)
	s_or_b32 exec_lo, exec_lo, s6
	v_add_nc_u32_e32 v35, v33, v1
	v_sub_nc_u32_e32 v33, v18, v33
	ds_load_u8 v36, v35
	ds_load_u8 v37, v33
	s_wait_loadcnt_dscnt 0x0
	s_barrier_signal -1
	s_barrier_wait -1
	global_inv scope:SCOPE_SE
	ds_store_b8 v0, v34
	v_mov_b32_e32 v34, v28
	v_cmp_le_i32_e64 s5, v8, v35
	v_cmp_ge_i32_e64 s7, v8, v33
	s_wait_loadcnt_dscnt 0x0
	s_barrier_signal -1
	s_barrier_wait -1
	global_inv scope:SCOPE_SE
	v_bfe_i32 v38, v36, 0, 8
	v_bfe_i32 v39, v37, 0, 8
	s_delay_alu instid0(VALU_DEP_1)
	v_cmp_lt_i16_e64 s6, v39, v38
	s_or_b32 s5, s5, s6
	s_wait_alu 0xfffe
	s_and_b32 s5, s7, s5
	s_wait_alu 0xfffe
	v_cndmask_b32_e64 v33, v35, v33, s5
	v_cndmask_b32_e64 v36, v36, v37, s5
	ds_load_u8 v33, v33
	s_wait_loadcnt_dscnt 0x0
	s_barrier_signal -1
	s_barrier_wait -1
	global_inv scope:SCOPE_SE
	ds_store_b8 v0, v36
	s_wait_loadcnt_dscnt 0x0
	s_barrier_signal -1
	s_barrier_wait -1
	global_inv scope:SCOPE_SE
	s_and_saveexec_b32 s6, s1
	s_cbranch_execz .LBB41_10
; %bb.7:                                ;   in Loop: Header=BB41_2 Depth=1
	v_dual_mov_b32 v34, v28 :: v_dual_mov_b32 v35, v24
	s_mov_b32 s7, 0
.LBB41_8:                               ;   Parent Loop BB41_2 Depth=1
                                        ; =>  This Inner Loop Header: Depth=2
	s_delay_alu instid0(VALU_DEP_1) | instskip(NEXT) | instid1(VALU_DEP_1)
	v_sub_nc_u32_e32 v36, v35, v34
	v_lshrrev_b32_e32 v36, 1, v36
	s_delay_alu instid0(VALU_DEP_1) | instskip(NEXT) | instid1(VALU_DEP_1)
	v_add_nc_u32_e32 v36, v36, v34
	v_add_nc_u32_e32 v37, v2, v36
	v_xad_u32 v38, v36, -1, v19
	v_add_nc_u32_e32 v39, 1, v36
	ds_load_i8 v37, v37
	ds_load_i8 v38, v38
	s_wait_dscnt 0x0
	v_cmp_lt_i16_e64 s5, v38, v37
	s_wait_alu 0xf1ff
	s_delay_alu instid0(VALU_DEP_1) | instskip(SKIP_1) | instid1(VALU_DEP_1)
	v_cndmask_b32_e64 v35, v35, v36, s5
	v_cndmask_b32_e64 v34, v39, v34, s5
	v_cmp_ge_i32_e64 s5, v34, v35
	s_or_b32 s7, s5, s7
	s_delay_alu instid0(SALU_CYCLE_1)
	s_and_not1_b32 exec_lo, exec_lo, s7
	s_cbranch_execnz .LBB41_8
; %bb.9:                                ;   in Loop: Header=BB41_2 Depth=1
	s_or_b32 exec_lo, exec_lo, s7
.LBB41_10:                              ;   in Loop: Header=BB41_2 Depth=1
	s_delay_alu instid0(SALU_CYCLE_1)
	s_or_b32 exec_lo, exec_lo, s6
	v_add_nc_u32_e32 v35, v34, v2
	v_sub_nc_u32_e32 v34, v19, v34
	ds_load_u8 v36, v35
	ds_load_u8 v37, v34
	v_cmp_le_i32_e64 s5, v9, v35
	v_cmp_gt_i32_e64 s7, v10, v34
	s_wait_loadcnt_dscnt 0x0
	s_barrier_signal -1
	s_barrier_wait -1
	global_inv scope:SCOPE_SE
	ds_store_b8 v0, v33
	s_wait_loadcnt_dscnt 0x0
	s_barrier_signal -1
	s_barrier_wait -1
	global_inv scope:SCOPE_SE
	v_bfe_i32 v38, v36, 0, 8
	v_bfe_i32 v39, v37, 0, 8
	s_delay_alu instid0(VALU_DEP_1)
	v_cmp_lt_i16_e64 s6, v39, v38
	s_or_b32 s5, s5, s6
	s_wait_alu 0xfffe
	s_and_b32 s5, s7, s5
	s_wait_alu 0xfffe
	v_cndmask_b32_e64 v34, v35, v34, s5
	v_cndmask_b32_e64 v36, v36, v37, s5
	ds_load_u8 v33, v34
	v_mov_b32_e32 v34, v29
	s_wait_loadcnt_dscnt 0x0
	s_barrier_signal -1
	s_barrier_wait -1
	global_inv scope:SCOPE_SE
	ds_store_b8 v0, v36
	s_wait_loadcnt_dscnt 0x0
	s_barrier_signal -1
	s_barrier_wait -1
	global_inv scope:SCOPE_SE
	s_and_saveexec_b32 s6, s2
	s_cbranch_execz .LBB41_14
; %bb.11:                               ;   in Loop: Header=BB41_2 Depth=1
	v_dual_mov_b32 v34, v29 :: v_dual_mov_b32 v35, v25
	s_mov_b32 s7, 0
.LBB41_12:                              ;   Parent Loop BB41_2 Depth=1
                                        ; =>  This Inner Loop Header: Depth=2
	s_delay_alu instid0(VALU_DEP_1) | instskip(NEXT) | instid1(VALU_DEP_1)
	v_sub_nc_u32_e32 v36, v35, v34
	v_lshrrev_b32_e32 v36, 1, v36
	s_delay_alu instid0(VALU_DEP_1) | instskip(NEXT) | instid1(VALU_DEP_1)
	v_add_nc_u32_e32 v36, v36, v34
	v_add_nc_u32_e32 v37, v3, v36
	v_xad_u32 v38, v36, -1, v20
	v_add_nc_u32_e32 v39, 1, v36
	ds_load_i8 v37, v37
	ds_load_i8 v38, v38
	s_wait_dscnt 0x0
	v_cmp_lt_i16_e64 s5, v38, v37
	s_wait_alu 0xf1ff
	s_delay_alu instid0(VALU_DEP_1) | instskip(SKIP_1) | instid1(VALU_DEP_1)
	v_cndmask_b32_e64 v35, v35, v36, s5
	v_cndmask_b32_e64 v34, v39, v34, s5
	v_cmp_ge_i32_e64 s5, v34, v35
	s_or_b32 s7, s5, s7
	s_delay_alu instid0(SALU_CYCLE_1)
	s_and_not1_b32 exec_lo, exec_lo, s7
	s_cbranch_execnz .LBB41_12
; %bb.13:                               ;   in Loop: Header=BB41_2 Depth=1
	s_or_b32 exec_lo, exec_lo, s7
.LBB41_14:                              ;   in Loop: Header=BB41_2 Depth=1
	s_delay_alu instid0(SALU_CYCLE_1)
	s_or_b32 exec_lo, exec_lo, s6
	v_add_nc_u32_e32 v35, v34, v3
	v_sub_nc_u32_e32 v34, v20, v34
	ds_load_u8 v36, v35
	ds_load_u8 v37, v34
	v_cmp_le_i32_e64 s5, v11, v35
	v_cmp_gt_i32_e64 s7, v12, v34
	s_wait_loadcnt_dscnt 0x0
	s_barrier_signal -1
	s_barrier_wait -1
	global_inv scope:SCOPE_SE
	ds_store_b8 v0, v33
	s_wait_loadcnt_dscnt 0x0
	s_barrier_signal -1
	s_barrier_wait -1
	global_inv scope:SCOPE_SE
	v_bfe_i32 v38, v36, 0, 8
	v_bfe_i32 v39, v37, 0, 8
	s_delay_alu instid0(VALU_DEP_1)
	v_cmp_lt_i16_e64 s6, v39, v38
	s_or_b32 s5, s5, s6
	s_wait_alu 0xfffe
	s_and_b32 s5, s7, s5
	s_wait_alu 0xfffe
	v_cndmask_b32_e64 v34, v35, v34, s5
	v_cndmask_b32_e64 v36, v36, v37, s5
	ds_load_u8 v33, v34
	v_mov_b32_e32 v34, v30
	s_wait_loadcnt_dscnt 0x0
	s_barrier_signal -1
	s_barrier_wait -1
	global_inv scope:SCOPE_SE
	ds_store_b8 v0, v36
	s_wait_loadcnt_dscnt 0x0
	s_barrier_signal -1
	s_barrier_wait -1
	global_inv scope:SCOPE_SE
	s_and_saveexec_b32 s6, s3
	s_cbranch_execz .LBB41_18
; %bb.15:                               ;   in Loop: Header=BB41_2 Depth=1
	v_dual_mov_b32 v34, v30 :: v_dual_mov_b32 v35, v26
	s_mov_b32 s7, 0
.LBB41_16:                              ;   Parent Loop BB41_2 Depth=1
                                        ; =>  This Inner Loop Header: Depth=2
	s_delay_alu instid0(VALU_DEP_1) | instskip(NEXT) | instid1(VALU_DEP_1)
	v_sub_nc_u32_e32 v36, v35, v34
	v_lshrrev_b32_e32 v36, 1, v36
	s_delay_alu instid0(VALU_DEP_1) | instskip(NEXT) | instid1(VALU_DEP_1)
	v_add_nc_u32_e32 v36, v36, v34
	v_add_nc_u32_e32 v37, v4, v36
	v_xad_u32 v38, v36, -1, v21
	v_add_nc_u32_e32 v39, 1, v36
	ds_load_i8 v37, v37
	ds_load_i8 v38, v38
	s_wait_dscnt 0x0
	v_cmp_lt_i16_e64 s5, v38, v37
	s_wait_alu 0xf1ff
	s_delay_alu instid0(VALU_DEP_1) | instskip(SKIP_1) | instid1(VALU_DEP_1)
	v_cndmask_b32_e64 v35, v35, v36, s5
	v_cndmask_b32_e64 v34, v39, v34, s5
	v_cmp_ge_i32_e64 s5, v34, v35
	s_or_b32 s7, s5, s7
	s_delay_alu instid0(SALU_CYCLE_1)
	s_and_not1_b32 exec_lo, exec_lo, s7
	s_cbranch_execnz .LBB41_16
; %bb.17:                               ;   in Loop: Header=BB41_2 Depth=1
	s_or_b32 exec_lo, exec_lo, s7
.LBB41_18:                              ;   in Loop: Header=BB41_2 Depth=1
	s_delay_alu instid0(SALU_CYCLE_1)
	s_or_b32 exec_lo, exec_lo, s6
	v_add_nc_u32_e32 v35, v34, v4
	v_sub_nc_u32_e32 v34, v21, v34
	ds_load_u8 v36, v35
	ds_load_u8 v37, v34
	v_cmp_le_i32_e64 s5, v13, v35
	v_cmp_gt_i32_e64 s7, v14, v34
	s_wait_loadcnt_dscnt 0x0
	s_barrier_signal -1
	s_barrier_wait -1
	global_inv scope:SCOPE_SE
	ds_store_b8 v0, v33
	s_wait_loadcnt_dscnt 0x0
	s_barrier_signal -1
	s_barrier_wait -1
	global_inv scope:SCOPE_SE
	v_bfe_i32 v38, v36, 0, 8
	v_bfe_i32 v39, v37, 0, 8
	s_delay_alu instid0(VALU_DEP_1)
	v_cmp_lt_i16_e64 s6, v39, v38
	s_or_b32 s5, s5, s6
	s_wait_alu 0xfffe
	s_and_b32 s5, s7, s5
	s_wait_alu 0xfffe
	v_cndmask_b32_e64 v34, v35, v34, s5
	v_cndmask_b32_e64 v36, v36, v37, s5
	ds_load_u8 v33, v34
	v_mov_b32_e32 v34, v31
	s_wait_loadcnt_dscnt 0x0
	s_barrier_signal -1
	s_barrier_wait -1
	global_inv scope:SCOPE_SE
	ds_store_b8 v0, v36
	s_wait_loadcnt_dscnt 0x0
	s_barrier_signal -1
	s_barrier_wait -1
	global_inv scope:SCOPE_SE
	s_and_saveexec_b32 s6, s4
	s_cbranch_execz .LBB41_22
; %bb.19:                               ;   in Loop: Header=BB41_2 Depth=1
	v_dual_mov_b32 v34, v31 :: v_dual_mov_b32 v35, v27
	s_mov_b32 s7, 0
.LBB41_20:                              ;   Parent Loop BB41_2 Depth=1
                                        ; =>  This Inner Loop Header: Depth=2
	s_delay_alu instid0(VALU_DEP_1) | instskip(NEXT) | instid1(VALU_DEP_1)
	v_sub_nc_u32_e32 v36, v35, v34
	v_lshrrev_b32_e32 v36, 1, v36
	s_delay_alu instid0(VALU_DEP_1) | instskip(NEXT) | instid1(VALU_DEP_1)
	v_add_nc_u32_e32 v36, v36, v34
	v_add_nc_u32_e32 v37, v5, v36
	v_xad_u32 v38, v36, -1, v22
	v_add_nc_u32_e32 v39, 1, v36
	ds_load_i8 v37, v37
	ds_load_i8 v38, v38
	s_wait_dscnt 0x0
	v_cmp_lt_i16_e64 s5, v38, v37
	s_wait_alu 0xf1ff
	s_delay_alu instid0(VALU_DEP_1) | instskip(SKIP_1) | instid1(VALU_DEP_1)
	v_cndmask_b32_e64 v35, v35, v36, s5
	v_cndmask_b32_e64 v34, v39, v34, s5
	v_cmp_ge_i32_e64 s5, v34, v35
	s_or_b32 s7, s5, s7
	s_delay_alu instid0(SALU_CYCLE_1)
	s_and_not1_b32 exec_lo, exec_lo, s7
	s_cbranch_execnz .LBB41_20
; %bb.21:                               ;   in Loop: Header=BB41_2 Depth=1
	s_or_b32 exec_lo, exec_lo, s7
.LBB41_22:                              ;   in Loop: Header=BB41_2 Depth=1
	s_delay_alu instid0(SALU_CYCLE_1)
	s_or_b32 exec_lo, exec_lo, s6
	v_add_nc_u32_e32 v35, v34, v5
	v_sub_nc_u32_e32 v34, v22, v34
	ds_load_u8 v36, v35
	ds_load_u8 v37, v34
	v_cmp_le_i32_e64 s5, v15, v35
	v_cmp_gt_i32_e64 s7, v16, v34
	s_wait_loadcnt_dscnt 0x0
	s_barrier_signal -1
	s_barrier_wait -1
	global_inv scope:SCOPE_SE
	ds_store_b8 v0, v33
	s_wait_loadcnt_dscnt 0x0
	s_barrier_signal -1
	s_barrier_wait -1
	global_inv scope:SCOPE_SE
	v_bfe_i32 v38, v36, 0, 8
	v_bfe_i32 v39, v37, 0, 8
	s_delay_alu instid0(VALU_DEP_1)
	v_cmp_lt_i16_e64 s6, v39, v38
	s_or_b32 s5, s5, s6
	s_wait_alu 0xfffe
	s_and_b32 s5, s7, s5
	s_wait_alu 0xfffe
	v_cndmask_b32_e64 v34, v35, v34, s5
	v_cndmask_b32_e64 v36, v36, v37, s5
	v_mov_b32_e32 v35, v6
	ds_load_u8 v34, v34
	s_wait_loadcnt_dscnt 0x0
	s_barrier_signal -1
	s_barrier_wait -1
	global_inv scope:SCOPE_SE
	ds_store_b8 v0, v36
	s_wait_loadcnt_dscnt 0x0
	s_barrier_signal -1
	s_barrier_wait -1
	global_inv scope:SCOPE_SE
	s_and_saveexec_b32 s6, vcc_lo
	s_cbranch_execz .LBB41_1
; %bb.23:                               ;   in Loop: Header=BB41_2 Depth=1
	v_mov_b32_e32 v35, v6
	v_mov_b32_e32 v33, v7
	s_mov_b32 s7, 0
.LBB41_24:                              ;   Parent Loop BB41_2 Depth=1
                                        ; =>  This Inner Loop Header: Depth=2
	s_delay_alu instid0(VALU_DEP_1) | instskip(NEXT) | instid1(VALU_DEP_1)
	v_sub_nc_u32_e32 v36, v33, v35
	v_lshrrev_b32_e32 v36, 1, v36
	s_delay_alu instid0(VALU_DEP_1) | instskip(NEXT) | instid1(VALU_DEP_1)
	v_add_nc_u32_e32 v36, v36, v35
	v_xad_u32 v37, v36, -1, v32
	v_add_nc_u32_e32 v39, 1, v36
	ds_load_i8 v38, v36
	ds_load_i8 v37, v37
	s_wait_dscnt 0x0
	v_cmp_lt_i16_e64 s5, v37, v38
	s_wait_alu 0xf1ff
	s_delay_alu instid0(VALU_DEP_1) | instskip(SKIP_1) | instid1(VALU_DEP_1)
	v_cndmask_b32_e64 v33, v33, v36, s5
	v_cndmask_b32_e64 v35, v39, v35, s5
	v_cmp_ge_i32_e64 s5, v35, v33
	s_or_b32 s7, s5, s7
	s_delay_alu instid0(SALU_CYCLE_1)
	s_and_not1_b32 exec_lo, exec_lo, s7
	s_cbranch_execnz .LBB41_24
; %bb.25:                               ;   in Loop: Header=BB41_2 Depth=1
	s_or_b32 exec_lo, exec_lo, s7
	s_branch .LBB41_1
.LBB41_26:
	s_add_nc_u64 s[0:1], s[10:11], s[12:13]
	s_wait_dscnt 0x0
	v_add_nc_u16 v2, v33, v34
	s_wait_alu 0xfffe
	v_add_co_u32 v0, s0, s0, v0
	s_wait_alu 0xf1ff
	v_add_co_ci_u32_e64 v1, null, s1, 0, s0
	global_store_b8 v[0:1], v2, off
	s_endpgm
	.section	.rodata,"a",@progbits
	.p2align	6, 0x0
	.amdhsa_kernel _Z17sort_pairs_kernelIaLj64ELj1EN10test_utils4lessELj10EEvPKT_PS2_T2_
		.amdhsa_group_segment_fixed_size 65
		.amdhsa_private_segment_fixed_size 0
		.amdhsa_kernarg_size 20
		.amdhsa_user_sgpr_count 2
		.amdhsa_user_sgpr_dispatch_ptr 0
		.amdhsa_user_sgpr_queue_ptr 0
		.amdhsa_user_sgpr_kernarg_segment_ptr 1
		.amdhsa_user_sgpr_dispatch_id 0
		.amdhsa_user_sgpr_private_segment_size 0
		.amdhsa_wavefront_size32 1
		.amdhsa_uses_dynamic_stack 0
		.amdhsa_enable_private_segment 0
		.amdhsa_system_sgpr_workgroup_id_x 1
		.amdhsa_system_sgpr_workgroup_id_y 0
		.amdhsa_system_sgpr_workgroup_id_z 0
		.amdhsa_system_sgpr_workgroup_info 0
		.amdhsa_system_vgpr_workitem_id 0
		.amdhsa_next_free_vgpr 42
		.amdhsa_next_free_sgpr 14
		.amdhsa_reserve_vcc 1
		.amdhsa_float_round_mode_32 0
		.amdhsa_float_round_mode_16_64 0
		.amdhsa_float_denorm_mode_32 3
		.amdhsa_float_denorm_mode_16_64 3
		.amdhsa_fp16_overflow 0
		.amdhsa_workgroup_processor_mode 1
		.amdhsa_memory_ordered 1
		.amdhsa_forward_progress 1
		.amdhsa_inst_pref_size 21
		.amdhsa_round_robin_scheduling 0
		.amdhsa_exception_fp_ieee_invalid_op 0
		.amdhsa_exception_fp_denorm_src 0
		.amdhsa_exception_fp_ieee_div_zero 0
		.amdhsa_exception_fp_ieee_overflow 0
		.amdhsa_exception_fp_ieee_underflow 0
		.amdhsa_exception_fp_ieee_inexact 0
		.amdhsa_exception_int_div_zero 0
	.end_amdhsa_kernel
	.section	.text._Z17sort_pairs_kernelIaLj64ELj1EN10test_utils4lessELj10EEvPKT_PS2_T2_,"axG",@progbits,_Z17sort_pairs_kernelIaLj64ELj1EN10test_utils4lessELj10EEvPKT_PS2_T2_,comdat
.Lfunc_end41:
	.size	_Z17sort_pairs_kernelIaLj64ELj1EN10test_utils4lessELj10EEvPKT_PS2_T2_, .Lfunc_end41-_Z17sort_pairs_kernelIaLj64ELj1EN10test_utils4lessELj10EEvPKT_PS2_T2_
                                        ; -- End function
	.set _Z17sort_pairs_kernelIaLj64ELj1EN10test_utils4lessELj10EEvPKT_PS2_T2_.num_vgpr, 42
	.set _Z17sort_pairs_kernelIaLj64ELj1EN10test_utils4lessELj10EEvPKT_PS2_T2_.num_agpr, 0
	.set _Z17sort_pairs_kernelIaLj64ELj1EN10test_utils4lessELj10EEvPKT_PS2_T2_.numbered_sgpr, 14
	.set _Z17sort_pairs_kernelIaLj64ELj1EN10test_utils4lessELj10EEvPKT_PS2_T2_.num_named_barrier, 0
	.set _Z17sort_pairs_kernelIaLj64ELj1EN10test_utils4lessELj10EEvPKT_PS2_T2_.private_seg_size, 0
	.set _Z17sort_pairs_kernelIaLj64ELj1EN10test_utils4lessELj10EEvPKT_PS2_T2_.uses_vcc, 1
	.set _Z17sort_pairs_kernelIaLj64ELj1EN10test_utils4lessELj10EEvPKT_PS2_T2_.uses_flat_scratch, 0
	.set _Z17sort_pairs_kernelIaLj64ELj1EN10test_utils4lessELj10EEvPKT_PS2_T2_.has_dyn_sized_stack, 0
	.set _Z17sort_pairs_kernelIaLj64ELj1EN10test_utils4lessELj10EEvPKT_PS2_T2_.has_recursion, 0
	.set _Z17sort_pairs_kernelIaLj64ELj1EN10test_utils4lessELj10EEvPKT_PS2_T2_.has_indirect_call, 0
	.section	.AMDGPU.csdata,"",@progbits
; Kernel info:
; codeLenInByte = 2648
; TotalNumSgprs: 16
; NumVgprs: 42
; ScratchSize: 0
; MemoryBound: 0
; FloatMode: 240
; IeeeMode: 1
; LDSByteSize: 65 bytes/workgroup (compile time only)
; SGPRBlocks: 0
; VGPRBlocks: 5
; NumSGPRsForWavesPerEU: 16
; NumVGPRsForWavesPerEU: 42
; Occupancy: 16
; WaveLimiterHint : 0
; COMPUTE_PGM_RSRC2:SCRATCH_EN: 0
; COMPUTE_PGM_RSRC2:USER_SGPR: 2
; COMPUTE_PGM_RSRC2:TRAP_HANDLER: 0
; COMPUTE_PGM_RSRC2:TGID_X_EN: 1
; COMPUTE_PGM_RSRC2:TGID_Y_EN: 0
; COMPUTE_PGM_RSRC2:TGID_Z_EN: 0
; COMPUTE_PGM_RSRC2:TIDIG_COMP_CNT: 0
	.section	.text._Z16sort_keys_kernelIaLj64ELj2EN10test_utils4lessELj10EEvPKT_PS2_T2_,"axG",@progbits,_Z16sort_keys_kernelIaLj64ELj2EN10test_utils4lessELj10EEvPKT_PS2_T2_,comdat
	.protected	_Z16sort_keys_kernelIaLj64ELj2EN10test_utils4lessELj10EEvPKT_PS2_T2_ ; -- Begin function _Z16sort_keys_kernelIaLj64ELj2EN10test_utils4lessELj10EEvPKT_PS2_T2_
	.globl	_Z16sort_keys_kernelIaLj64ELj2EN10test_utils4lessELj10EEvPKT_PS2_T2_
	.p2align	8
	.type	_Z16sort_keys_kernelIaLj64ELj2EN10test_utils4lessELj10EEvPKT_PS2_T2_,@function
_Z16sort_keys_kernelIaLj64ELj2EN10test_utils4lessELj10EEvPKT_PS2_T2_: ; @_Z16sort_keys_kernelIaLj64ELj2EN10test_utils4lessELj10EEvPKT_PS2_T2_
; %bb.0:
	s_load_b128 s[8:11], s[0:1], 0x0
	s_lshl_b32 s12, ttmp9, 7
	s_mov_b32 s13, 0
	v_lshlrev_b32_e32 v1, 1, v0
	s_delay_alu instid0(VALU_DEP_1)
	v_and_b32_e32 v2, 0x7c, v1
	v_and_b32_e32 v5, 0x78, v1
	;; [unrolled: 1-line block ×5, first 2 shown]
	v_or_b32_e32 v3, 2, v2
	v_add_nc_u32_e32 v4, 4, v2
	v_or_b32_e32 v6, 4, v5
	v_add_nc_u32_e32 v7, 8, v5
	v_add_nc_u32_e32 v12, 16, v8
	v_and_b32_e32 v25, 14, v1
	v_sub_nc_u32_e32 v9, v4, v3
	s_wait_kmcnt 0x0
	s_add_nc_u64 s[0:1], s[8:9], s[12:13]
	v_sub_nc_u32_e32 v13, v7, v6
	s_clause 0x1
	global_load_u8 v36, v0, s[0:1] offset:64
	global_load_u8 v35, v0, s[0:1]
	v_sub_nc_u32_e32 v17, v6, v5
	v_sub_nc_u32_e32 v11, v15, v9
	v_cmp_ge_i32_e32 vcc_lo, v15, v9
	v_sub_nc_u32_e32 v14, v16, v13
	v_and_b32_e32 v18, 64, v1
	v_and_b32_e32 v32, 30, v1
	;; [unrolled: 1-line block ×3, first 2 shown]
	v_cndmask_b32_e32 v9, 0, v11, vcc_lo
	v_or_b32_e32 v11, 8, v8
	v_cmp_ge_i32_e32 vcc_lo, v16, v13
	v_or_b32_e32 v23, 32, v18
	v_add_nc_u32_e32 v24, 64, v18
	v_sub_nc_u32_e32 v10, v3, v2
	v_sub_nc_u32_e32 v19, v12, v11
	s_wait_alu 0xfffd
	v_cndmask_b32_e32 v13, 0, v14, vcc_lo
	v_min_i32_e32 v14, v16, v17
	v_and_b32_e32 v17, 0x60, v1
	v_sub_nc_u32_e32 v28, v24, v23
	v_sub_nc_u32_e32 v20, v25, v19
	v_cmp_ge_i32_e64 s1, v25, v19
	v_sub_nc_u32_e32 v22, v11, v8
	v_add_nc_u32_e32 v21, 32, v17
	v_sub_nc_u32_e32 v30, v23, v18
	v_sub_nc_u32_e32 v31, v33, v28
	v_cndmask_b32_e64 v19, 0, v20, s1
	v_or_b32_e32 v20, 16, v17
	v_min_i32_e32 v22, v25, v22
	v_min_i32_e32 v10, v15, v10
	v_add_nc_u32_e32 v15, v3, v15
	v_cmp_lt_i32_e64 s0, v13, v14
	v_sub_nc_u32_e32 v26, v21, v20
	v_sub_nc_u32_e32 v29, v20, v17
	v_add_nc_u32_e32 v16, v6, v16
	v_cmp_lt_i32_e64 s1, v19, v22
	v_add_nc_u32_e32 v25, v11, v25
	v_sub_nc_u32_e32 v27, v32, v26
	v_cmp_ge_i32_e64 s2, v32, v26
	v_add_nc_u32_e32 v34, 64, v1
	s_mov_b32 s9, s13
	v_cmp_lt_i32_e32 vcc_lo, v9, v10
	v_cndmask_b32_e64 v26, 0, v27, s2
	v_cmp_ge_i32_e64 s2, v33, v28
	v_min_i32_e32 v27, v32, v29
	v_min_i32_e32 v29, v33, v30
	v_sub_nc_u32_e64 v30, v1, 64 clamp
	v_add_nc_u32_e32 v32, v20, v32
	s_wait_alu 0xf1ff
	v_cndmask_b32_e64 v28, 0, v31, s2
	v_min_i32_e32 v31, 64, v1
	v_cmp_lt_i32_e64 s2, v26, v27
	v_add_nc_u32_e32 v33, v23, v33
	s_delay_alu instid0(VALU_DEP_4) | instskip(NEXT) | instid1(VALU_DEP_4)
	v_cmp_lt_i32_e64 s3, v28, v29
	v_cmp_lt_i32_e64 s4, v30, v31
	s_branch .LBB42_2
.LBB42_1:                               ;   in Loop: Header=BB42_2 Depth=1
	s_or_b32 exec_lo, exec_lo, s6
	s_wait_dscnt 0x0
	s_delay_alu instid0(VALU_DEP_1)
	v_bfe_i32 v35, v39, 0, 8
	v_bfe_i32 v42, v41, 0, 8
	v_cmp_le_i32_e64 s6, 64, v40
	v_cmp_gt_i32_e64 s8, 0x80, v37
	s_add_co_i32 s9, s9, 1
	v_cmp_lt_i16_e64 s7, v42, v35
	v_cndmask_b32_e64 v35, v36, v38, s5
	s_or_b32 s6, s6, s7
	s_delay_alu instid0(SALU_CYCLE_1)
	s_and_b32 s5, s8, s6
	s_cmp_eq_u32 s9, 10
	s_wait_alu 0xfffe
	v_cndmask_b32_e64 v36, v39, v41, s5
	s_cbranch_scc1 .LBB42_50
.LBB42_2:                               ; =>This Loop Header: Depth=1
                                        ;     Child Loop BB42_4 Depth 2
                                        ;     Child Loop BB42_12 Depth 2
	;; [unrolled: 1-line block ×6, first 2 shown]
	s_wait_loadcnt 0x0
	v_bfe_i32 v37, v35, 0, 8
	s_delay_alu instid0(VALU_DEP_2) | instskip(SKIP_3) | instid1(VALU_DEP_4)
	v_bfe_i32 v38, v36, 0, 8
	v_perm_b32 v39, v36, v35, 0xc0c0004
	v_perm_b32 v35, v35, v36, 0xc0c0004
	v_mov_b32_e32 v36, v9
	v_cmp_lt_i16_e64 s5, v38, v37
	s_barrier_signal -1
	s_barrier_wait -1
	global_inv scope:SCOPE_SE
	s_wait_alu 0xf1ff
	v_cndmask_b32_e64 v35, v35, v39, s5
	s_delay_alu instid0(VALU_DEP_1)
	v_lshrrev_b16 v37, 8, v35
	ds_store_b8 v1, v35
	ds_store_b8 v1, v37 offset:1
	s_wait_loadcnt_dscnt 0x0
	s_barrier_signal -1
	s_barrier_wait -1
	global_inv scope:SCOPE_SE
	s_and_saveexec_b32 s6, vcc_lo
	s_cbranch_execz .LBB42_6
; %bb.3:                                ;   in Loop: Header=BB42_2 Depth=1
	v_dual_mov_b32 v36, v9 :: v_dual_mov_b32 v35, v10
	s_mov_b32 s7, 0
.LBB42_4:                               ;   Parent Loop BB42_2 Depth=1
                                        ; =>  This Inner Loop Header: Depth=2
	s_delay_alu instid0(VALU_DEP_1) | instskip(NEXT) | instid1(VALU_DEP_1)
	v_sub_nc_u32_e32 v37, v35, v36
	v_lshrrev_b32_e32 v37, 1, v37
	s_delay_alu instid0(VALU_DEP_1) | instskip(NEXT) | instid1(VALU_DEP_1)
	v_add_nc_u32_e32 v37, v37, v36
	v_add_nc_u32_e32 v38, v2, v37
	v_xad_u32 v39, v37, -1, v15
	v_add_nc_u32_e32 v40, 1, v37
	ds_load_i8 v38, v38
	ds_load_i8 v39, v39
	s_wait_dscnt 0x0
	v_cmp_lt_i16_e64 s5, v39, v38
	s_wait_alu 0xf1ff
	s_delay_alu instid0(VALU_DEP_1) | instskip(SKIP_1) | instid1(VALU_DEP_1)
	v_cndmask_b32_e64 v35, v35, v37, s5
	v_cndmask_b32_e64 v36, v40, v36, s5
	v_cmp_ge_i32_e64 s5, v36, v35
	s_or_b32 s7, s5, s7
	s_delay_alu instid0(SALU_CYCLE_1)
	s_and_not1_b32 exec_lo, exec_lo, s7
	s_cbranch_execnz .LBB42_4
; %bb.5:                                ;   in Loop: Header=BB42_2 Depth=1
	s_or_b32 exec_lo, exec_lo, s7
.LBB42_6:                               ;   in Loop: Header=BB42_2 Depth=1
	s_delay_alu instid0(SALU_CYCLE_1)
	s_or_b32 exec_lo, exec_lo, s6
	v_add_nc_u32_e32 v35, v36, v2
	v_sub_nc_u32_e32 v36, v15, v36
                                        ; implicit-def: $vgpr39
	ds_load_u8 v37, v35
	ds_load_u8 v38, v36
	v_cmp_le_i32_e64 s5, v3, v35
	v_cmp_gt_i32_e64 s7, v4, v36
	s_wait_dscnt 0x1
	v_bfe_i32 v37, v37, 0, 8
	s_wait_dscnt 0x0
	v_bfe_i32 v38, v38, 0, 8
	s_delay_alu instid0(VALU_DEP_1)
	v_cmp_lt_i16_e64 s6, v38, v37
	s_or_b32 s5, s5, s6
	s_wait_alu 0xfffe
	s_and_b32 s5, s7, s5
	s_wait_alu 0xfffe
	s_xor_b32 s6, s5, -1
	s_delay_alu instid0(SALU_CYCLE_1) | instskip(NEXT) | instid1(SALU_CYCLE_1)
	s_and_saveexec_b32 s7, s6
	s_xor_b32 s6, exec_lo, s7
; %bb.7:                                ;   in Loop: Header=BB42_2 Depth=1
	ds_load_u8 v39, v35 offset:1
; %bb.8:                                ;   in Loop: Header=BB42_2 Depth=1
	s_or_saveexec_b32 s6, s6
	v_mov_b32_e32 v40, v38
	s_xor_b32 exec_lo, exec_lo, s6
	s_cbranch_execz .LBB42_10
; %bb.9:                                ;   in Loop: Header=BB42_2 Depth=1
	ds_load_u8 v40, v36 offset:1
	s_wait_dscnt 0x1
	v_mov_b32_e32 v39, v37
.LBB42_10:                              ;   in Loop: Header=BB42_2 Depth=1
	s_or_b32 exec_lo, exec_lo, s6
	v_add_nc_u32_e32 v42, 1, v36
	v_add_nc_u32_e32 v41, 1, v35
	s_wait_dscnt 0x0
	v_bfe_i32 v43, v39, 0, 8
	v_bfe_i32 v44, v40, 0, 8
	s_wait_loadcnt 0x0
	v_cndmask_b32_e64 v36, v36, v42, s5
	s_barrier_signal -1
	s_barrier_wait -1
	v_cmp_lt_i16_e64 s6, v44, v43
	global_inv scope:SCOPE_SE
	v_cmp_lt_i32_e64 s8, v36, v4
	v_mov_b32_e32 v36, v13
	v_cndmask_b32_e64 v35, v41, v35, s5
	s_delay_alu instid0(VALU_DEP_1)
	v_cmp_ge_i32_e64 s7, v35, v3
	v_cndmask_b32_e64 v35, v37, v38, s5
	s_or_b32 s5, s7, s6
	s_wait_alu 0xfffe
	s_and_b32 s5, s8, s5
	s_wait_alu 0xfffe
	v_cndmask_b32_e64 v37, v39, v40, s5
	ds_store_b8 v1, v35
	ds_store_b8 v1, v37 offset:1
	s_wait_loadcnt_dscnt 0x0
	s_barrier_signal -1
	s_barrier_wait -1
	global_inv scope:SCOPE_SE
	s_and_saveexec_b32 s6, s0
	s_cbranch_execz .LBB42_14
; %bb.11:                               ;   in Loop: Header=BB42_2 Depth=1
	v_dual_mov_b32 v36, v13 :: v_dual_mov_b32 v35, v14
	s_mov_b32 s7, 0
.LBB42_12:                              ;   Parent Loop BB42_2 Depth=1
                                        ; =>  This Inner Loop Header: Depth=2
	s_delay_alu instid0(VALU_DEP_1) | instskip(NEXT) | instid1(VALU_DEP_1)
	v_sub_nc_u32_e32 v37, v35, v36
	v_lshrrev_b32_e32 v37, 1, v37
	s_delay_alu instid0(VALU_DEP_1) | instskip(NEXT) | instid1(VALU_DEP_1)
	v_add_nc_u32_e32 v37, v37, v36
	v_add_nc_u32_e32 v38, v5, v37
	v_xad_u32 v39, v37, -1, v16
	v_add_nc_u32_e32 v40, 1, v37
	ds_load_i8 v38, v38
	ds_load_i8 v39, v39
	s_wait_dscnt 0x0
	v_cmp_lt_i16_e64 s5, v39, v38
	s_wait_alu 0xf1ff
	s_delay_alu instid0(VALU_DEP_1) | instskip(SKIP_1) | instid1(VALU_DEP_1)
	v_cndmask_b32_e64 v35, v35, v37, s5
	v_cndmask_b32_e64 v36, v40, v36, s5
	v_cmp_ge_i32_e64 s5, v36, v35
	s_or_b32 s7, s5, s7
	s_delay_alu instid0(SALU_CYCLE_1)
	s_and_not1_b32 exec_lo, exec_lo, s7
	s_cbranch_execnz .LBB42_12
; %bb.13:                               ;   in Loop: Header=BB42_2 Depth=1
	s_or_b32 exec_lo, exec_lo, s7
.LBB42_14:                              ;   in Loop: Header=BB42_2 Depth=1
	s_delay_alu instid0(SALU_CYCLE_1)
	s_or_b32 exec_lo, exec_lo, s6
	v_add_nc_u32_e32 v35, v36, v5
	v_sub_nc_u32_e32 v36, v16, v36
                                        ; implicit-def: $vgpr39
	ds_load_u8 v37, v35
	ds_load_u8 v38, v36
	v_cmp_le_i32_e64 s5, v6, v35
	v_cmp_gt_i32_e64 s7, v7, v36
	s_wait_dscnt 0x1
	v_bfe_i32 v37, v37, 0, 8
	s_wait_dscnt 0x0
	v_bfe_i32 v38, v38, 0, 8
	s_delay_alu instid0(VALU_DEP_1)
	v_cmp_lt_i16_e64 s6, v38, v37
	s_or_b32 s5, s5, s6
	s_wait_alu 0xfffe
	s_and_b32 s5, s7, s5
	s_wait_alu 0xfffe
	s_xor_b32 s6, s5, -1
	s_delay_alu instid0(SALU_CYCLE_1) | instskip(NEXT) | instid1(SALU_CYCLE_1)
	s_and_saveexec_b32 s7, s6
	s_xor_b32 s6, exec_lo, s7
; %bb.15:                               ;   in Loop: Header=BB42_2 Depth=1
	ds_load_u8 v39, v35 offset:1
; %bb.16:                               ;   in Loop: Header=BB42_2 Depth=1
	s_or_saveexec_b32 s6, s6
	v_mov_b32_e32 v40, v38
	s_xor_b32 exec_lo, exec_lo, s6
	s_cbranch_execz .LBB42_18
; %bb.17:                               ;   in Loop: Header=BB42_2 Depth=1
	ds_load_u8 v40, v36 offset:1
	s_wait_dscnt 0x1
	v_mov_b32_e32 v39, v37
.LBB42_18:                              ;   in Loop: Header=BB42_2 Depth=1
	s_or_b32 exec_lo, exec_lo, s6
	v_add_nc_u32_e32 v42, 1, v36
	v_add_nc_u32_e32 v41, 1, v35
	s_wait_dscnt 0x0
	v_bfe_i32 v43, v39, 0, 8
	v_bfe_i32 v44, v40, 0, 8
	s_wait_loadcnt 0x0
	v_cndmask_b32_e64 v36, v36, v42, s5
	s_barrier_signal -1
	s_barrier_wait -1
	v_cmp_lt_i16_e64 s6, v44, v43
	global_inv scope:SCOPE_SE
	v_cmp_lt_i32_e64 s8, v36, v7
	v_mov_b32_e32 v36, v19
	v_cndmask_b32_e64 v35, v41, v35, s5
	s_delay_alu instid0(VALU_DEP_1)
	v_cmp_ge_i32_e64 s7, v35, v6
	v_cndmask_b32_e64 v35, v37, v38, s5
	s_or_b32 s5, s7, s6
	s_wait_alu 0xfffe
	s_and_b32 s5, s8, s5
	s_wait_alu 0xfffe
	v_cndmask_b32_e64 v37, v39, v40, s5
	ds_store_b8 v1, v35
	ds_store_b8 v1, v37 offset:1
	s_wait_loadcnt_dscnt 0x0
	s_barrier_signal -1
	s_barrier_wait -1
	global_inv scope:SCOPE_SE
	s_and_saveexec_b32 s6, s1
	s_cbranch_execz .LBB42_22
; %bb.19:                               ;   in Loop: Header=BB42_2 Depth=1
	v_dual_mov_b32 v36, v19 :: v_dual_mov_b32 v35, v22
	s_mov_b32 s7, 0
.LBB42_20:                              ;   Parent Loop BB42_2 Depth=1
                                        ; =>  This Inner Loop Header: Depth=2
	s_delay_alu instid0(VALU_DEP_1) | instskip(NEXT) | instid1(VALU_DEP_1)
	v_sub_nc_u32_e32 v37, v35, v36
	v_lshrrev_b32_e32 v37, 1, v37
	s_delay_alu instid0(VALU_DEP_1) | instskip(NEXT) | instid1(VALU_DEP_1)
	v_add_nc_u32_e32 v37, v37, v36
	v_add_nc_u32_e32 v38, v8, v37
	v_xad_u32 v39, v37, -1, v25
	v_add_nc_u32_e32 v40, 1, v37
	ds_load_i8 v38, v38
	ds_load_i8 v39, v39
	s_wait_dscnt 0x0
	v_cmp_lt_i16_e64 s5, v39, v38
	s_wait_alu 0xf1ff
	s_delay_alu instid0(VALU_DEP_1) | instskip(SKIP_1) | instid1(VALU_DEP_1)
	v_cndmask_b32_e64 v35, v35, v37, s5
	v_cndmask_b32_e64 v36, v40, v36, s5
	v_cmp_ge_i32_e64 s5, v36, v35
	s_or_b32 s7, s5, s7
	s_delay_alu instid0(SALU_CYCLE_1)
	s_and_not1_b32 exec_lo, exec_lo, s7
	s_cbranch_execnz .LBB42_20
; %bb.21:                               ;   in Loop: Header=BB42_2 Depth=1
	s_or_b32 exec_lo, exec_lo, s7
.LBB42_22:                              ;   in Loop: Header=BB42_2 Depth=1
	s_delay_alu instid0(SALU_CYCLE_1)
	s_or_b32 exec_lo, exec_lo, s6
	v_add_nc_u32_e32 v35, v36, v8
	v_sub_nc_u32_e32 v36, v25, v36
                                        ; implicit-def: $vgpr39
	ds_load_u8 v37, v35
	ds_load_u8 v38, v36
	v_cmp_le_i32_e64 s5, v11, v35
	v_cmp_gt_i32_e64 s7, v12, v36
	s_wait_dscnt 0x1
	v_bfe_i32 v37, v37, 0, 8
	s_wait_dscnt 0x0
	v_bfe_i32 v38, v38, 0, 8
	s_delay_alu instid0(VALU_DEP_1)
	v_cmp_lt_i16_e64 s6, v38, v37
	s_or_b32 s5, s5, s6
	s_wait_alu 0xfffe
	s_and_b32 s5, s7, s5
	s_wait_alu 0xfffe
	s_xor_b32 s6, s5, -1
	s_delay_alu instid0(SALU_CYCLE_1) | instskip(NEXT) | instid1(SALU_CYCLE_1)
	s_and_saveexec_b32 s7, s6
	s_xor_b32 s6, exec_lo, s7
; %bb.23:                               ;   in Loop: Header=BB42_2 Depth=1
	ds_load_u8 v39, v35 offset:1
; %bb.24:                               ;   in Loop: Header=BB42_2 Depth=1
	s_or_saveexec_b32 s6, s6
	v_mov_b32_e32 v40, v38
	s_xor_b32 exec_lo, exec_lo, s6
	s_cbranch_execz .LBB42_26
; %bb.25:                               ;   in Loop: Header=BB42_2 Depth=1
	ds_load_u8 v40, v36 offset:1
	s_wait_dscnt 0x1
	v_mov_b32_e32 v39, v37
.LBB42_26:                              ;   in Loop: Header=BB42_2 Depth=1
	s_or_b32 exec_lo, exec_lo, s6
	v_add_nc_u32_e32 v42, 1, v36
	v_add_nc_u32_e32 v41, 1, v35
	s_wait_dscnt 0x0
	v_bfe_i32 v43, v39, 0, 8
	v_bfe_i32 v44, v40, 0, 8
	s_wait_loadcnt 0x0
	v_cndmask_b32_e64 v36, v36, v42, s5
	s_barrier_signal -1
	s_barrier_wait -1
	v_cmp_lt_i16_e64 s6, v44, v43
	global_inv scope:SCOPE_SE
	v_cmp_lt_i32_e64 s8, v36, v12
	v_mov_b32_e32 v36, v26
	v_cndmask_b32_e64 v35, v41, v35, s5
	s_delay_alu instid0(VALU_DEP_1)
	v_cmp_ge_i32_e64 s7, v35, v11
	v_cndmask_b32_e64 v35, v37, v38, s5
	s_or_b32 s5, s7, s6
	s_wait_alu 0xfffe
	s_and_b32 s5, s8, s5
	s_wait_alu 0xfffe
	v_cndmask_b32_e64 v37, v39, v40, s5
	ds_store_b8 v1, v35
	ds_store_b8 v1, v37 offset:1
	s_wait_loadcnt_dscnt 0x0
	s_barrier_signal -1
	s_barrier_wait -1
	global_inv scope:SCOPE_SE
	s_and_saveexec_b32 s6, s2
	s_cbranch_execz .LBB42_30
; %bb.27:                               ;   in Loop: Header=BB42_2 Depth=1
	v_dual_mov_b32 v36, v26 :: v_dual_mov_b32 v35, v27
	s_mov_b32 s7, 0
.LBB42_28:                              ;   Parent Loop BB42_2 Depth=1
                                        ; =>  This Inner Loop Header: Depth=2
	s_delay_alu instid0(VALU_DEP_1) | instskip(NEXT) | instid1(VALU_DEP_1)
	v_sub_nc_u32_e32 v37, v35, v36
	v_lshrrev_b32_e32 v37, 1, v37
	s_delay_alu instid0(VALU_DEP_1) | instskip(NEXT) | instid1(VALU_DEP_1)
	v_add_nc_u32_e32 v37, v37, v36
	v_add_nc_u32_e32 v38, v17, v37
	v_xad_u32 v39, v37, -1, v32
	v_add_nc_u32_e32 v40, 1, v37
	ds_load_i8 v38, v38
	ds_load_i8 v39, v39
	s_wait_dscnt 0x0
	v_cmp_lt_i16_e64 s5, v39, v38
	s_wait_alu 0xf1ff
	s_delay_alu instid0(VALU_DEP_1) | instskip(SKIP_1) | instid1(VALU_DEP_1)
	v_cndmask_b32_e64 v35, v35, v37, s5
	v_cndmask_b32_e64 v36, v40, v36, s5
	v_cmp_ge_i32_e64 s5, v36, v35
	s_or_b32 s7, s5, s7
	s_delay_alu instid0(SALU_CYCLE_1)
	s_and_not1_b32 exec_lo, exec_lo, s7
	s_cbranch_execnz .LBB42_28
; %bb.29:                               ;   in Loop: Header=BB42_2 Depth=1
	s_or_b32 exec_lo, exec_lo, s7
.LBB42_30:                              ;   in Loop: Header=BB42_2 Depth=1
	s_delay_alu instid0(SALU_CYCLE_1)
	s_or_b32 exec_lo, exec_lo, s6
	v_add_nc_u32_e32 v35, v36, v17
	v_sub_nc_u32_e32 v36, v32, v36
                                        ; implicit-def: $vgpr39
	ds_load_u8 v37, v35
	ds_load_u8 v38, v36
	v_cmp_le_i32_e64 s5, v20, v35
	v_cmp_gt_i32_e64 s7, v21, v36
	s_wait_dscnt 0x1
	v_bfe_i32 v37, v37, 0, 8
	s_wait_dscnt 0x0
	v_bfe_i32 v38, v38, 0, 8
	s_delay_alu instid0(VALU_DEP_1)
	v_cmp_lt_i16_e64 s6, v38, v37
	s_or_b32 s5, s5, s6
	s_wait_alu 0xfffe
	s_and_b32 s5, s7, s5
	s_wait_alu 0xfffe
	s_xor_b32 s6, s5, -1
	s_delay_alu instid0(SALU_CYCLE_1) | instskip(NEXT) | instid1(SALU_CYCLE_1)
	s_and_saveexec_b32 s7, s6
	s_xor_b32 s6, exec_lo, s7
; %bb.31:                               ;   in Loop: Header=BB42_2 Depth=1
	ds_load_u8 v39, v35 offset:1
; %bb.32:                               ;   in Loop: Header=BB42_2 Depth=1
	s_or_saveexec_b32 s6, s6
	v_mov_b32_e32 v40, v38
	s_xor_b32 exec_lo, exec_lo, s6
	s_cbranch_execz .LBB42_34
; %bb.33:                               ;   in Loop: Header=BB42_2 Depth=1
	ds_load_u8 v40, v36 offset:1
	s_wait_dscnt 0x1
	v_mov_b32_e32 v39, v37
.LBB42_34:                              ;   in Loop: Header=BB42_2 Depth=1
	s_or_b32 exec_lo, exec_lo, s6
	v_add_nc_u32_e32 v42, 1, v36
	v_add_nc_u32_e32 v41, 1, v35
	s_wait_dscnt 0x0
	v_bfe_i32 v43, v39, 0, 8
	v_bfe_i32 v44, v40, 0, 8
	s_wait_loadcnt 0x0
	v_cndmask_b32_e64 v36, v36, v42, s5
	s_barrier_signal -1
	s_barrier_wait -1
	v_cmp_lt_i16_e64 s6, v44, v43
	global_inv scope:SCOPE_SE
	v_cmp_lt_i32_e64 s8, v36, v21
	v_mov_b32_e32 v36, v28
	v_cndmask_b32_e64 v35, v41, v35, s5
	s_delay_alu instid0(VALU_DEP_1)
	v_cmp_ge_i32_e64 s7, v35, v20
	v_cndmask_b32_e64 v35, v37, v38, s5
	s_or_b32 s5, s7, s6
	s_wait_alu 0xfffe
	s_and_b32 s5, s8, s5
	s_wait_alu 0xfffe
	v_cndmask_b32_e64 v37, v39, v40, s5
	ds_store_b8 v1, v35
	ds_store_b8 v1, v37 offset:1
	s_wait_loadcnt_dscnt 0x0
	s_barrier_signal -1
	s_barrier_wait -1
	global_inv scope:SCOPE_SE
	s_and_saveexec_b32 s6, s3
	s_cbranch_execz .LBB42_38
; %bb.35:                               ;   in Loop: Header=BB42_2 Depth=1
	v_dual_mov_b32 v36, v28 :: v_dual_mov_b32 v35, v29
	s_mov_b32 s7, 0
.LBB42_36:                              ;   Parent Loop BB42_2 Depth=1
                                        ; =>  This Inner Loop Header: Depth=2
	s_delay_alu instid0(VALU_DEP_1) | instskip(NEXT) | instid1(VALU_DEP_1)
	v_sub_nc_u32_e32 v37, v35, v36
	v_lshrrev_b32_e32 v37, 1, v37
	s_delay_alu instid0(VALU_DEP_1) | instskip(NEXT) | instid1(VALU_DEP_1)
	v_add_nc_u32_e32 v37, v37, v36
	v_add_nc_u32_e32 v38, v18, v37
	v_xad_u32 v39, v37, -1, v33
	v_add_nc_u32_e32 v40, 1, v37
	ds_load_i8 v38, v38
	ds_load_i8 v39, v39
	s_wait_dscnt 0x0
	v_cmp_lt_i16_e64 s5, v39, v38
	s_wait_alu 0xf1ff
	s_delay_alu instid0(VALU_DEP_1) | instskip(SKIP_1) | instid1(VALU_DEP_1)
	v_cndmask_b32_e64 v35, v35, v37, s5
	v_cndmask_b32_e64 v36, v40, v36, s5
	v_cmp_ge_i32_e64 s5, v36, v35
	s_or_b32 s7, s5, s7
	s_delay_alu instid0(SALU_CYCLE_1)
	s_and_not1_b32 exec_lo, exec_lo, s7
	s_cbranch_execnz .LBB42_36
; %bb.37:                               ;   in Loop: Header=BB42_2 Depth=1
	s_or_b32 exec_lo, exec_lo, s7
.LBB42_38:                              ;   in Loop: Header=BB42_2 Depth=1
	s_delay_alu instid0(SALU_CYCLE_1)
	s_or_b32 exec_lo, exec_lo, s6
	v_add_nc_u32_e32 v35, v36, v18
	v_sub_nc_u32_e32 v36, v33, v36
                                        ; implicit-def: $vgpr39
	ds_load_u8 v37, v35
	ds_load_u8 v38, v36
	v_cmp_le_i32_e64 s5, v23, v35
	v_cmp_gt_i32_e64 s7, v24, v36
	s_wait_dscnt 0x1
	v_bfe_i32 v37, v37, 0, 8
	s_wait_dscnt 0x0
	v_bfe_i32 v38, v38, 0, 8
	s_delay_alu instid0(VALU_DEP_1)
	v_cmp_lt_i16_e64 s6, v38, v37
	s_or_b32 s5, s5, s6
	s_wait_alu 0xfffe
	s_and_b32 s5, s7, s5
	s_wait_alu 0xfffe
	s_xor_b32 s6, s5, -1
	s_delay_alu instid0(SALU_CYCLE_1) | instskip(NEXT) | instid1(SALU_CYCLE_1)
	s_and_saveexec_b32 s7, s6
	s_xor_b32 s6, exec_lo, s7
; %bb.39:                               ;   in Loop: Header=BB42_2 Depth=1
	ds_load_u8 v39, v35 offset:1
; %bb.40:                               ;   in Loop: Header=BB42_2 Depth=1
	s_or_saveexec_b32 s6, s6
	v_mov_b32_e32 v40, v38
	s_xor_b32 exec_lo, exec_lo, s6
	s_cbranch_execz .LBB42_42
; %bb.41:                               ;   in Loop: Header=BB42_2 Depth=1
	ds_load_u8 v40, v36 offset:1
	s_wait_dscnt 0x1
	v_mov_b32_e32 v39, v37
.LBB42_42:                              ;   in Loop: Header=BB42_2 Depth=1
	s_or_b32 exec_lo, exec_lo, s6
	v_add_nc_u32_e32 v41, 1, v35
	v_add_nc_u32_e32 v42, 1, v36
	s_wait_dscnt 0x0
	v_bfe_i32 v43, v39, 0, 8
	v_bfe_i32 v44, v40, 0, 8
	s_wait_loadcnt 0x0
	v_cndmask_b32_e64 v35, v41, v35, s5
	s_barrier_signal -1
	s_barrier_wait -1
	v_cmp_lt_i16_e64 s6, v44, v43
	global_inv scope:SCOPE_SE
	v_cmp_ge_i32_e64 s7, v35, v23
	v_mov_b32_e32 v35, v30
	v_cndmask_b32_e64 v36, v36, v42, s5
	s_delay_alu instid0(VALU_DEP_1)
	v_cmp_lt_i32_e64 s8, v36, v24
	v_cndmask_b32_e64 v36, v37, v38, s5
	s_or_b32 s5, s7, s6
	s_wait_alu 0xfffe
	s_and_b32 s5, s8, s5
	s_wait_alu 0xfffe
	v_cndmask_b32_e64 v37, v39, v40, s5
	ds_store_b8 v1, v36
	ds_store_b8 v1, v37 offset:1
	s_wait_loadcnt_dscnt 0x0
	s_barrier_signal -1
	s_barrier_wait -1
	global_inv scope:SCOPE_SE
	s_and_saveexec_b32 s6, s4
	s_cbranch_execz .LBB42_46
; %bb.43:                               ;   in Loop: Header=BB42_2 Depth=1
	v_dual_mov_b32 v35, v30 :: v_dual_mov_b32 v36, v31
	s_mov_b32 s7, 0
.LBB42_44:                              ;   Parent Loop BB42_2 Depth=1
                                        ; =>  This Inner Loop Header: Depth=2
	s_delay_alu instid0(VALU_DEP_1) | instskip(NEXT) | instid1(VALU_DEP_1)
	v_sub_nc_u32_e32 v37, v36, v35
	v_lshrrev_b32_e32 v37, 1, v37
	s_delay_alu instid0(VALU_DEP_1) | instskip(NEXT) | instid1(VALU_DEP_1)
	v_add_nc_u32_e32 v37, v37, v35
	v_xad_u32 v38, v37, -1, v34
	v_add_nc_u32_e32 v40, 1, v37
	ds_load_i8 v39, v37
	ds_load_i8 v38, v38
	s_wait_dscnt 0x0
	v_cmp_lt_i16_e64 s5, v38, v39
	s_wait_alu 0xf1ff
	s_delay_alu instid0(VALU_DEP_1) | instskip(SKIP_1) | instid1(VALU_DEP_1)
	v_cndmask_b32_e64 v36, v36, v37, s5
	v_cndmask_b32_e64 v35, v40, v35, s5
	v_cmp_ge_i32_e64 s5, v35, v36
	s_or_b32 s7, s5, s7
	s_delay_alu instid0(SALU_CYCLE_1)
	s_and_not1_b32 exec_lo, exec_lo, s7
	s_cbranch_execnz .LBB42_44
; %bb.45:                               ;   in Loop: Header=BB42_2 Depth=1
	s_or_b32 exec_lo, exec_lo, s7
.LBB42_46:                              ;   in Loop: Header=BB42_2 Depth=1
	s_delay_alu instid0(SALU_CYCLE_1)
	s_or_b32 exec_lo, exec_lo, s6
	v_sub_nc_u32_e32 v37, v34, v35
	v_cmp_le_i32_e64 s5, 64, v35
                                        ; implicit-def: $vgpr39
                                        ; implicit-def: $vgpr40
	ds_load_u8 v36, v35
	ds_load_u8 v38, v37
	v_cmp_gt_i32_e64 s7, 0x80, v37
	s_wait_dscnt 0x1
	v_bfe_i32 v36, v36, 0, 8
	s_wait_dscnt 0x0
	v_bfe_i32 v38, v38, 0, 8
	s_delay_alu instid0(VALU_DEP_1)
	v_cmp_lt_i16_e64 s6, v38, v36
	s_or_b32 s5, s5, s6
	s_wait_alu 0xfffe
	s_and_b32 s5, s7, s5
	s_wait_alu 0xfffe
	s_xor_b32 s6, s5, -1
	s_delay_alu instid0(SALU_CYCLE_1) | instskip(NEXT) | instid1(SALU_CYCLE_1)
	s_and_saveexec_b32 s7, s6
	s_xor_b32 s6, exec_lo, s7
; %bb.47:                               ;   in Loop: Header=BB42_2 Depth=1
	ds_load_u8 v39, v35 offset:1
	v_add_nc_u32_e32 v40, 1, v35
                                        ; implicit-def: $vgpr35
; %bb.48:                               ;   in Loop: Header=BB42_2 Depth=1
	s_or_saveexec_b32 s6, s6
	v_mov_b32_e32 v41, v38
	s_xor_b32 exec_lo, exec_lo, s6
	s_cbranch_execz .LBB42_1
; %bb.49:                               ;   in Loop: Header=BB42_2 Depth=1
	ds_load_u8 v41, v37 offset:1
	v_dual_mov_b32 v40, v35 :: v_dual_add_nc_u32 v37, 1, v37
	s_wait_dscnt 0x1
	v_mov_b32_e32 v39, v36
	s_branch .LBB42_1
.LBB42_50:
	s_add_nc_u64 s[0:1], s[10:11], s[12:13]
	s_wait_alu 0xfffe
	v_add_co_u32 v0, s0, s0, v0
	s_wait_alu 0xf1ff
	v_add_co_ci_u32_e64 v1, null, s1, 0, s0
	s_clause 0x1
	global_store_b8 v[0:1], v35, off
	global_store_b8 v[0:1], v36, off offset:64
	s_endpgm
	.section	.rodata,"a",@progbits
	.p2align	6, 0x0
	.amdhsa_kernel _Z16sort_keys_kernelIaLj64ELj2EN10test_utils4lessELj10EEvPKT_PS2_T2_
		.amdhsa_group_segment_fixed_size 129
		.amdhsa_private_segment_fixed_size 0
		.amdhsa_kernarg_size 20
		.amdhsa_user_sgpr_count 2
		.amdhsa_user_sgpr_dispatch_ptr 0
		.amdhsa_user_sgpr_queue_ptr 0
		.amdhsa_user_sgpr_kernarg_segment_ptr 1
		.amdhsa_user_sgpr_dispatch_id 0
		.amdhsa_user_sgpr_private_segment_size 0
		.amdhsa_wavefront_size32 1
		.amdhsa_uses_dynamic_stack 0
		.amdhsa_enable_private_segment 0
		.amdhsa_system_sgpr_workgroup_id_x 1
		.amdhsa_system_sgpr_workgroup_id_y 0
		.amdhsa_system_sgpr_workgroup_id_z 0
		.amdhsa_system_sgpr_workgroup_info 0
		.amdhsa_system_vgpr_workitem_id 0
		.amdhsa_next_free_vgpr 45
		.amdhsa_next_free_sgpr 14
		.amdhsa_reserve_vcc 1
		.amdhsa_float_round_mode_32 0
		.amdhsa_float_round_mode_16_64 0
		.amdhsa_float_denorm_mode_32 3
		.amdhsa_float_denorm_mode_16_64 3
		.amdhsa_fp16_overflow 0
		.amdhsa_workgroup_processor_mode 1
		.amdhsa_memory_ordered 1
		.amdhsa_forward_progress 1
		.amdhsa_inst_pref_size 27
		.amdhsa_round_robin_scheduling 0
		.amdhsa_exception_fp_ieee_invalid_op 0
		.amdhsa_exception_fp_denorm_src 0
		.amdhsa_exception_fp_ieee_div_zero 0
		.amdhsa_exception_fp_ieee_overflow 0
		.amdhsa_exception_fp_ieee_underflow 0
		.amdhsa_exception_fp_ieee_inexact 0
		.amdhsa_exception_int_div_zero 0
	.end_amdhsa_kernel
	.section	.text._Z16sort_keys_kernelIaLj64ELj2EN10test_utils4lessELj10EEvPKT_PS2_T2_,"axG",@progbits,_Z16sort_keys_kernelIaLj64ELj2EN10test_utils4lessELj10EEvPKT_PS2_T2_,comdat
.Lfunc_end42:
	.size	_Z16sort_keys_kernelIaLj64ELj2EN10test_utils4lessELj10EEvPKT_PS2_T2_, .Lfunc_end42-_Z16sort_keys_kernelIaLj64ELj2EN10test_utils4lessELj10EEvPKT_PS2_T2_
                                        ; -- End function
	.set _Z16sort_keys_kernelIaLj64ELj2EN10test_utils4lessELj10EEvPKT_PS2_T2_.num_vgpr, 45
	.set _Z16sort_keys_kernelIaLj64ELj2EN10test_utils4lessELj10EEvPKT_PS2_T2_.num_agpr, 0
	.set _Z16sort_keys_kernelIaLj64ELj2EN10test_utils4lessELj10EEvPKT_PS2_T2_.numbered_sgpr, 14
	.set _Z16sort_keys_kernelIaLj64ELj2EN10test_utils4lessELj10EEvPKT_PS2_T2_.num_named_barrier, 0
	.set _Z16sort_keys_kernelIaLj64ELj2EN10test_utils4lessELj10EEvPKT_PS2_T2_.private_seg_size, 0
	.set _Z16sort_keys_kernelIaLj64ELj2EN10test_utils4lessELj10EEvPKT_PS2_T2_.uses_vcc, 1
	.set _Z16sort_keys_kernelIaLj64ELj2EN10test_utils4lessELj10EEvPKT_PS2_T2_.uses_flat_scratch, 0
	.set _Z16sort_keys_kernelIaLj64ELj2EN10test_utils4lessELj10EEvPKT_PS2_T2_.has_dyn_sized_stack, 0
	.set _Z16sort_keys_kernelIaLj64ELj2EN10test_utils4lessELj10EEvPKT_PS2_T2_.has_recursion, 0
	.set _Z16sort_keys_kernelIaLj64ELj2EN10test_utils4lessELj10EEvPKT_PS2_T2_.has_indirect_call, 0
	.section	.AMDGPU.csdata,"",@progbits
; Kernel info:
; codeLenInByte = 3348
; TotalNumSgprs: 16
; NumVgprs: 45
; ScratchSize: 0
; MemoryBound: 0
; FloatMode: 240
; IeeeMode: 1
; LDSByteSize: 129 bytes/workgroup (compile time only)
; SGPRBlocks: 0
; VGPRBlocks: 5
; NumSGPRsForWavesPerEU: 16
; NumVGPRsForWavesPerEU: 45
; Occupancy: 16
; WaveLimiterHint : 0
; COMPUTE_PGM_RSRC2:SCRATCH_EN: 0
; COMPUTE_PGM_RSRC2:USER_SGPR: 2
; COMPUTE_PGM_RSRC2:TRAP_HANDLER: 0
; COMPUTE_PGM_RSRC2:TGID_X_EN: 1
; COMPUTE_PGM_RSRC2:TGID_Y_EN: 0
; COMPUTE_PGM_RSRC2:TGID_Z_EN: 0
; COMPUTE_PGM_RSRC2:TIDIG_COMP_CNT: 0
	.section	.text._Z17sort_pairs_kernelIaLj64ELj2EN10test_utils4lessELj10EEvPKT_PS2_T2_,"axG",@progbits,_Z17sort_pairs_kernelIaLj64ELj2EN10test_utils4lessELj10EEvPKT_PS2_T2_,comdat
	.protected	_Z17sort_pairs_kernelIaLj64ELj2EN10test_utils4lessELj10EEvPKT_PS2_T2_ ; -- Begin function _Z17sort_pairs_kernelIaLj64ELj2EN10test_utils4lessELj10EEvPKT_PS2_T2_
	.globl	_Z17sort_pairs_kernelIaLj64ELj2EN10test_utils4lessELj10EEvPKT_PS2_T2_
	.p2align	8
	.type	_Z17sort_pairs_kernelIaLj64ELj2EN10test_utils4lessELj10EEvPKT_PS2_T2_,@function
_Z17sort_pairs_kernelIaLj64ELj2EN10test_utils4lessELj10EEvPKT_PS2_T2_: ; @_Z17sort_pairs_kernelIaLj64ELj2EN10test_utils4lessELj10EEvPKT_PS2_T2_
; %bb.0:
	s_load_b128 s[8:11], s[0:1], 0x0
	s_lshl_b32 s12, ttmp9, 7
	s_mov_b32 s13, 0
	v_lshlrev_b32_e32 v1, 1, v0
	s_delay_alu instid0(VALU_DEP_1)
	v_and_b32_e32 v2, 0x7c, v1
	v_and_b32_e32 v3, 0x78, v1
	;; [unrolled: 1-line block ×5, first 2 shown]
	v_or_b32_e32 v9, 2, v2
	v_add_nc_u32_e32 v10, 4, v2
	v_or_b32_e32 v11, 4, v3
	v_add_nc_u32_e32 v12, 8, v3
	v_and_b32_e32 v5, 0x60, v1
	v_or_b32_e32 v13, 8, v4
	v_sub_nc_u32_e32 v34, v10, v9
	s_wait_kmcnt 0x0
	s_add_nc_u64 s[0:1], s[8:9], s[12:13]
	v_add_nc_u32_e32 v14, 16, v4
	s_clause 0x1
	global_load_u8 v38, v0, s[0:1]
	global_load_u8 v36, v0, s[0:1] offset:64
	v_sub_nc_u32_e32 v24, v9, v2
	v_sub_nc_u32_e32 v35, v12, v11
	;; [unrolled: 1-line block ×3, first 2 shown]
	v_cmp_ge_i32_e64 s0, v29, v34
	v_and_b32_e32 v31, 14, v1
	v_and_b32_e32 v6, 64, v1
	v_or_b32_e32 v15, 16, v5
	v_add_nc_u32_e32 v16, 32, v5
	v_add_nc_u32_e32 v19, v9, v29
	v_sub_nc_u32_e32 v25, v11, v3
	v_sub_nc_u32_e32 v37, v14, v13
	v_min_i32_e32 v24, v29, v24
	v_sub_nc_u32_e32 v42, v30, v35
	v_cndmask_b32_e64 v29, 0, v41, s0
	v_cmp_ge_i32_e64 s0, v30, v35
	v_and_b32_e32 v32, 30, v1
	v_or_b32_e32 v17, 32, v6
	v_add_nc_u32_e32 v18, 64, v6
	v_add_nc_u32_e32 v20, v11, v30
	v_sub_nc_u32_e32 v26, v13, v4
	v_sub_nc_u32_e32 v39, v16, v15
	v_min_i32_e32 v25, v30, v25
	v_sub_nc_u32_e32 v43, v31, v37
	s_wait_alu 0xf1ff
	v_cndmask_b32_e64 v30, 0, v42, s0
	v_cmp_ge_i32_e64 s0, v31, v37
	v_and_b32_e32 v33, 62, v1
	v_add_nc_u32_e32 v21, v13, v31
	v_sub_nc_u32_e32 v27, v15, v5
	v_sub_nc_u32_e32 v40, v18, v17
	v_min_i32_e32 v26, v31, v26
	v_sub_nc_u32_e32 v44, v32, v39
	s_wait_alu 0xf1ff
	v_cndmask_b32_e64 v31, 0, v43, s0
	v_cmp_ge_i32_e64 s0, v32, v39
	v_add_nc_u32_e32 v22, v15, v32
	v_sub_nc_u32_e32 v28, v17, v6
	v_min_i32_e32 v27, v32, v27
	v_sub_nc_u32_e32 v45, v33, v40
	s_wait_alu 0xf1ff
	v_cndmask_b32_e64 v32, 0, v44, s0
	v_cmp_ge_i32_e64 s0, v33, v40
	v_add_nc_u32_e32 v23, v17, v33
	v_min_i32_e32 v28, v33, v28
	v_sub_nc_u32_e64 v7, v1, 64 clamp
	v_min_i32_e32 v8, 64, v1
	s_wait_alu 0xf1ff
	v_cndmask_b32_e64 v33, 0, v45, s0
	v_cmp_lt_i32_e64 s0, v29, v24
	v_cmp_lt_i32_e64 s1, v30, v25
	;; [unrolled: 1-line block ×5, first 2 shown]
	v_add_nc_u32_e32 v34, 64, v1
	s_mov_b32 s9, s13
	v_cmp_lt_i32_e32 vcc_lo, v7, v8
	s_wait_loadcnt 0x1
	v_add_nc_u16 v37, v38, 1
	s_wait_loadcnt 0x0
	v_add_nc_u16 v35, v36, 1
	s_branch .LBB43_2
.LBB43_1:                               ;   in Loop: Header=BB43_2 Depth=1
	s_or_b32 exec_lo, exec_lo, s6
	s_wait_dscnt 0x0
	s_delay_alu instid0(VALU_DEP_1)
	v_bfe_i32 v37, v42, 0, 8
	v_bfe_i32 v45, v44, 0, 8
	v_cmp_le_i32_e64 s7, 64, v41
	v_cmp_gt_i32_e64 s6, 0x80, v40
	s_wait_loadcnt 0x0
	s_barrier_signal -1
	v_cmp_lt_i16_e64 s8, v45, v37
	s_barrier_wait -1
	global_inv scope:SCOPE_SE
	ds_store_b8 v1, v35
	ds_store_b8 v1, v36 offset:1
	s_wait_loadcnt_dscnt 0x0
	s_or_b32 s7, s7, s8
	s_barrier_signal -1
	s_wait_alu 0xfffe
	s_and_b32 s6, s6, s7
	s_barrier_wait -1
	s_wait_alu 0xfffe
	v_cndmask_b32_e64 v35, v41, v40, s6
	global_inv scope:SCOPE_SE
	v_cndmask_b32_e64 v36, v42, v44, s6
	ds_load_u8 v37, v43
	ds_load_u8 v35, v35
	v_cndmask_b32_e64 v38, v38, v39, s5
	s_add_co_i32 s9, s9, 1
	s_delay_alu instid0(SALU_CYCLE_1)
	s_cmp_eq_u32 s9, 10
	s_cbranch_scc1 .LBB43_50
.LBB43_2:                               ; =>This Loop Header: Depth=1
                                        ;     Child Loop BB43_4 Depth 2
                                        ;     Child Loop BB43_12 Depth 2
	;; [unrolled: 1-line block ×6, first 2 shown]
	s_delay_alu instid0(VALU_DEP_1) | instskip(SKIP_4) | instid1(VALU_DEP_4)
	v_bfe_i32 v39, v38, 0, 8
	v_bfe_i32 v40, v36, 0, 8
	v_perm_b32 v41, v36, v38, 0xc0c0004
	v_perm_b32 v36, v38, v36, 0xc0c0004
	v_mov_b32_e32 v38, v29
	v_cmp_lt_i16_e64 s5, v40, v39
	s_barrier_signal -1
	s_barrier_wait -1
	global_inv scope:SCOPE_SE
	s_wait_alu 0xf1ff
	v_cndmask_b32_e64 v36, v36, v41, s5
	s_delay_alu instid0(VALU_DEP_1)
	v_lshrrev_b16 v39, 8, v36
	ds_store_b8 v1, v36
	ds_store_b8 v1, v39 offset:1
	s_wait_loadcnt_dscnt 0x0
	s_barrier_signal -1
	s_barrier_wait -1
	global_inv scope:SCOPE_SE
	s_and_saveexec_b32 s7, s0
	s_cbranch_execz .LBB43_6
; %bb.3:                                ;   in Loop: Header=BB43_2 Depth=1
	v_mov_b32_e32 v38, v29
	v_mov_b32_e32 v36, v24
	s_mov_b32 s8, 0
.LBB43_4:                               ;   Parent Loop BB43_2 Depth=1
                                        ; =>  This Inner Loop Header: Depth=2
	s_delay_alu instid0(VALU_DEP_1) | instskip(NEXT) | instid1(VALU_DEP_1)
	v_sub_nc_u32_e32 v39, v36, v38
	v_lshrrev_b32_e32 v39, 1, v39
	s_delay_alu instid0(VALU_DEP_1) | instskip(NEXT) | instid1(VALU_DEP_1)
	v_add_nc_u32_e32 v39, v39, v38
	v_add_nc_u32_e32 v40, v2, v39
	v_xad_u32 v41, v39, -1, v19
	v_add_nc_u32_e32 v42, 1, v39
	ds_load_i8 v40, v40
	ds_load_i8 v41, v41
	s_wait_dscnt 0x0
	v_cmp_lt_i16_e64 s6, v41, v40
	s_wait_alu 0xf1ff
	s_delay_alu instid0(VALU_DEP_1) | instskip(SKIP_1) | instid1(VALU_DEP_1)
	v_cndmask_b32_e64 v36, v36, v39, s6
	v_cndmask_b32_e64 v38, v42, v38, s6
	v_cmp_ge_i32_e64 s6, v38, v36
	s_or_b32 s8, s6, s8
	s_delay_alu instid0(SALU_CYCLE_1)
	s_and_not1_b32 exec_lo, exec_lo, s8
	s_cbranch_execnz .LBB43_4
; %bb.5:                                ;   in Loop: Header=BB43_2 Depth=1
	s_or_b32 exec_lo, exec_lo, s8
.LBB43_6:                               ;   in Loop: Header=BB43_2 Depth=1
	s_wait_alu 0xfffe
	s_or_b32 exec_lo, exec_lo, s7
	v_add_nc_u32_e32 v36, v38, v2
	v_sub_nc_u32_e32 v41, v19, v38
                                        ; implicit-def: $vgpr40
	ds_load_u8 v38, v36
	ds_load_u8 v39, v41
	v_cmp_le_i32_e64 s6, v9, v36
	v_cmp_gt_i32_e64 s8, v10, v41
	s_wait_dscnt 0x1
	v_bfe_i32 v38, v38, 0, 8
	s_wait_dscnt 0x0
	v_bfe_i32 v39, v39, 0, 8
	s_delay_alu instid0(VALU_DEP_1)
	v_cmp_lt_i16_e64 s7, v39, v38
	s_or_b32 s6, s6, s7
	s_wait_alu 0xfffe
	s_and_b32 s6, s8, s6
	s_wait_alu 0xfffe
	s_xor_b32 s7, s6, -1
	s_wait_alu 0xfffe
	s_and_saveexec_b32 s8, s7
	s_delay_alu instid0(SALU_CYCLE_1)
	s_xor_b32 s7, exec_lo, s8
; %bb.7:                                ;   in Loop: Header=BB43_2 Depth=1
	ds_load_u8 v40, v36 offset:1
; %bb.8:                                ;   in Loop: Header=BB43_2 Depth=1
	s_wait_alu 0xfffe
	s_or_saveexec_b32 s7, s7
	v_mov_b32_e32 v42, v39
	s_wait_alu 0xfffe
	s_xor_b32 exec_lo, exec_lo, s7
	s_cbranch_execz .LBB43_10
; %bb.9:                                ;   in Loop: Header=BB43_2 Depth=1
	ds_load_u8 v42, v41 offset:1
	s_wait_dscnt 0x1
	v_mov_b32_e32 v40, v38
.LBB43_10:                              ;   in Loop: Header=BB43_2 Depth=1
	s_or_b32 exec_lo, exec_lo, s7
	v_add_nc_u32_e32 v43, 1, v36
	v_add_nc_u32_e32 v44, 1, v41
	s_wait_dscnt 0x0
	v_bfe_i32 v46, v40, 0, 8
	v_bfe_i32 v47, v42, 0, 8
	v_perm_b32 v45, v35, v37, 0xc0c0004
	v_cndmask_b32_e64 v43, v43, v36, s6
	v_perm_b32 v35, v37, v35, 0xc0c0004
	v_cndmask_b32_e64 v37, v41, v44, s6
	v_cmp_lt_i16_e64 s7, v47, v46
	v_cndmask_b32_e64 v36, v36, v41, s6
	v_cmp_ge_i32_e64 s8, v43, v9
	v_cndmask_b32_e64 v35, v35, v45, s5
	v_cmp_lt_i32_e64 s5, v37, v10
	s_wait_loadcnt 0x0
	s_barrier_signal -1
	s_or_b32 s7, s8, s7
	v_lshrrev_b16 v41, 8, v35
	s_wait_alu 0xfffe
	s_and_b32 s5, s5, s7
	s_barrier_wait -1
	s_wait_alu 0xfffe
	v_cndmask_b32_e64 v37, v43, v37, s5
	global_inv scope:SCOPE_SE
	ds_store_b8 v1, v35
	ds_store_b8 v1, v41 offset:1
	s_wait_loadcnt_dscnt 0x0
	s_barrier_signal -1
	s_barrier_wait -1
	global_inv scope:SCOPE_SE
	ds_load_u8 v35, v36
	ds_load_u8 v36, v37
	v_cndmask_b32_e64 v37, v38, v39, s6
	v_cndmask_b32_e64 v40, v40, v42, s5
	s_wait_loadcnt_dscnt 0x0
	s_barrier_signal -1
	s_barrier_wait -1
	global_inv scope:SCOPE_SE
	ds_store_b8 v1, v37
	ds_store_b8 v1, v40 offset:1
	v_mov_b32_e32 v37, v30
	s_wait_loadcnt_dscnt 0x0
	s_barrier_signal -1
	s_barrier_wait -1
	global_inv scope:SCOPE_SE
	s_and_saveexec_b32 s6, s1
	s_cbranch_execz .LBB43_14
; %bb.11:                               ;   in Loop: Header=BB43_2 Depth=1
	v_dual_mov_b32 v37, v30 :: v_dual_mov_b32 v38, v25
	s_mov_b32 s7, 0
.LBB43_12:                              ;   Parent Loop BB43_2 Depth=1
                                        ; =>  This Inner Loop Header: Depth=2
	s_delay_alu instid0(VALU_DEP_1) | instskip(NEXT) | instid1(VALU_DEP_1)
	v_sub_nc_u32_e32 v39, v38, v37
	v_lshrrev_b32_e32 v39, 1, v39
	s_delay_alu instid0(VALU_DEP_1) | instskip(NEXT) | instid1(VALU_DEP_1)
	v_add_nc_u32_e32 v39, v39, v37
	v_add_nc_u32_e32 v40, v3, v39
	v_xad_u32 v41, v39, -1, v20
	v_add_nc_u32_e32 v42, 1, v39
	ds_load_i8 v40, v40
	ds_load_i8 v41, v41
	s_wait_dscnt 0x0
	v_cmp_lt_i16_e64 s5, v41, v40
	s_wait_alu 0xf1ff
	s_delay_alu instid0(VALU_DEP_1) | instskip(SKIP_1) | instid1(VALU_DEP_1)
	v_cndmask_b32_e64 v38, v38, v39, s5
	v_cndmask_b32_e64 v37, v42, v37, s5
	v_cmp_ge_i32_e64 s5, v37, v38
	s_wait_alu 0xfffe
	s_or_b32 s7, s5, s7
	s_wait_alu 0xfffe
	s_and_not1_b32 exec_lo, exec_lo, s7
	s_cbranch_execnz .LBB43_12
; %bb.13:                               ;   in Loop: Header=BB43_2 Depth=1
	s_or_b32 exec_lo, exec_lo, s7
.LBB43_14:                              ;   in Loop: Header=BB43_2 Depth=1
	s_wait_alu 0xfffe
	s_or_b32 exec_lo, exec_lo, s6
	v_add_nc_u32_e32 v41, v37, v3
	v_sub_nc_u32_e32 v39, v20, v37
                                        ; implicit-def: $vgpr40
	ds_load_u8 v37, v41
	ds_load_u8 v38, v39
	v_cmp_le_i32_e64 s5, v11, v41
	v_cmp_gt_i32_e64 s7, v12, v39
	s_wait_dscnt 0x1
	v_bfe_i32 v37, v37, 0, 8
	s_wait_dscnt 0x0
	v_bfe_i32 v38, v38, 0, 8
	s_delay_alu instid0(VALU_DEP_1)
	v_cmp_lt_i16_e64 s6, v38, v37
	s_or_b32 s5, s5, s6
	s_wait_alu 0xfffe
	s_and_b32 s5, s7, s5
	s_wait_alu 0xfffe
	s_xor_b32 s6, s5, -1
	s_wait_alu 0xfffe
	s_and_saveexec_b32 s7, s6
	s_wait_alu 0xfffe
	s_xor_b32 s6, exec_lo, s7
; %bb.15:                               ;   in Loop: Header=BB43_2 Depth=1
	ds_load_u8 v40, v41 offset:1
; %bb.16:                               ;   in Loop: Header=BB43_2 Depth=1
	s_wait_alu 0xfffe
	s_or_saveexec_b32 s6, s6
	v_mov_b32_e32 v42, v38
	s_wait_alu 0xfffe
	s_xor_b32 exec_lo, exec_lo, s6
	s_cbranch_execz .LBB43_18
; %bb.17:                               ;   in Loop: Header=BB43_2 Depth=1
	ds_load_u8 v42, v39 offset:1
	s_wait_dscnt 0x1
	v_mov_b32_e32 v40, v37
.LBB43_18:                              ;   in Loop: Header=BB43_2 Depth=1
	s_or_b32 exec_lo, exec_lo, s6
	v_add_nc_u32_e32 v43, 1, v41
	v_add_nc_u32_e32 v44, 1, v39
	s_wait_dscnt 0x0
	v_bfe_i32 v45, v40, 0, 8
	v_bfe_i32 v46, v42, 0, 8
	s_wait_loadcnt 0x0
	v_cndmask_b32_e64 v43, v43, v41, s5
	v_cndmask_b32_e64 v41, v41, v39, s5
	;; [unrolled: 1-line block ×3, first 2 shown]
	v_cmp_lt_i16_e64 s6, v46, v45
	s_barrier_signal -1
	v_cmp_ge_i32_e64 s7, v43, v11
	s_barrier_wait -1
	v_cmp_lt_i32_e64 s8, v39, v12
	global_inv scope:SCOPE_SE
	ds_store_b8 v1, v35
	ds_store_b8 v1, v36 offset:1
	s_or_b32 s6, s7, s6
	s_wait_loadcnt_dscnt 0x0
	s_wait_alu 0xfffe
	s_and_b32 s6, s8, s6
	s_barrier_signal -1
	s_wait_alu 0xfffe
	v_cndmask_b32_e64 v36, v43, v39, s6
	s_barrier_wait -1
	global_inv scope:SCOPE_SE
	v_cndmask_b32_e64 v37, v37, v38, s5
	ds_load_u8 v35, v41
	ds_load_u8 v36, v36
	v_cndmask_b32_e64 v40, v40, v42, s6
	s_wait_loadcnt_dscnt 0x0
	s_barrier_signal -1
	s_barrier_wait -1
	global_inv scope:SCOPE_SE
	ds_store_b8 v1, v37
	ds_store_b8 v1, v40 offset:1
	v_mov_b32_e32 v37, v31
	s_wait_loadcnt_dscnt 0x0
	s_barrier_signal -1
	s_barrier_wait -1
	global_inv scope:SCOPE_SE
	s_and_saveexec_b32 s6, s2
	s_cbranch_execz .LBB43_22
; %bb.19:                               ;   in Loop: Header=BB43_2 Depth=1
	v_dual_mov_b32 v37, v31 :: v_dual_mov_b32 v38, v26
	s_mov_b32 s7, 0
.LBB43_20:                              ;   Parent Loop BB43_2 Depth=1
                                        ; =>  This Inner Loop Header: Depth=2
	s_delay_alu instid0(VALU_DEP_1) | instskip(NEXT) | instid1(VALU_DEP_1)
	v_sub_nc_u32_e32 v39, v38, v37
	v_lshrrev_b32_e32 v39, 1, v39
	s_delay_alu instid0(VALU_DEP_1) | instskip(NEXT) | instid1(VALU_DEP_1)
	v_add_nc_u32_e32 v39, v39, v37
	v_add_nc_u32_e32 v40, v4, v39
	v_xad_u32 v41, v39, -1, v21
	v_add_nc_u32_e32 v42, 1, v39
	ds_load_i8 v40, v40
	ds_load_i8 v41, v41
	s_wait_dscnt 0x0
	v_cmp_lt_i16_e64 s5, v41, v40
	s_wait_alu 0xf1ff
	s_delay_alu instid0(VALU_DEP_1) | instskip(SKIP_1) | instid1(VALU_DEP_1)
	v_cndmask_b32_e64 v38, v38, v39, s5
	v_cndmask_b32_e64 v37, v42, v37, s5
	v_cmp_ge_i32_e64 s5, v37, v38
	s_wait_alu 0xfffe
	s_or_b32 s7, s5, s7
	s_wait_alu 0xfffe
	s_and_not1_b32 exec_lo, exec_lo, s7
	s_cbranch_execnz .LBB43_20
; %bb.21:                               ;   in Loop: Header=BB43_2 Depth=1
	s_or_b32 exec_lo, exec_lo, s7
.LBB43_22:                              ;   in Loop: Header=BB43_2 Depth=1
	s_wait_alu 0xfffe
	s_or_b32 exec_lo, exec_lo, s6
	v_add_nc_u32_e32 v41, v37, v4
	v_sub_nc_u32_e32 v39, v21, v37
                                        ; implicit-def: $vgpr40
	ds_load_u8 v37, v41
	ds_load_u8 v38, v39
	v_cmp_le_i32_e64 s5, v13, v41
	v_cmp_gt_i32_e64 s7, v14, v39
	s_wait_dscnt 0x1
	v_bfe_i32 v37, v37, 0, 8
	s_wait_dscnt 0x0
	v_bfe_i32 v38, v38, 0, 8
	s_delay_alu instid0(VALU_DEP_1)
	v_cmp_lt_i16_e64 s6, v38, v37
	s_or_b32 s5, s5, s6
	s_wait_alu 0xfffe
	s_and_b32 s5, s7, s5
	s_wait_alu 0xfffe
	s_xor_b32 s6, s5, -1
	s_wait_alu 0xfffe
	s_and_saveexec_b32 s7, s6
	s_wait_alu 0xfffe
	s_xor_b32 s6, exec_lo, s7
; %bb.23:                               ;   in Loop: Header=BB43_2 Depth=1
	ds_load_u8 v40, v41 offset:1
; %bb.24:                               ;   in Loop: Header=BB43_2 Depth=1
	s_wait_alu 0xfffe
	s_or_saveexec_b32 s6, s6
	v_mov_b32_e32 v42, v38
	s_wait_alu 0xfffe
	s_xor_b32 exec_lo, exec_lo, s6
	s_cbranch_execz .LBB43_26
; %bb.25:                               ;   in Loop: Header=BB43_2 Depth=1
	ds_load_u8 v42, v39 offset:1
	s_wait_dscnt 0x1
	v_mov_b32_e32 v40, v37
.LBB43_26:                              ;   in Loop: Header=BB43_2 Depth=1
	s_or_b32 exec_lo, exec_lo, s6
	v_add_nc_u32_e32 v43, 1, v41
	v_add_nc_u32_e32 v44, 1, v39
	s_wait_dscnt 0x0
	v_bfe_i32 v45, v40, 0, 8
	v_bfe_i32 v46, v42, 0, 8
	s_wait_loadcnt 0x0
	v_cndmask_b32_e64 v43, v43, v41, s5
	v_cndmask_b32_e64 v41, v41, v39, s5
	;; [unrolled: 1-line block ×3, first 2 shown]
	v_cmp_lt_i16_e64 s6, v46, v45
	s_barrier_signal -1
	v_cmp_ge_i32_e64 s7, v43, v13
	s_barrier_wait -1
	v_cmp_lt_i32_e64 s8, v39, v14
	global_inv scope:SCOPE_SE
	ds_store_b8 v1, v35
	ds_store_b8 v1, v36 offset:1
	s_or_b32 s6, s7, s6
	s_wait_loadcnt_dscnt 0x0
	s_wait_alu 0xfffe
	s_and_b32 s6, s8, s6
	s_barrier_signal -1
	s_wait_alu 0xfffe
	v_cndmask_b32_e64 v36, v43, v39, s6
	s_barrier_wait -1
	global_inv scope:SCOPE_SE
	v_cndmask_b32_e64 v37, v37, v38, s5
	ds_load_u8 v35, v41
	ds_load_u8 v36, v36
	v_cndmask_b32_e64 v40, v40, v42, s6
	s_wait_loadcnt_dscnt 0x0
	s_barrier_signal -1
	s_barrier_wait -1
	global_inv scope:SCOPE_SE
	ds_store_b8 v1, v37
	ds_store_b8 v1, v40 offset:1
	v_mov_b32_e32 v37, v32
	s_wait_loadcnt_dscnt 0x0
	s_barrier_signal -1
	s_barrier_wait -1
	global_inv scope:SCOPE_SE
	s_and_saveexec_b32 s6, s3
	s_cbranch_execz .LBB43_30
; %bb.27:                               ;   in Loop: Header=BB43_2 Depth=1
	v_dual_mov_b32 v37, v32 :: v_dual_mov_b32 v38, v27
	s_mov_b32 s7, 0
.LBB43_28:                              ;   Parent Loop BB43_2 Depth=1
                                        ; =>  This Inner Loop Header: Depth=2
	s_delay_alu instid0(VALU_DEP_1) | instskip(NEXT) | instid1(VALU_DEP_1)
	v_sub_nc_u32_e32 v39, v38, v37
	v_lshrrev_b32_e32 v39, 1, v39
	s_delay_alu instid0(VALU_DEP_1) | instskip(NEXT) | instid1(VALU_DEP_1)
	v_add_nc_u32_e32 v39, v39, v37
	v_add_nc_u32_e32 v40, v5, v39
	v_xad_u32 v41, v39, -1, v22
	v_add_nc_u32_e32 v42, 1, v39
	ds_load_i8 v40, v40
	ds_load_i8 v41, v41
	s_wait_dscnt 0x0
	v_cmp_lt_i16_e64 s5, v41, v40
	s_wait_alu 0xf1ff
	s_delay_alu instid0(VALU_DEP_1) | instskip(SKIP_1) | instid1(VALU_DEP_1)
	v_cndmask_b32_e64 v38, v38, v39, s5
	v_cndmask_b32_e64 v37, v42, v37, s5
	v_cmp_ge_i32_e64 s5, v37, v38
	s_wait_alu 0xfffe
	s_or_b32 s7, s5, s7
	s_wait_alu 0xfffe
	s_and_not1_b32 exec_lo, exec_lo, s7
	s_cbranch_execnz .LBB43_28
; %bb.29:                               ;   in Loop: Header=BB43_2 Depth=1
	s_or_b32 exec_lo, exec_lo, s7
.LBB43_30:                              ;   in Loop: Header=BB43_2 Depth=1
	s_wait_alu 0xfffe
	s_or_b32 exec_lo, exec_lo, s6
	v_add_nc_u32_e32 v41, v37, v5
	v_sub_nc_u32_e32 v39, v22, v37
                                        ; implicit-def: $vgpr40
	ds_load_u8 v37, v41
	ds_load_u8 v38, v39
	v_cmp_le_i32_e64 s5, v15, v41
	v_cmp_gt_i32_e64 s7, v16, v39
	s_wait_dscnt 0x1
	v_bfe_i32 v37, v37, 0, 8
	s_wait_dscnt 0x0
	v_bfe_i32 v38, v38, 0, 8
	s_delay_alu instid0(VALU_DEP_1)
	v_cmp_lt_i16_e64 s6, v38, v37
	s_or_b32 s5, s5, s6
	s_wait_alu 0xfffe
	s_and_b32 s5, s7, s5
	s_wait_alu 0xfffe
	s_xor_b32 s6, s5, -1
	s_wait_alu 0xfffe
	s_and_saveexec_b32 s7, s6
	s_wait_alu 0xfffe
	s_xor_b32 s6, exec_lo, s7
; %bb.31:                               ;   in Loop: Header=BB43_2 Depth=1
	ds_load_u8 v40, v41 offset:1
; %bb.32:                               ;   in Loop: Header=BB43_2 Depth=1
	s_wait_alu 0xfffe
	s_or_saveexec_b32 s6, s6
	v_mov_b32_e32 v42, v38
	s_wait_alu 0xfffe
	s_xor_b32 exec_lo, exec_lo, s6
	s_cbranch_execz .LBB43_34
; %bb.33:                               ;   in Loop: Header=BB43_2 Depth=1
	ds_load_u8 v42, v39 offset:1
	s_wait_dscnt 0x1
	v_mov_b32_e32 v40, v37
.LBB43_34:                              ;   in Loop: Header=BB43_2 Depth=1
	s_or_b32 exec_lo, exec_lo, s6
	v_add_nc_u32_e32 v43, 1, v41
	v_add_nc_u32_e32 v44, 1, v39
	s_wait_dscnt 0x0
	v_bfe_i32 v45, v40, 0, 8
	v_bfe_i32 v46, v42, 0, 8
	s_wait_loadcnt 0x0
	v_cndmask_b32_e64 v43, v43, v41, s5
	v_cndmask_b32_e64 v41, v41, v39, s5
	v_cndmask_b32_e64 v39, v39, v44, s5
	v_cmp_lt_i16_e64 s6, v46, v45
	s_barrier_signal -1
	v_cmp_ge_i32_e64 s7, v43, v15
	s_barrier_wait -1
	v_cmp_lt_i32_e64 s8, v39, v16
	global_inv scope:SCOPE_SE
	ds_store_b8 v1, v35
	ds_store_b8 v1, v36 offset:1
	s_or_b32 s6, s7, s6
	s_wait_loadcnt_dscnt 0x0
	s_wait_alu 0xfffe
	s_and_b32 s6, s8, s6
	s_barrier_signal -1
	s_wait_alu 0xfffe
	v_cndmask_b32_e64 v36, v43, v39, s6
	s_barrier_wait -1
	global_inv scope:SCOPE_SE
	v_cndmask_b32_e64 v37, v37, v38, s5
	ds_load_u8 v35, v41
	ds_load_u8 v36, v36
	v_cndmask_b32_e64 v40, v40, v42, s6
	s_wait_loadcnt_dscnt 0x0
	s_barrier_signal -1
	s_barrier_wait -1
	global_inv scope:SCOPE_SE
	ds_store_b8 v1, v37
	ds_store_b8 v1, v40 offset:1
	v_mov_b32_e32 v37, v33
	s_wait_loadcnt_dscnt 0x0
	s_barrier_signal -1
	s_barrier_wait -1
	global_inv scope:SCOPE_SE
	s_and_saveexec_b32 s6, s4
	s_cbranch_execz .LBB43_38
; %bb.35:                               ;   in Loop: Header=BB43_2 Depth=1
	v_dual_mov_b32 v37, v33 :: v_dual_mov_b32 v38, v28
	s_mov_b32 s7, 0
.LBB43_36:                              ;   Parent Loop BB43_2 Depth=1
                                        ; =>  This Inner Loop Header: Depth=2
	s_delay_alu instid0(VALU_DEP_1) | instskip(NEXT) | instid1(VALU_DEP_1)
	v_sub_nc_u32_e32 v39, v38, v37
	v_lshrrev_b32_e32 v39, 1, v39
	s_delay_alu instid0(VALU_DEP_1) | instskip(NEXT) | instid1(VALU_DEP_1)
	v_add_nc_u32_e32 v39, v39, v37
	v_add_nc_u32_e32 v40, v6, v39
	v_xad_u32 v41, v39, -1, v23
	v_add_nc_u32_e32 v42, 1, v39
	ds_load_i8 v40, v40
	ds_load_i8 v41, v41
	s_wait_dscnt 0x0
	v_cmp_lt_i16_e64 s5, v41, v40
	s_wait_alu 0xf1ff
	s_delay_alu instid0(VALU_DEP_1) | instskip(SKIP_1) | instid1(VALU_DEP_1)
	v_cndmask_b32_e64 v38, v38, v39, s5
	v_cndmask_b32_e64 v37, v42, v37, s5
	v_cmp_ge_i32_e64 s5, v37, v38
	s_wait_alu 0xfffe
	s_or_b32 s7, s5, s7
	s_wait_alu 0xfffe
	s_and_not1_b32 exec_lo, exec_lo, s7
	s_cbranch_execnz .LBB43_36
; %bb.37:                               ;   in Loop: Header=BB43_2 Depth=1
	s_or_b32 exec_lo, exec_lo, s7
.LBB43_38:                              ;   in Loop: Header=BB43_2 Depth=1
	s_wait_alu 0xfffe
	s_or_b32 exec_lo, exec_lo, s6
	v_add_nc_u32_e32 v41, v37, v6
	v_sub_nc_u32_e32 v39, v23, v37
                                        ; implicit-def: $vgpr40
	ds_load_u8 v37, v41
	ds_load_u8 v38, v39
	v_cmp_le_i32_e64 s5, v17, v41
	v_cmp_gt_i32_e64 s7, v18, v39
	s_wait_dscnt 0x1
	v_bfe_i32 v37, v37, 0, 8
	s_wait_dscnt 0x0
	v_bfe_i32 v38, v38, 0, 8
	s_delay_alu instid0(VALU_DEP_1)
	v_cmp_lt_i16_e64 s6, v38, v37
	s_or_b32 s5, s5, s6
	s_wait_alu 0xfffe
	s_and_b32 s5, s7, s5
	s_wait_alu 0xfffe
	s_xor_b32 s6, s5, -1
	s_wait_alu 0xfffe
	s_and_saveexec_b32 s7, s6
	s_wait_alu 0xfffe
	s_xor_b32 s6, exec_lo, s7
; %bb.39:                               ;   in Loop: Header=BB43_2 Depth=1
	ds_load_u8 v40, v41 offset:1
; %bb.40:                               ;   in Loop: Header=BB43_2 Depth=1
	s_wait_alu 0xfffe
	s_or_saveexec_b32 s6, s6
	v_mov_b32_e32 v42, v38
	s_wait_alu 0xfffe
	s_xor_b32 exec_lo, exec_lo, s6
	s_cbranch_execz .LBB43_42
; %bb.41:                               ;   in Loop: Header=BB43_2 Depth=1
	ds_load_u8 v42, v39 offset:1
	s_wait_dscnt 0x1
	v_mov_b32_e32 v40, v37
.LBB43_42:                              ;   in Loop: Header=BB43_2 Depth=1
	s_or_b32 exec_lo, exec_lo, s6
	v_add_nc_u32_e32 v43, 1, v41
	v_add_nc_u32_e32 v44, 1, v39
	s_wait_dscnt 0x0
	v_bfe_i32 v45, v40, 0, 8
	v_bfe_i32 v46, v42, 0, 8
	s_wait_loadcnt 0x0
	v_cndmask_b32_e64 v43, v43, v41, s5
	v_cndmask_b32_e64 v41, v41, v39, s5
	;; [unrolled: 1-line block ×3, first 2 shown]
	v_cmp_lt_i16_e64 s6, v46, v45
	s_barrier_signal -1
	v_cmp_ge_i32_e64 s7, v43, v17
	s_barrier_wait -1
	v_cmp_lt_i32_e64 s8, v39, v18
	global_inv scope:SCOPE_SE
	ds_store_b8 v1, v35
	ds_store_b8 v1, v36 offset:1
	s_or_b32 s6, s7, s6
	s_wait_loadcnt_dscnt 0x0
	s_wait_alu 0xfffe
	s_and_b32 s6, s8, s6
	s_barrier_signal -1
	s_wait_alu 0xfffe
	v_cndmask_b32_e64 v36, v43, v39, s6
	s_barrier_wait -1
	global_inv scope:SCOPE_SE
	v_cndmask_b32_e64 v37, v37, v38, s5
	ds_load_u8 v35, v41
	ds_load_u8 v36, v36
	v_cndmask_b32_e64 v40, v40, v42, s6
	s_wait_loadcnt_dscnt 0x0
	s_barrier_signal -1
	s_barrier_wait -1
	global_inv scope:SCOPE_SE
	ds_store_b8 v1, v37
	ds_store_b8 v1, v40 offset:1
	v_mov_b32_e32 v37, v7
	s_wait_loadcnt_dscnt 0x0
	s_barrier_signal -1
	s_barrier_wait -1
	global_inv scope:SCOPE_SE
	s_and_saveexec_b32 s6, vcc_lo
	s_cbranch_execz .LBB43_46
; %bb.43:                               ;   in Loop: Header=BB43_2 Depth=1
	v_dual_mov_b32 v37, v7 :: v_dual_mov_b32 v38, v8
	s_mov_b32 s7, 0
.LBB43_44:                              ;   Parent Loop BB43_2 Depth=1
                                        ; =>  This Inner Loop Header: Depth=2
	s_delay_alu instid0(VALU_DEP_1) | instskip(NEXT) | instid1(VALU_DEP_1)
	v_sub_nc_u32_e32 v39, v38, v37
	v_lshrrev_b32_e32 v39, 1, v39
	s_delay_alu instid0(VALU_DEP_1) | instskip(NEXT) | instid1(VALU_DEP_1)
	v_add_nc_u32_e32 v39, v39, v37
	v_xad_u32 v40, v39, -1, v34
	v_add_nc_u32_e32 v42, 1, v39
	ds_load_i8 v41, v39
	ds_load_i8 v40, v40
	s_wait_dscnt 0x0
	v_cmp_lt_i16_e64 s5, v40, v41
	s_wait_alu 0xf1ff
	s_delay_alu instid0(VALU_DEP_1) | instskip(SKIP_1) | instid1(VALU_DEP_1)
	v_cndmask_b32_e64 v38, v38, v39, s5
	v_cndmask_b32_e64 v37, v42, v37, s5
	v_cmp_ge_i32_e64 s5, v37, v38
	s_wait_alu 0xfffe
	s_or_b32 s7, s5, s7
	s_wait_alu 0xfffe
	s_and_not1_b32 exec_lo, exec_lo, s7
	s_cbranch_execnz .LBB43_44
; %bb.45:                               ;   in Loop: Header=BB43_2 Depth=1
	s_or_b32 exec_lo, exec_lo, s7
.LBB43_46:                              ;   in Loop: Header=BB43_2 Depth=1
	s_wait_alu 0xfffe
	s_or_b32 exec_lo, exec_lo, s6
	v_sub_nc_u32_e32 v40, v34, v37
	v_cmp_le_i32_e64 s5, 64, v37
                                        ; implicit-def: $vgpr42
                                        ; implicit-def: $vgpr41
	ds_load_u8 v38, v37
	ds_load_u8 v39, v40
	v_cmp_gt_i32_e64 s7, 0x80, v40
	s_wait_dscnt 0x1
	v_bfe_i32 v38, v38, 0, 8
	s_wait_dscnt 0x0
	v_bfe_i32 v39, v39, 0, 8
	s_delay_alu instid0(VALU_DEP_1)
	v_cmp_lt_i16_e64 s6, v39, v38
	s_or_b32 s5, s5, s6
	s_wait_alu 0xfffe
	s_and_b32 s5, s7, s5
	s_wait_alu 0xfffe
	s_xor_b32 s6, s5, -1
	s_wait_alu 0xfffe
	s_and_saveexec_b32 s7, s6
	s_wait_alu 0xfffe
	s_xor_b32 s6, exec_lo, s7
; %bb.47:                               ;   in Loop: Header=BB43_2 Depth=1
	ds_load_u8 v42, v37 offset:1
	v_add_nc_u32_e32 v41, 1, v37
; %bb.48:                               ;   in Loop: Header=BB43_2 Depth=1
	s_wait_alu 0xfffe
	s_or_saveexec_b32 s6, s6
	v_dual_mov_b32 v43, v37 :: v_dual_mov_b32 v44, v39
	s_wait_alu 0xfffe
	s_xor_b32 exec_lo, exec_lo, s6
	s_cbranch_execz .LBB43_1
; %bb.49:                               ;   in Loop: Header=BB43_2 Depth=1
	ds_load_u8 v44, v40 offset:1
	s_wait_dscnt 0x1
	v_dual_mov_b32 v43, v40 :: v_dual_add_nc_u32 v42, 1, v40
	s_delay_alu instid0(VALU_DEP_1)
	v_dual_mov_b32 v41, v37 :: v_dual_mov_b32 v40, v42
	v_mov_b32_e32 v42, v38
	s_branch .LBB43_1
.LBB43_50:
	s_add_nc_u64 s[0:1], s[10:11], s[12:13]
	s_wait_dscnt 0x1
	v_add_nc_u16 v2, v38, v37
	s_wait_alu 0xfffe
	v_add_co_u32 v0, s0, s0, v0
	s_wait_alu 0xf1ff
	v_add_co_ci_u32_e64 v1, null, s1, 0, s0
	s_wait_dscnt 0x0
	v_add_nc_u16 v3, v36, v35
	s_clause 0x1
	global_store_b8 v[0:1], v2, off
	global_store_b8 v[0:1], v3, off offset:64
	s_endpgm
	.section	.rodata,"a",@progbits
	.p2align	6, 0x0
	.amdhsa_kernel _Z17sort_pairs_kernelIaLj64ELj2EN10test_utils4lessELj10EEvPKT_PS2_T2_
		.amdhsa_group_segment_fixed_size 129
		.amdhsa_private_segment_fixed_size 0
		.amdhsa_kernarg_size 20
		.amdhsa_user_sgpr_count 2
		.amdhsa_user_sgpr_dispatch_ptr 0
		.amdhsa_user_sgpr_queue_ptr 0
		.amdhsa_user_sgpr_kernarg_segment_ptr 1
		.amdhsa_user_sgpr_dispatch_id 0
		.amdhsa_user_sgpr_private_segment_size 0
		.amdhsa_wavefront_size32 1
		.amdhsa_uses_dynamic_stack 0
		.amdhsa_enable_private_segment 0
		.amdhsa_system_sgpr_workgroup_id_x 1
		.amdhsa_system_sgpr_workgroup_id_y 0
		.amdhsa_system_sgpr_workgroup_id_z 0
		.amdhsa_system_sgpr_workgroup_info 0
		.amdhsa_system_vgpr_workitem_id 0
		.amdhsa_next_free_vgpr 48
		.amdhsa_next_free_sgpr 14
		.amdhsa_reserve_vcc 1
		.amdhsa_float_round_mode_32 0
		.amdhsa_float_round_mode_16_64 0
		.amdhsa_float_denorm_mode_32 3
		.amdhsa_float_denorm_mode_16_64 3
		.amdhsa_fp16_overflow 0
		.amdhsa_workgroup_processor_mode 1
		.amdhsa_memory_ordered 1
		.amdhsa_forward_progress 1
		.amdhsa_inst_pref_size 33
		.amdhsa_round_robin_scheduling 0
		.amdhsa_exception_fp_ieee_invalid_op 0
		.amdhsa_exception_fp_denorm_src 0
		.amdhsa_exception_fp_ieee_div_zero 0
		.amdhsa_exception_fp_ieee_overflow 0
		.amdhsa_exception_fp_ieee_underflow 0
		.amdhsa_exception_fp_ieee_inexact 0
		.amdhsa_exception_int_div_zero 0
	.end_amdhsa_kernel
	.section	.text._Z17sort_pairs_kernelIaLj64ELj2EN10test_utils4lessELj10EEvPKT_PS2_T2_,"axG",@progbits,_Z17sort_pairs_kernelIaLj64ELj2EN10test_utils4lessELj10EEvPKT_PS2_T2_,comdat
.Lfunc_end43:
	.size	_Z17sort_pairs_kernelIaLj64ELj2EN10test_utils4lessELj10EEvPKT_PS2_T2_, .Lfunc_end43-_Z17sort_pairs_kernelIaLj64ELj2EN10test_utils4lessELj10EEvPKT_PS2_T2_
                                        ; -- End function
	.set _Z17sort_pairs_kernelIaLj64ELj2EN10test_utils4lessELj10EEvPKT_PS2_T2_.num_vgpr, 48
	.set _Z17sort_pairs_kernelIaLj64ELj2EN10test_utils4lessELj10EEvPKT_PS2_T2_.num_agpr, 0
	.set _Z17sort_pairs_kernelIaLj64ELj2EN10test_utils4lessELj10EEvPKT_PS2_T2_.numbered_sgpr, 14
	.set _Z17sort_pairs_kernelIaLj64ELj2EN10test_utils4lessELj10EEvPKT_PS2_T2_.num_named_barrier, 0
	.set _Z17sort_pairs_kernelIaLj64ELj2EN10test_utils4lessELj10EEvPKT_PS2_T2_.private_seg_size, 0
	.set _Z17sort_pairs_kernelIaLj64ELj2EN10test_utils4lessELj10EEvPKT_PS2_T2_.uses_vcc, 1
	.set _Z17sort_pairs_kernelIaLj64ELj2EN10test_utils4lessELj10EEvPKT_PS2_T2_.uses_flat_scratch, 0
	.set _Z17sort_pairs_kernelIaLj64ELj2EN10test_utils4lessELj10EEvPKT_PS2_T2_.has_dyn_sized_stack, 0
	.set _Z17sort_pairs_kernelIaLj64ELj2EN10test_utils4lessELj10EEvPKT_PS2_T2_.has_recursion, 0
	.set _Z17sort_pairs_kernelIaLj64ELj2EN10test_utils4lessELj10EEvPKT_PS2_T2_.has_indirect_call, 0
	.section	.AMDGPU.csdata,"",@progbits
; Kernel info:
; codeLenInByte = 4112
; TotalNumSgprs: 16
; NumVgprs: 48
; ScratchSize: 0
; MemoryBound: 0
; FloatMode: 240
; IeeeMode: 1
; LDSByteSize: 129 bytes/workgroup (compile time only)
; SGPRBlocks: 0
; VGPRBlocks: 5
; NumSGPRsForWavesPerEU: 16
; NumVGPRsForWavesPerEU: 48
; Occupancy: 16
; WaveLimiterHint : 0
; COMPUTE_PGM_RSRC2:SCRATCH_EN: 0
; COMPUTE_PGM_RSRC2:USER_SGPR: 2
; COMPUTE_PGM_RSRC2:TRAP_HANDLER: 0
; COMPUTE_PGM_RSRC2:TGID_X_EN: 1
; COMPUTE_PGM_RSRC2:TGID_Y_EN: 0
; COMPUTE_PGM_RSRC2:TGID_Z_EN: 0
; COMPUTE_PGM_RSRC2:TIDIG_COMP_CNT: 0
	.section	.text._Z16sort_keys_kernelIaLj64ELj3EN10test_utils4lessELj10EEvPKT_PS2_T2_,"axG",@progbits,_Z16sort_keys_kernelIaLj64ELj3EN10test_utils4lessELj10EEvPKT_PS2_T2_,comdat
	.protected	_Z16sort_keys_kernelIaLj64ELj3EN10test_utils4lessELj10EEvPKT_PS2_T2_ ; -- Begin function _Z16sort_keys_kernelIaLj64ELj3EN10test_utils4lessELj10EEvPKT_PS2_T2_
	.globl	_Z16sort_keys_kernelIaLj64ELj3EN10test_utils4lessELj10EEvPKT_PS2_T2_
	.p2align	8
	.type	_Z16sort_keys_kernelIaLj64ELj3EN10test_utils4lessELj10EEvPKT_PS2_T2_,@function
_Z16sort_keys_kernelIaLj64ELj3EN10test_utils4lessELj10EEvPKT_PS2_T2_: ; @_Z16sort_keys_kernelIaLj64ELj3EN10test_utils4lessELj10EEvPKT_PS2_T2_
; %bb.0:
	s_load_b128 s[8:11], s[0:1], 0x0
	s_mul_i32 s12, ttmp9, 0xc0
	s_mov_b32 s13, 0
	v_and_b32_e32 v3, 62, v0
	v_and_b32_e32 v5, 60, v0
	;; [unrolled: 1-line block ×5, first 2 shown]
	v_mul_u32_u24_e32 v9, 3, v3
	v_and_b32_e32 v8, 32, v0
	v_mul_u32_u24_e32 v10, 3, v5
	v_mul_u32_u24_e32 v11, 3, v6
	v_cmp_eq_u32_e32 vcc_lo, 1, v4
	v_min_u32_e32 v20, 0xbd, v9
	v_min_u32_e32 v14, 0xba, v9
	v_mul_u32_u24_e32 v12, 3, v7
	v_mul_u32_u24_e32 v13, 3, v8
	v_min_u32_e32 v6, 0xc0, v10
	v_min_u32_e32 v21, 0xba, v10
	;; [unrolled: 1-line block ×3, first 2 shown]
	s_wait_kmcnt 0x0
	s_add_nc_u64 s[0:1], s[8:9], s[12:13]
	v_min_u32_e32 v7, 0xc0, v11
	s_clause 0x2
	global_load_u8 v39, v0, s[0:1] offset:64
	global_load_u8 v40, v0, s[0:1] offset:128
	global_load_u8 v41, v0, s[0:1]
	v_min_u32_e32 v22, 0xb4, v11
	v_min_u32_e32 v16, 0xa8, v11
	v_add_nc_u32_e32 v10, 3, v20
	v_add_nc_u32_e32 v11, 6, v14
	v_and_b32_e32 v25, 3, v0
	v_cndmask_b32_e64 v34, 0, 3, vcc_lo
	v_min_u32_e32 v5, 0xc0, v9
	v_min_u32_e32 v8, 0xc0, v12
	v_min_u32_e32 v23, 0xa8, v12
	v_min_u32_e32 v17, 0x90, v12
	v_min_u32_e32 v9, 0xc0, v13
	v_min_u32_e32 v44, 0x90, v13
	v_min_u32_e32 v19, 0x60, v13
	v_add_nc_u32_e32 v12, 6, v21
	v_add_nc_u32_e32 v13, 12, v15
	v_sub_nc_u32_e32 v42, v11, v10
	v_and_b32_e32 v26, 7, v0
	v_mul_u32_u24_e32 v35, 3, v25
	v_add_nc_u32_e32 v14, 12, v22
	v_add_nc_u32_e32 v15, 24, v16
	v_sub_nc_u32_e32 v29, v10, v5
	v_sub_nc_u32_e32 v45, v13, v12
	;; [unrolled: 1-line block ×3, first 2 shown]
	v_cmp_ge_i32_e64 s0, v34, v42
	v_and_b32_e32 v27, 15, v0
	v_mul_u32_u24_e32 v36, 3, v26
	v_add_nc_u32_e32 v16, 24, v23
	v_add_nc_u32_e32 v17, 48, v17
	;; [unrolled: 1-line block ×4, first 2 shown]
	v_sub_nc_u32_e32 v30, v12, v6
	v_sub_nc_u32_e32 v46, v15, v14
	v_min_i32_e32 v29, v34, v29
	v_sub_nc_u32_e32 v50, v35, v45
	v_cndmask_b32_e64 v34, 0, v49, s0
	v_cmp_ge_i32_e64 s0, v35, v45
	v_and_b32_e32 v43, 31, v0
	v_mul_u32_u24_e32 v37, 3, v27
	v_add_nc_u32_e32 v18, 48, v44
	v_add_nc_u32_e32 v19, 0x60, v19
	v_sub_nc_u32_e32 v31, v14, v7
	v_sub_nc_u32_e32 v47, v17, v16
	v_min_i32_e32 v30, v35, v30
	v_sub_nc_u32_e32 v51, v36, v46
	s_wait_alu 0xf1ff
	v_cndmask_b32_e64 v35, 0, v50, s0
	v_cmp_ge_i32_e64 s0, v36, v46
	v_mul_u32_u24_e32 v38, 3, v43
	v_sub_nc_u32_e32 v32, v16, v8
	v_sub_nc_u32_e32 v48, v19, v18
	v_min_i32_e32 v31, v36, v31
	v_sub_nc_u32_e32 v52, v37, v47
	s_wait_alu 0xf1ff
	v_cndmask_b32_e64 v36, 0, v51, s0
	v_cmp_ge_i32_e64 s0, v37, v47
	v_sub_nc_u32_e32 v33, v18, v9
	v_min_i32_e32 v32, v37, v32
	v_sub_nc_u32_e32 v53, v38, v48
	v_mul_u32_u24_e32 v1, 3, v0
	s_wait_alu 0xf1ff
	v_cndmask_b32_e64 v37, 0, v52, s0
	v_cmp_ge_i32_e64 s0, v38, v48
	v_min_i32_e32 v33, v38, v33
	v_mad_u32_u24 v2, v0, 3, 0x60
	v_subrev_nc_u32_e64 v3, 0x60, v1 clamp
	v_min_i32_e32 v4, 0x60, v1
	s_wait_alu 0xf1ff
	v_cndmask_b32_e64 v38, 0, v53, s0
	v_mad_u32_u24 v21, v25, 3, v21
	v_mad_u32_u24 v22, v26, 3, v22
	;; [unrolled: 1-line block ×7, first 2 shown]
	v_cmp_lt_i32_e64 s0, v34, v29
	v_cmp_lt_i32_e64 s1, v35, v30
	v_cmp_lt_i32_e64 s2, v36, v31
	v_cmp_lt_i32_e64 s3, v37, v32
	v_cmp_lt_i32_e64 s4, v38, v33
	s_mov_b32 s9, s13
	v_cmp_lt_i32_e32 vcc_lo, v3, v4
	s_wait_loadcnt 0x0
	v_perm_b32 v39, v41, v39, 0xc0c0004
	s_delay_alu instid0(VALU_DEP_1)
	v_lshl_or_b32 v42, v40, 16, v39
	v_mad_u32_u24 v39, v43, 3, v44
	s_branch .LBB44_2
.LBB44_1:                               ;   in Loop: Header=BB44_2 Depth=1
	s_or_b32 exec_lo, exec_lo, s7
	s_wait_dscnt 0x0
	v_bfe_i32 v47, v45, 0, 8
	v_bfe_i32 v49, v48, 0, 8
	v_cndmask_b32_e64 v43, v43, v44, s6
	v_cmp_le_i32_e64 s6, 0x60, v46
	v_cndmask_b32_e64 v40, v40, v41, s5
	v_cmp_gt_i32_e64 s5, 0xc0, v42
	v_cmp_lt_i16_e64 s7, v49, v47
	v_lshlrev_b16 v42, 8, v43
	s_add_co_i32 s9, s9, 1
	v_and_b32_e32 v44, 0xff, v40
	s_or_b32 s6, s6, s7
	s_wait_alu 0xfffe
	s_and_b32 s5, s5, s6
	s_delay_alu instid0(VALU_DEP_1) | instskip(SKIP_3) | instid1(VALU_DEP_2)
	v_or_b32_e32 v42, v44, v42
	s_wait_alu 0xfffe
	v_cndmask_b32_e64 v41, v45, v48, s5
	s_cmp_eq_u32 s9, 10
	v_and_b32_e32 v42, 0xffff, v42
	s_delay_alu instid0(VALU_DEP_2) | instskip(NEXT) | instid1(VALU_DEP_1)
	v_and_b32_e32 v44, 0xff, v41
	v_lshlrev_b32_e32 v44, 16, v44
	s_delay_alu instid0(VALU_DEP_1)
	v_or_b32_e32 v42, v42, v44
	s_cbranch_scc1 .LBB44_74
.LBB44_2:                               ; =>This Loop Header: Depth=1
                                        ;     Child Loop BB44_4 Depth 2
                                        ;     Child Loop BB44_16 Depth 2
	;; [unrolled: 1-line block ×6, first 2 shown]
	s_delay_alu instid0(VALU_DEP_1) | instskip(SKIP_3) | instid1(VALU_DEP_3)
	v_lshrrev_b32_e32 v40, 8, v42
	v_bfe_i32 v41, v42, 0, 8
	v_perm_b32 v43, v42, v42, 0x7060405
	s_barrier_signal -1
	v_bfe_i32 v40, v40, 0, 8
	s_barrier_wait -1
	global_inv scope:SCOPE_SE
	v_cmp_lt_i16_e64 s5, v40, v41
	v_max_i16 v44, v40, v41
	v_min_i16 v40, v40, v41
	s_wait_alu 0xf1ff
	s_delay_alu instid0(VALU_DEP_3) | instskip(NEXT) | instid1(VALU_DEP_2)
	v_cndmask_b32_e64 v42, v42, v43, s5
	v_lshlrev_b16 v45, 8, v40
	s_delay_alu instid0(VALU_DEP_2) | instskip(SKIP_1) | instid1(VALU_DEP_2)
	v_lshrrev_b32_e32 v43, 16, v42
	v_perm_b32 v46, v42, v44, 0x7000604
	v_bfe_i32 v43, v43, 0, 8
	s_delay_alu instid0(VALU_DEP_1) | instskip(SKIP_1) | instid1(VALU_DEP_2)
	v_min_i16 v41, v43, v44
	v_cmp_lt_i16_e64 s5, v43, v44
	v_and_b32_e32 v41, 0xff, v41
	s_wait_alu 0xf1ff
	s_delay_alu instid0(VALU_DEP_2) | instskip(SKIP_1) | instid1(VALU_DEP_3)
	v_cndmask_b32_e64 v42, v42, v46, s5
	v_cmp_lt_i16_e64 s5, v43, v40
	v_or_b32_e32 v41, v41, v45
	s_delay_alu instid0(VALU_DEP_1) | instskip(NEXT) | instid1(VALU_DEP_1)
	v_and_b32_e32 v41, 0xffff, v41
	v_and_or_b32 v41, 0xffff0000, v42, v41
	s_wait_alu 0xf1ff
	s_delay_alu instid0(VALU_DEP_1) | instskip(SKIP_1) | instid1(VALU_DEP_2)
	v_cndmask_b32_e64 v40, v42, v41, s5
	v_mov_b32_e32 v42, v34
	v_lshrrev_b32_e32 v41, 8, v40
	ds_store_b8 v1, v40
	ds_store_b8 v1, v41 offset:1
	ds_store_b8_d16_hi v1, v40 offset:2
	s_wait_loadcnt_dscnt 0x0
	s_barrier_signal -1
	s_barrier_wait -1
	global_inv scope:SCOPE_SE
	s_and_saveexec_b32 s6, s0
	s_cbranch_execz .LBB44_6
; %bb.3:                                ;   in Loop: Header=BB44_2 Depth=1
	v_mov_b32_e32 v42, v34
	v_mov_b32_e32 v40, v29
	s_mov_b32 s7, 0
.LBB44_4:                               ;   Parent Loop BB44_2 Depth=1
                                        ; =>  This Inner Loop Header: Depth=2
	s_delay_alu instid0(VALU_DEP_1) | instskip(NEXT) | instid1(VALU_DEP_1)
	v_sub_nc_u32_e32 v41, v40, v42
	v_lshrrev_b32_e32 v41, 1, v41
	s_delay_alu instid0(VALU_DEP_1) | instskip(NEXT) | instid1(VALU_DEP_1)
	v_add_nc_u32_e32 v41, v41, v42
	v_add_nc_u32_e32 v43, v5, v41
	v_xad_u32 v44, v41, -1, v20
	v_add_nc_u32_e32 v45, 1, v41
	ds_load_i8 v43, v43
	ds_load_i8 v44, v44 offset:3
	s_wait_dscnt 0x0
	v_cmp_lt_i16_e64 s5, v44, v43
	s_wait_alu 0xf1ff
	s_delay_alu instid0(VALU_DEP_1) | instskip(SKIP_1) | instid1(VALU_DEP_1)
	v_cndmask_b32_e64 v40, v40, v41, s5
	v_cndmask_b32_e64 v42, v45, v42, s5
	v_cmp_ge_i32_e64 s5, v42, v40
	s_wait_alu 0xfffe
	s_or_b32 s7, s5, s7
	s_wait_alu 0xfffe
	s_and_not1_b32 exec_lo, exec_lo, s7
	s_cbranch_execnz .LBB44_4
; %bb.5:                                ;   in Loop: Header=BB44_2 Depth=1
	s_or_b32 exec_lo, exec_lo, s7
.LBB44_6:                               ;   in Loop: Header=BB44_2 Depth=1
	s_wait_alu 0xfffe
	s_or_b32 exec_lo, exec_lo, s6
	v_add_nc_u32_e32 v44, v42, v5
	v_sub_nc_u32_e32 v46, v20, v42
	v_sub_nc_u32_e32 v45, v24, v42
                                        ; implicit-def: $vgpr42
	ds_load_u8 v40, v44
	ds_load_u8 v41, v46 offset:3
	v_cmp_le_i32_e64 s5, v10, v44
	v_cmp_gt_i32_e64 s7, v11, v45
	s_wait_dscnt 0x1
	v_bfe_i32 v40, v40, 0, 8
	s_wait_dscnt 0x0
	v_bfe_i32 v41, v41, 0, 8
	s_delay_alu instid0(VALU_DEP_1)
	v_cmp_lt_i16_e64 s6, v41, v40
	s_or_b32 s5, s5, s6
	s_wait_alu 0xfffe
	s_and_b32 s5, s7, s5
	s_wait_alu 0xfffe
	s_xor_b32 s6, s5, -1
	s_wait_alu 0xfffe
	s_and_saveexec_b32 s7, s6
	s_wait_alu 0xfffe
	s_xor_b32 s6, exec_lo, s7
; %bb.7:                                ;   in Loop: Header=BB44_2 Depth=1
	ds_load_u8 v42, v44 offset:1
                                        ; implicit-def: $vgpr46
; %bb.8:                                ;   in Loop: Header=BB44_2 Depth=1
	s_wait_alu 0xfffe
	s_or_saveexec_b32 s6, s6
	v_mov_b32_e32 v43, v41
	s_wait_alu 0xfffe
	s_xor_b32 exec_lo, exec_lo, s6
	s_cbranch_execz .LBB44_10
; %bb.9:                                ;   in Loop: Header=BB44_2 Depth=1
	ds_load_u8 v43, v46 offset:4
	s_wait_dscnt 0x1
	v_mov_b32_e32 v42, v40
.LBB44_10:                              ;   in Loop: Header=BB44_2 Depth=1
	s_or_b32 exec_lo, exec_lo, s6
	v_add_nc_u32_e32 v46, 1, v44
	v_add_nc_u32_e32 v47, 1, v45
	s_wait_dscnt 0x0
	v_bfe_i32 v48, v42, 0, 8
	s_delay_alu instid0(VALU_DEP_3) | instskip(SKIP_2) | instid1(VALU_DEP_3)
	v_cndmask_b32_e64 v46, v46, v44, s5
	v_bfe_i32 v44, v43, 0, 8
	v_cndmask_b32_e64 v45, v45, v47, s5
	v_cmp_ge_i32_e64 s6, v46, v10
	s_delay_alu instid0(VALU_DEP_3) | instskip(NEXT) | instid1(VALU_DEP_3)
	v_cmp_lt_i16_e64 s7, v44, v48
	v_cmp_lt_i32_e64 s8, v45, v11
                                        ; implicit-def: $vgpr44
	s_or_b32 s6, s6, s7
	s_wait_alu 0xfffe
	s_and_b32 s6, s8, s6
	s_wait_alu 0xfffe
	s_xor_b32 s7, s6, -1
	s_wait_alu 0xfffe
	s_and_saveexec_b32 s8, s7
	s_delay_alu instid0(SALU_CYCLE_1)
	s_xor_b32 s7, exec_lo, s8
; %bb.11:                               ;   in Loop: Header=BB44_2 Depth=1
	ds_load_u8 v44, v46 offset:1
; %bb.12:                               ;   in Loop: Header=BB44_2 Depth=1
	s_wait_alu 0xfffe
	s_or_saveexec_b32 s7, s7
	v_mov_b32_e32 v47, v43
	s_wait_alu 0xfffe
	s_xor_b32 exec_lo, exec_lo, s7
	s_cbranch_execz .LBB44_14
; %bb.13:                               ;   in Loop: Header=BB44_2 Depth=1
	ds_load_u8 v47, v45 offset:1
	s_wait_dscnt 0x1
	v_mov_b32_e32 v44, v42
.LBB44_14:                              ;   in Loop: Header=BB44_2 Depth=1
	s_or_b32 exec_lo, exec_lo, s7
	v_add_nc_u32_e32 v48, 1, v46
	v_add_nc_u32_e32 v49, 1, v45
	s_wait_dscnt 0x0
	v_bfe_i32 v50, v44, 0, 8
	v_bfe_i32 v51, v47, 0, 8
	v_cndmask_b32_e64 v43, v42, v43, s6
	v_cndmask_b32_e64 v46, v48, v46, s6
	v_mov_b32_e32 v42, v35
	v_cndmask_b32_e64 v45, v45, v49, s6
	v_cmp_lt_i16_e64 s6, v51, v50
	v_cndmask_b32_e64 v40, v40, v41, s5
	v_cmp_ge_i32_e64 s7, v46, v10
	s_wait_loadcnt 0x0
	v_cmp_lt_i32_e64 s5, v45, v11
	s_barrier_signal -1
	s_barrier_wait -1
	s_or_b32 s6, s7, s6
	global_inv scope:SCOPE_SE
	s_wait_alu 0xfffe
	s_and_b32 s5, s5, s6
	s_wait_alu 0xfffe
	v_cndmask_b32_e64 v41, v44, v47, s5
	ds_store_b8 v1, v40
	ds_store_b8 v1, v43 offset:1
	ds_store_b8 v1, v41 offset:2
	s_wait_loadcnt_dscnt 0x0
	s_barrier_signal -1
	s_barrier_wait -1
	global_inv scope:SCOPE_SE
	s_and_saveexec_b32 s6, s1
	s_cbranch_execz .LBB44_18
; %bb.15:                               ;   in Loop: Header=BB44_2 Depth=1
	v_mov_b32_e32 v42, v35
	v_mov_b32_e32 v40, v30
	s_mov_b32 s7, 0
.LBB44_16:                              ;   Parent Loop BB44_2 Depth=1
                                        ; =>  This Inner Loop Header: Depth=2
	s_delay_alu instid0(VALU_DEP_1) | instskip(NEXT) | instid1(VALU_DEP_1)
	v_sub_nc_u32_e32 v41, v40, v42
	v_lshrrev_b32_e32 v41, 1, v41
	s_delay_alu instid0(VALU_DEP_1) | instskip(NEXT) | instid1(VALU_DEP_1)
	v_add_nc_u32_e32 v41, v41, v42
	v_add_nc_u32_e32 v43, v6, v41
	v_xad_u32 v44, v41, -1, v21
	v_add_nc_u32_e32 v45, 1, v41
	ds_load_i8 v43, v43
	ds_load_i8 v44, v44 offset:6
	s_wait_dscnt 0x0
	v_cmp_lt_i16_e64 s5, v44, v43
	s_wait_alu 0xf1ff
	s_delay_alu instid0(VALU_DEP_1) | instskip(SKIP_1) | instid1(VALU_DEP_1)
	v_cndmask_b32_e64 v40, v40, v41, s5
	v_cndmask_b32_e64 v42, v45, v42, s5
	v_cmp_ge_i32_e64 s5, v42, v40
	s_wait_alu 0xfffe
	s_or_b32 s7, s5, s7
	s_wait_alu 0xfffe
	s_and_not1_b32 exec_lo, exec_lo, s7
	s_cbranch_execnz .LBB44_16
; %bb.17:                               ;   in Loop: Header=BB44_2 Depth=1
	s_or_b32 exec_lo, exec_lo, s7
.LBB44_18:                              ;   in Loop: Header=BB44_2 Depth=1
	s_wait_alu 0xfffe
	s_or_b32 exec_lo, exec_lo, s6
	v_add_nc_u32_e32 v44, v42, v6
	v_sub_nc_u32_e32 v46, v21, v42
	v_sub_nc_u32_e32 v45, v25, v42
                                        ; implicit-def: $vgpr42
	ds_load_u8 v40, v44
	ds_load_u8 v41, v46 offset:6
	v_cmp_le_i32_e64 s5, v12, v44
	v_cmp_gt_i32_e64 s7, v13, v45
	s_wait_dscnt 0x1
	v_bfe_i32 v40, v40, 0, 8
	s_wait_dscnt 0x0
	v_bfe_i32 v41, v41, 0, 8
	s_delay_alu instid0(VALU_DEP_1)
	v_cmp_lt_i16_e64 s6, v41, v40
	s_or_b32 s5, s5, s6
	s_wait_alu 0xfffe
	s_and_b32 s5, s7, s5
	s_wait_alu 0xfffe
	s_xor_b32 s6, s5, -1
	s_wait_alu 0xfffe
	s_and_saveexec_b32 s7, s6
	s_wait_alu 0xfffe
	s_xor_b32 s6, exec_lo, s7
; %bb.19:                               ;   in Loop: Header=BB44_2 Depth=1
	ds_load_u8 v42, v44 offset:1
                                        ; implicit-def: $vgpr46
; %bb.20:                               ;   in Loop: Header=BB44_2 Depth=1
	s_wait_alu 0xfffe
	s_or_saveexec_b32 s6, s6
	v_mov_b32_e32 v43, v41
	s_wait_alu 0xfffe
	s_xor_b32 exec_lo, exec_lo, s6
	s_cbranch_execz .LBB44_22
; %bb.21:                               ;   in Loop: Header=BB44_2 Depth=1
	ds_load_u8 v43, v46 offset:7
	s_wait_dscnt 0x1
	v_mov_b32_e32 v42, v40
.LBB44_22:                              ;   in Loop: Header=BB44_2 Depth=1
	s_or_b32 exec_lo, exec_lo, s6
	v_add_nc_u32_e32 v46, 1, v44
	v_add_nc_u32_e32 v47, 1, v45
	s_wait_dscnt 0x0
	v_bfe_i32 v48, v42, 0, 8
	s_delay_alu instid0(VALU_DEP_3) | instskip(SKIP_2) | instid1(VALU_DEP_3)
	v_cndmask_b32_e64 v46, v46, v44, s5
	v_bfe_i32 v44, v43, 0, 8
	v_cndmask_b32_e64 v45, v45, v47, s5
	v_cmp_ge_i32_e64 s6, v46, v12
	s_delay_alu instid0(VALU_DEP_3) | instskip(NEXT) | instid1(VALU_DEP_3)
	v_cmp_lt_i16_e64 s7, v44, v48
	v_cmp_lt_i32_e64 s8, v45, v13
                                        ; implicit-def: $vgpr44
	s_or_b32 s6, s6, s7
	s_wait_alu 0xfffe
	s_and_b32 s6, s8, s6
	s_wait_alu 0xfffe
	s_xor_b32 s7, s6, -1
	s_wait_alu 0xfffe
	s_and_saveexec_b32 s8, s7
	s_delay_alu instid0(SALU_CYCLE_1)
	s_xor_b32 s7, exec_lo, s8
; %bb.23:                               ;   in Loop: Header=BB44_2 Depth=1
	ds_load_u8 v44, v46 offset:1
; %bb.24:                               ;   in Loop: Header=BB44_2 Depth=1
	s_wait_alu 0xfffe
	s_or_saveexec_b32 s7, s7
	v_mov_b32_e32 v47, v43
	s_wait_alu 0xfffe
	s_xor_b32 exec_lo, exec_lo, s7
	s_cbranch_execz .LBB44_26
; %bb.25:                               ;   in Loop: Header=BB44_2 Depth=1
	ds_load_u8 v47, v45 offset:1
	s_wait_dscnt 0x1
	v_mov_b32_e32 v44, v42
.LBB44_26:                              ;   in Loop: Header=BB44_2 Depth=1
	s_or_b32 exec_lo, exec_lo, s7
	v_add_nc_u32_e32 v48, 1, v46
	v_add_nc_u32_e32 v49, 1, v45
	s_wait_dscnt 0x0
	v_bfe_i32 v50, v44, 0, 8
	v_bfe_i32 v51, v47, 0, 8
	v_cndmask_b32_e64 v43, v42, v43, s6
	v_cndmask_b32_e64 v46, v48, v46, s6
	v_mov_b32_e32 v42, v36
	v_cndmask_b32_e64 v45, v45, v49, s6
	v_cmp_lt_i16_e64 s6, v51, v50
	v_cndmask_b32_e64 v40, v40, v41, s5
	v_cmp_ge_i32_e64 s7, v46, v12
	s_wait_loadcnt 0x0
	v_cmp_lt_i32_e64 s5, v45, v13
	s_barrier_signal -1
	s_barrier_wait -1
	s_or_b32 s6, s7, s6
	global_inv scope:SCOPE_SE
	s_wait_alu 0xfffe
	s_and_b32 s5, s5, s6
	s_wait_alu 0xfffe
	v_cndmask_b32_e64 v41, v44, v47, s5
	ds_store_b8 v1, v40
	ds_store_b8 v1, v43 offset:1
	ds_store_b8 v1, v41 offset:2
	s_wait_loadcnt_dscnt 0x0
	s_barrier_signal -1
	s_barrier_wait -1
	global_inv scope:SCOPE_SE
	s_and_saveexec_b32 s6, s2
	s_cbranch_execz .LBB44_30
; %bb.27:                               ;   in Loop: Header=BB44_2 Depth=1
	v_mov_b32_e32 v42, v36
	v_mov_b32_e32 v40, v31
	s_mov_b32 s7, 0
.LBB44_28:                              ;   Parent Loop BB44_2 Depth=1
                                        ; =>  This Inner Loop Header: Depth=2
	s_delay_alu instid0(VALU_DEP_1) | instskip(NEXT) | instid1(VALU_DEP_1)
	v_sub_nc_u32_e32 v41, v40, v42
	v_lshrrev_b32_e32 v41, 1, v41
	s_delay_alu instid0(VALU_DEP_1) | instskip(NEXT) | instid1(VALU_DEP_1)
	v_add_nc_u32_e32 v41, v41, v42
	v_add_nc_u32_e32 v43, v7, v41
	v_xad_u32 v44, v41, -1, v22
	v_add_nc_u32_e32 v45, 1, v41
	ds_load_i8 v43, v43
	ds_load_i8 v44, v44 offset:12
	s_wait_dscnt 0x0
	v_cmp_lt_i16_e64 s5, v44, v43
	s_wait_alu 0xf1ff
	s_delay_alu instid0(VALU_DEP_1) | instskip(SKIP_1) | instid1(VALU_DEP_1)
	v_cndmask_b32_e64 v40, v40, v41, s5
	v_cndmask_b32_e64 v42, v45, v42, s5
	v_cmp_ge_i32_e64 s5, v42, v40
	s_wait_alu 0xfffe
	s_or_b32 s7, s5, s7
	s_wait_alu 0xfffe
	s_and_not1_b32 exec_lo, exec_lo, s7
	s_cbranch_execnz .LBB44_28
; %bb.29:                               ;   in Loop: Header=BB44_2 Depth=1
	s_or_b32 exec_lo, exec_lo, s7
.LBB44_30:                              ;   in Loop: Header=BB44_2 Depth=1
	s_wait_alu 0xfffe
	s_or_b32 exec_lo, exec_lo, s6
	v_add_nc_u32_e32 v44, v42, v7
	v_sub_nc_u32_e32 v46, v22, v42
	v_sub_nc_u32_e32 v45, v26, v42
                                        ; implicit-def: $vgpr42
	ds_load_u8 v40, v44
	ds_load_u8 v41, v46 offset:12
	v_cmp_le_i32_e64 s5, v14, v44
	v_cmp_gt_i32_e64 s7, v15, v45
	s_wait_dscnt 0x1
	v_bfe_i32 v40, v40, 0, 8
	s_wait_dscnt 0x0
	v_bfe_i32 v41, v41, 0, 8
	s_delay_alu instid0(VALU_DEP_1)
	v_cmp_lt_i16_e64 s6, v41, v40
	s_or_b32 s5, s5, s6
	s_wait_alu 0xfffe
	s_and_b32 s5, s7, s5
	s_wait_alu 0xfffe
	s_xor_b32 s6, s5, -1
	s_wait_alu 0xfffe
	s_and_saveexec_b32 s7, s6
	s_wait_alu 0xfffe
	s_xor_b32 s6, exec_lo, s7
; %bb.31:                               ;   in Loop: Header=BB44_2 Depth=1
	ds_load_u8 v42, v44 offset:1
                                        ; implicit-def: $vgpr46
; %bb.32:                               ;   in Loop: Header=BB44_2 Depth=1
	s_wait_alu 0xfffe
	s_or_saveexec_b32 s6, s6
	v_mov_b32_e32 v43, v41
	s_wait_alu 0xfffe
	s_xor_b32 exec_lo, exec_lo, s6
	s_cbranch_execz .LBB44_34
; %bb.33:                               ;   in Loop: Header=BB44_2 Depth=1
	ds_load_u8 v43, v46 offset:13
	s_wait_dscnt 0x1
	v_mov_b32_e32 v42, v40
.LBB44_34:                              ;   in Loop: Header=BB44_2 Depth=1
	s_or_b32 exec_lo, exec_lo, s6
	v_add_nc_u32_e32 v46, 1, v44
	v_add_nc_u32_e32 v47, 1, v45
	s_wait_dscnt 0x0
	v_bfe_i32 v48, v42, 0, 8
	s_delay_alu instid0(VALU_DEP_3) | instskip(SKIP_2) | instid1(VALU_DEP_3)
	v_cndmask_b32_e64 v46, v46, v44, s5
	v_bfe_i32 v44, v43, 0, 8
	v_cndmask_b32_e64 v45, v45, v47, s5
	v_cmp_ge_i32_e64 s6, v46, v14
	s_delay_alu instid0(VALU_DEP_3) | instskip(NEXT) | instid1(VALU_DEP_3)
	v_cmp_lt_i16_e64 s7, v44, v48
	v_cmp_lt_i32_e64 s8, v45, v15
                                        ; implicit-def: $vgpr44
	s_or_b32 s6, s6, s7
	s_wait_alu 0xfffe
	s_and_b32 s6, s8, s6
	s_wait_alu 0xfffe
	s_xor_b32 s7, s6, -1
	s_wait_alu 0xfffe
	s_and_saveexec_b32 s8, s7
	s_delay_alu instid0(SALU_CYCLE_1)
	s_xor_b32 s7, exec_lo, s8
; %bb.35:                               ;   in Loop: Header=BB44_2 Depth=1
	ds_load_u8 v44, v46 offset:1
; %bb.36:                               ;   in Loop: Header=BB44_2 Depth=1
	s_wait_alu 0xfffe
	s_or_saveexec_b32 s7, s7
	v_mov_b32_e32 v47, v43
	s_wait_alu 0xfffe
	s_xor_b32 exec_lo, exec_lo, s7
	s_cbranch_execz .LBB44_38
; %bb.37:                               ;   in Loop: Header=BB44_2 Depth=1
	ds_load_u8 v47, v45 offset:1
	s_wait_dscnt 0x1
	v_mov_b32_e32 v44, v42
.LBB44_38:                              ;   in Loop: Header=BB44_2 Depth=1
	s_or_b32 exec_lo, exec_lo, s7
	v_add_nc_u32_e32 v48, 1, v46
	v_add_nc_u32_e32 v49, 1, v45
	s_wait_dscnt 0x0
	v_bfe_i32 v50, v44, 0, 8
	v_bfe_i32 v51, v47, 0, 8
	v_cndmask_b32_e64 v43, v42, v43, s6
	v_cndmask_b32_e64 v46, v48, v46, s6
	v_mov_b32_e32 v42, v37
	v_cndmask_b32_e64 v45, v45, v49, s6
	v_cmp_lt_i16_e64 s6, v51, v50
	v_cndmask_b32_e64 v40, v40, v41, s5
	v_cmp_ge_i32_e64 s7, v46, v14
	s_wait_loadcnt 0x0
	v_cmp_lt_i32_e64 s5, v45, v15
	s_barrier_signal -1
	s_barrier_wait -1
	s_or_b32 s6, s7, s6
	global_inv scope:SCOPE_SE
	s_wait_alu 0xfffe
	s_and_b32 s5, s5, s6
	s_wait_alu 0xfffe
	v_cndmask_b32_e64 v41, v44, v47, s5
	ds_store_b8 v1, v40
	ds_store_b8 v1, v43 offset:1
	ds_store_b8 v1, v41 offset:2
	s_wait_loadcnt_dscnt 0x0
	s_barrier_signal -1
	s_barrier_wait -1
	global_inv scope:SCOPE_SE
	s_and_saveexec_b32 s6, s3
	s_cbranch_execz .LBB44_42
; %bb.39:                               ;   in Loop: Header=BB44_2 Depth=1
	v_mov_b32_e32 v42, v37
	v_mov_b32_e32 v40, v32
	s_mov_b32 s7, 0
.LBB44_40:                              ;   Parent Loop BB44_2 Depth=1
                                        ; =>  This Inner Loop Header: Depth=2
	s_delay_alu instid0(VALU_DEP_1) | instskip(NEXT) | instid1(VALU_DEP_1)
	v_sub_nc_u32_e32 v41, v40, v42
	v_lshrrev_b32_e32 v41, 1, v41
	s_delay_alu instid0(VALU_DEP_1) | instskip(NEXT) | instid1(VALU_DEP_1)
	v_add_nc_u32_e32 v41, v41, v42
	v_add_nc_u32_e32 v43, v8, v41
	v_xad_u32 v44, v41, -1, v23
	v_add_nc_u32_e32 v45, 1, v41
	ds_load_i8 v43, v43
	ds_load_i8 v44, v44 offset:24
	s_wait_dscnt 0x0
	v_cmp_lt_i16_e64 s5, v44, v43
	s_wait_alu 0xf1ff
	s_delay_alu instid0(VALU_DEP_1) | instskip(SKIP_1) | instid1(VALU_DEP_1)
	v_cndmask_b32_e64 v40, v40, v41, s5
	v_cndmask_b32_e64 v42, v45, v42, s5
	v_cmp_ge_i32_e64 s5, v42, v40
	s_wait_alu 0xfffe
	s_or_b32 s7, s5, s7
	s_wait_alu 0xfffe
	s_and_not1_b32 exec_lo, exec_lo, s7
	s_cbranch_execnz .LBB44_40
; %bb.41:                               ;   in Loop: Header=BB44_2 Depth=1
	s_or_b32 exec_lo, exec_lo, s7
.LBB44_42:                              ;   in Loop: Header=BB44_2 Depth=1
	s_wait_alu 0xfffe
	s_or_b32 exec_lo, exec_lo, s6
	v_add_nc_u32_e32 v44, v42, v8
	v_sub_nc_u32_e32 v46, v23, v42
	v_sub_nc_u32_e32 v45, v27, v42
                                        ; implicit-def: $vgpr42
	ds_load_u8 v40, v44
	ds_load_u8 v41, v46 offset:24
	v_cmp_le_i32_e64 s5, v16, v44
	v_cmp_gt_i32_e64 s7, v17, v45
	s_wait_dscnt 0x1
	v_bfe_i32 v40, v40, 0, 8
	s_wait_dscnt 0x0
	v_bfe_i32 v41, v41, 0, 8
	s_delay_alu instid0(VALU_DEP_1)
	v_cmp_lt_i16_e64 s6, v41, v40
	s_or_b32 s5, s5, s6
	s_wait_alu 0xfffe
	s_and_b32 s5, s7, s5
	s_wait_alu 0xfffe
	s_xor_b32 s6, s5, -1
	s_wait_alu 0xfffe
	s_and_saveexec_b32 s7, s6
	s_wait_alu 0xfffe
	s_xor_b32 s6, exec_lo, s7
; %bb.43:                               ;   in Loop: Header=BB44_2 Depth=1
	ds_load_u8 v42, v44 offset:1
                                        ; implicit-def: $vgpr46
; %bb.44:                               ;   in Loop: Header=BB44_2 Depth=1
	s_wait_alu 0xfffe
	s_or_saveexec_b32 s6, s6
	v_mov_b32_e32 v43, v41
	s_wait_alu 0xfffe
	s_xor_b32 exec_lo, exec_lo, s6
	s_cbranch_execz .LBB44_46
; %bb.45:                               ;   in Loop: Header=BB44_2 Depth=1
	ds_load_u8 v43, v46 offset:25
	s_wait_dscnt 0x1
	v_mov_b32_e32 v42, v40
.LBB44_46:                              ;   in Loop: Header=BB44_2 Depth=1
	s_or_b32 exec_lo, exec_lo, s6
	v_add_nc_u32_e32 v46, 1, v44
	v_add_nc_u32_e32 v47, 1, v45
	s_wait_dscnt 0x0
	v_bfe_i32 v48, v42, 0, 8
	s_delay_alu instid0(VALU_DEP_3) | instskip(SKIP_2) | instid1(VALU_DEP_3)
	v_cndmask_b32_e64 v46, v46, v44, s5
	v_bfe_i32 v44, v43, 0, 8
	v_cndmask_b32_e64 v45, v45, v47, s5
	v_cmp_ge_i32_e64 s6, v46, v16
	s_delay_alu instid0(VALU_DEP_3) | instskip(NEXT) | instid1(VALU_DEP_3)
	v_cmp_lt_i16_e64 s7, v44, v48
	v_cmp_lt_i32_e64 s8, v45, v17
                                        ; implicit-def: $vgpr44
	s_or_b32 s6, s6, s7
	s_wait_alu 0xfffe
	s_and_b32 s6, s8, s6
	s_wait_alu 0xfffe
	s_xor_b32 s7, s6, -1
	s_wait_alu 0xfffe
	s_and_saveexec_b32 s8, s7
	s_delay_alu instid0(SALU_CYCLE_1)
	s_xor_b32 s7, exec_lo, s8
; %bb.47:                               ;   in Loop: Header=BB44_2 Depth=1
	ds_load_u8 v44, v46 offset:1
; %bb.48:                               ;   in Loop: Header=BB44_2 Depth=1
	s_wait_alu 0xfffe
	s_or_saveexec_b32 s7, s7
	v_mov_b32_e32 v47, v43
	s_wait_alu 0xfffe
	s_xor_b32 exec_lo, exec_lo, s7
	s_cbranch_execz .LBB44_50
; %bb.49:                               ;   in Loop: Header=BB44_2 Depth=1
	ds_load_u8 v47, v45 offset:1
	s_wait_dscnt 0x1
	v_mov_b32_e32 v44, v42
.LBB44_50:                              ;   in Loop: Header=BB44_2 Depth=1
	s_or_b32 exec_lo, exec_lo, s7
	v_add_nc_u32_e32 v48, 1, v46
	v_add_nc_u32_e32 v49, 1, v45
	s_wait_dscnt 0x0
	v_bfe_i32 v50, v44, 0, 8
	v_bfe_i32 v51, v47, 0, 8
	v_cndmask_b32_e64 v43, v42, v43, s6
	v_cndmask_b32_e64 v46, v48, v46, s6
	v_mov_b32_e32 v42, v38
	v_cndmask_b32_e64 v45, v45, v49, s6
	v_cmp_lt_i16_e64 s6, v51, v50
	v_cndmask_b32_e64 v40, v40, v41, s5
	v_cmp_ge_i32_e64 s7, v46, v16
	s_wait_loadcnt 0x0
	v_cmp_lt_i32_e64 s5, v45, v17
	s_barrier_signal -1
	s_barrier_wait -1
	s_or_b32 s6, s7, s6
	global_inv scope:SCOPE_SE
	s_wait_alu 0xfffe
	s_and_b32 s5, s5, s6
	s_wait_alu 0xfffe
	v_cndmask_b32_e64 v41, v44, v47, s5
	ds_store_b8 v1, v40
	ds_store_b8 v1, v43 offset:1
	ds_store_b8 v1, v41 offset:2
	s_wait_loadcnt_dscnt 0x0
	s_barrier_signal -1
	s_barrier_wait -1
	global_inv scope:SCOPE_SE
	s_and_saveexec_b32 s6, s4
	s_cbranch_execz .LBB44_54
; %bb.51:                               ;   in Loop: Header=BB44_2 Depth=1
	v_mov_b32_e32 v42, v38
	v_mov_b32_e32 v40, v33
	s_mov_b32 s7, 0
.LBB44_52:                              ;   Parent Loop BB44_2 Depth=1
                                        ; =>  This Inner Loop Header: Depth=2
	s_delay_alu instid0(VALU_DEP_1) | instskip(NEXT) | instid1(VALU_DEP_1)
	v_sub_nc_u32_e32 v41, v40, v42
	v_lshrrev_b32_e32 v41, 1, v41
	s_delay_alu instid0(VALU_DEP_1) | instskip(NEXT) | instid1(VALU_DEP_1)
	v_add_nc_u32_e32 v41, v41, v42
	v_add_nc_u32_e32 v43, v9, v41
	v_xad_u32 v44, v41, -1, v39
	v_add_nc_u32_e32 v45, 1, v41
	ds_load_i8 v43, v43
	ds_load_i8 v44, v44 offset:48
	s_wait_dscnt 0x0
	v_cmp_lt_i16_e64 s5, v44, v43
	s_wait_alu 0xf1ff
	s_delay_alu instid0(VALU_DEP_1) | instskip(SKIP_1) | instid1(VALU_DEP_1)
	v_cndmask_b32_e64 v40, v40, v41, s5
	v_cndmask_b32_e64 v42, v45, v42, s5
	v_cmp_ge_i32_e64 s5, v42, v40
	s_wait_alu 0xfffe
	s_or_b32 s7, s5, s7
	s_wait_alu 0xfffe
	s_and_not1_b32 exec_lo, exec_lo, s7
	s_cbranch_execnz .LBB44_52
; %bb.53:                               ;   in Loop: Header=BB44_2 Depth=1
	s_or_b32 exec_lo, exec_lo, s7
.LBB44_54:                              ;   in Loop: Header=BB44_2 Depth=1
	s_wait_alu 0xfffe
	s_or_b32 exec_lo, exec_lo, s6
	v_add_nc_u32_e32 v44, v42, v9
	v_sub_nc_u32_e32 v46, v39, v42
	v_sub_nc_u32_e32 v45, v28, v42
                                        ; implicit-def: $vgpr42
	ds_load_u8 v40, v44
	ds_load_u8 v41, v46 offset:48
	v_cmp_le_i32_e64 s5, v18, v44
	v_cmp_gt_i32_e64 s7, v19, v45
	s_wait_dscnt 0x1
	v_bfe_i32 v40, v40, 0, 8
	s_wait_dscnt 0x0
	v_bfe_i32 v41, v41, 0, 8
	s_delay_alu instid0(VALU_DEP_1)
	v_cmp_lt_i16_e64 s6, v41, v40
	s_or_b32 s5, s5, s6
	s_wait_alu 0xfffe
	s_and_b32 s5, s7, s5
	s_wait_alu 0xfffe
	s_xor_b32 s6, s5, -1
	s_wait_alu 0xfffe
	s_and_saveexec_b32 s7, s6
	s_wait_alu 0xfffe
	s_xor_b32 s6, exec_lo, s7
; %bb.55:                               ;   in Loop: Header=BB44_2 Depth=1
	ds_load_u8 v42, v44 offset:1
                                        ; implicit-def: $vgpr46
; %bb.56:                               ;   in Loop: Header=BB44_2 Depth=1
	s_wait_alu 0xfffe
	s_or_saveexec_b32 s6, s6
	v_mov_b32_e32 v43, v41
	s_wait_alu 0xfffe
	s_xor_b32 exec_lo, exec_lo, s6
	s_cbranch_execz .LBB44_58
; %bb.57:                               ;   in Loop: Header=BB44_2 Depth=1
	ds_load_u8 v43, v46 offset:49
	s_wait_dscnt 0x1
	v_mov_b32_e32 v42, v40
.LBB44_58:                              ;   in Loop: Header=BB44_2 Depth=1
	s_or_b32 exec_lo, exec_lo, s6
	v_add_nc_u32_e32 v46, 1, v44
	v_add_nc_u32_e32 v47, 1, v45
	s_wait_dscnt 0x0
	v_bfe_i32 v48, v42, 0, 8
	s_delay_alu instid0(VALU_DEP_3) | instskip(SKIP_2) | instid1(VALU_DEP_3)
	v_cndmask_b32_e64 v46, v46, v44, s5
	v_bfe_i32 v44, v43, 0, 8
	v_cndmask_b32_e64 v45, v45, v47, s5
	v_cmp_ge_i32_e64 s6, v46, v18
	s_delay_alu instid0(VALU_DEP_3) | instskip(NEXT) | instid1(VALU_DEP_3)
	v_cmp_lt_i16_e64 s7, v44, v48
	v_cmp_lt_i32_e64 s8, v45, v19
                                        ; implicit-def: $vgpr44
	s_or_b32 s6, s6, s7
	s_wait_alu 0xfffe
	s_and_b32 s6, s8, s6
	s_wait_alu 0xfffe
	s_xor_b32 s7, s6, -1
	s_wait_alu 0xfffe
	s_and_saveexec_b32 s8, s7
	s_delay_alu instid0(SALU_CYCLE_1)
	s_xor_b32 s7, exec_lo, s8
; %bb.59:                               ;   in Loop: Header=BB44_2 Depth=1
	ds_load_u8 v44, v46 offset:1
; %bb.60:                               ;   in Loop: Header=BB44_2 Depth=1
	s_wait_alu 0xfffe
	s_or_saveexec_b32 s7, s7
	v_mov_b32_e32 v47, v43
	s_wait_alu 0xfffe
	s_xor_b32 exec_lo, exec_lo, s7
	s_cbranch_execz .LBB44_62
; %bb.61:                               ;   in Loop: Header=BB44_2 Depth=1
	ds_load_u8 v47, v45 offset:1
	s_wait_dscnt 0x1
	v_mov_b32_e32 v44, v42
.LBB44_62:                              ;   in Loop: Header=BB44_2 Depth=1
	s_or_b32 exec_lo, exec_lo, s7
	v_add_nc_u32_e32 v48, 1, v46
	v_add_nc_u32_e32 v49, 1, v45
	s_wait_dscnt 0x0
	v_bfe_i32 v50, v44, 0, 8
	v_bfe_i32 v51, v47, 0, 8
	v_cndmask_b32_e64 v43, v42, v43, s6
	v_cndmask_b32_e64 v46, v48, v46, s6
	v_mov_b32_e32 v42, v3
	v_cndmask_b32_e64 v45, v45, v49, s6
	v_cmp_lt_i16_e64 s6, v51, v50
	v_cndmask_b32_e64 v40, v40, v41, s5
	v_cmp_ge_i32_e64 s7, v46, v18
	s_wait_loadcnt 0x0
	v_cmp_lt_i32_e64 s5, v45, v19
	s_barrier_signal -1
	s_barrier_wait -1
	s_or_b32 s6, s7, s6
	global_inv scope:SCOPE_SE
	s_wait_alu 0xfffe
	s_and_b32 s5, s5, s6
	s_wait_alu 0xfffe
	v_cndmask_b32_e64 v41, v44, v47, s5
	ds_store_b8 v1, v40
	ds_store_b8 v1, v43 offset:1
	ds_store_b8 v1, v41 offset:2
	s_wait_loadcnt_dscnt 0x0
	s_barrier_signal -1
	s_barrier_wait -1
	global_inv scope:SCOPE_SE
	s_and_saveexec_b32 s6, vcc_lo
	s_cbranch_execz .LBB44_66
; %bb.63:                               ;   in Loop: Header=BB44_2 Depth=1
	v_mov_b32_e32 v42, v3
	v_mov_b32_e32 v40, v4
	s_mov_b32 s7, 0
.LBB44_64:                              ;   Parent Loop BB44_2 Depth=1
                                        ; =>  This Inner Loop Header: Depth=2
	s_delay_alu instid0(VALU_DEP_1) | instskip(NEXT) | instid1(VALU_DEP_1)
	v_sub_nc_u32_e32 v41, v40, v42
	v_lshrrev_b32_e32 v41, 1, v41
	s_delay_alu instid0(VALU_DEP_1) | instskip(NEXT) | instid1(VALU_DEP_1)
	v_add_nc_u32_e32 v41, v41, v42
	v_xad_u32 v43, v41, -1, v1
	v_add_nc_u32_e32 v45, 1, v41
	ds_load_i8 v44, v41
	ds_load_i8 v43, v43 offset:96
	s_wait_dscnt 0x0
	v_cmp_lt_i16_e64 s5, v43, v44
	s_wait_alu 0xf1ff
	s_delay_alu instid0(VALU_DEP_1) | instskip(SKIP_1) | instid1(VALU_DEP_1)
	v_cndmask_b32_e64 v40, v40, v41, s5
	v_cndmask_b32_e64 v42, v45, v42, s5
	v_cmp_ge_i32_e64 s5, v42, v40
	s_wait_alu 0xfffe
	s_or_b32 s7, s5, s7
	s_wait_alu 0xfffe
	s_and_not1_b32 exec_lo, exec_lo, s7
	s_cbranch_execnz .LBB44_64
; %bb.65:                               ;   in Loop: Header=BB44_2 Depth=1
	s_or_b32 exec_lo, exec_lo, s7
.LBB44_66:                              ;   in Loop: Header=BB44_2 Depth=1
	s_wait_alu 0xfffe
	s_or_b32 exec_lo, exec_lo, s6
	v_sub_nc_u32_e32 v46, v1, v42
	v_sub_nc_u32_e32 v45, v2, v42
	v_cmp_le_i32_e64 s5, 0x60, v42
                                        ; implicit-def: $vgpr43
	ds_load_u8 v40, v42
	ds_load_u8 v41, v46 offset:96
	v_cmp_gt_i32_e64 s7, 0xc0, v45
	s_wait_dscnt 0x1
	v_bfe_i32 v40, v40, 0, 8
	s_wait_dscnt 0x0
	v_bfe_i32 v41, v41, 0, 8
	s_delay_alu instid0(VALU_DEP_1)
	v_cmp_lt_i16_e64 s6, v41, v40
	s_or_b32 s5, s5, s6
	s_wait_alu 0xfffe
	s_and_b32 s5, s7, s5
	s_wait_alu 0xfffe
	s_xor_b32 s6, s5, -1
	s_wait_alu 0xfffe
	s_and_saveexec_b32 s7, s6
	s_wait_alu 0xfffe
	s_xor_b32 s6, exec_lo, s7
; %bb.67:                               ;   in Loop: Header=BB44_2 Depth=1
	ds_load_u8 v43, v42 offset:1
                                        ; implicit-def: $vgpr46
; %bb.68:                               ;   in Loop: Header=BB44_2 Depth=1
	s_wait_alu 0xfffe
	s_or_saveexec_b32 s6, s6
	v_mov_b32_e32 v44, v41
	s_wait_alu 0xfffe
	s_xor_b32 exec_lo, exec_lo, s6
	s_cbranch_execz .LBB44_70
; %bb.69:                               ;   in Loop: Header=BB44_2 Depth=1
	ds_load_u8 v44, v46 offset:97
	s_wait_dscnt 0x1
	v_mov_b32_e32 v43, v40
.LBB44_70:                              ;   in Loop: Header=BB44_2 Depth=1
	s_or_b32 exec_lo, exec_lo, s6
	v_add_nc_u32_e32 v46, 1, v42
	v_add_nc_u32_e32 v48, 1, v45
	s_wait_dscnt 0x0
	v_bfe_i32 v49, v43, 0, 8
	s_delay_alu instid0(VALU_DEP_3) | instskip(SKIP_2) | instid1(VALU_DEP_3)
	v_cndmask_b32_e64 v47, v46, v42, s5
	v_bfe_i32 v46, v44, 0, 8
	v_cndmask_b32_e64 v42, v45, v48, s5
                                        ; implicit-def: $vgpr45
	v_cmp_le_i32_e64 s6, 0x60, v47
	s_delay_alu instid0(VALU_DEP_3) | instskip(NEXT) | instid1(VALU_DEP_3)
	v_cmp_lt_i16_e64 s7, v46, v49
	v_cmp_gt_i32_e64 s8, 0xc0, v42
                                        ; implicit-def: $vgpr46
	s_or_b32 s6, s6, s7
	s_wait_alu 0xfffe
	s_and_b32 s6, s8, s6
	s_wait_alu 0xfffe
	s_xor_b32 s7, s6, -1
	s_wait_alu 0xfffe
	s_and_saveexec_b32 s8, s7
	s_delay_alu instid0(SALU_CYCLE_1)
	s_xor_b32 s7, exec_lo, s8
; %bb.71:                               ;   in Loop: Header=BB44_2 Depth=1
	ds_load_u8 v45, v47 offset:1
	v_add_nc_u32_e32 v46, 1, v47
                                        ; implicit-def: $vgpr47
; %bb.72:                               ;   in Loop: Header=BB44_2 Depth=1
	s_wait_alu 0xfffe
	s_or_saveexec_b32 s7, s7
	v_mov_b32_e32 v48, v44
	s_wait_alu 0xfffe
	s_xor_b32 exec_lo, exec_lo, s7
	s_cbranch_execz .LBB44_1
; %bb.73:                               ;   in Loop: Header=BB44_2 Depth=1
	ds_load_u8 v48, v42 offset:1
	s_wait_dscnt 0x1
	v_dual_mov_b32 v45, v43 :: v_dual_add_nc_u32 v42, 1, v42
	v_mov_b32_e32 v46, v47
	s_branch .LBB44_1
.LBB44_74:
	s_add_nc_u64 s[0:1], s[10:11], s[12:13]
	s_wait_alu 0xfffe
	v_add_co_u32 v0, s0, s0, v0
	s_wait_alu 0xf1ff
	v_add_co_ci_u32_e64 v1, null, s1, 0, s0
	s_clause 0x2
	global_store_b8 v[0:1], v40, off
	global_store_b8 v[0:1], v43, off offset:64
	global_store_b8 v[0:1], v41, off offset:128
	s_endpgm
	.section	.rodata,"a",@progbits
	.p2align	6, 0x0
	.amdhsa_kernel _Z16sort_keys_kernelIaLj64ELj3EN10test_utils4lessELj10EEvPKT_PS2_T2_
		.amdhsa_group_segment_fixed_size 193
		.amdhsa_private_segment_fixed_size 0
		.amdhsa_kernarg_size 20
		.amdhsa_user_sgpr_count 2
		.amdhsa_user_sgpr_dispatch_ptr 0
		.amdhsa_user_sgpr_queue_ptr 0
		.amdhsa_user_sgpr_kernarg_segment_ptr 1
		.amdhsa_user_sgpr_dispatch_id 0
		.amdhsa_user_sgpr_private_segment_size 0
		.amdhsa_wavefront_size32 1
		.amdhsa_uses_dynamic_stack 0
		.amdhsa_enable_private_segment 0
		.amdhsa_system_sgpr_workgroup_id_x 1
		.amdhsa_system_sgpr_workgroup_id_y 0
		.amdhsa_system_sgpr_workgroup_id_z 0
		.amdhsa_system_sgpr_workgroup_info 0
		.amdhsa_system_vgpr_workitem_id 0
		.amdhsa_next_free_vgpr 54
		.amdhsa_next_free_sgpr 14
		.amdhsa_reserve_vcc 1
		.amdhsa_float_round_mode_32 0
		.amdhsa_float_round_mode_16_64 0
		.amdhsa_float_denorm_mode_32 3
		.amdhsa_float_denorm_mode_16_64 3
		.amdhsa_fp16_overflow 0
		.amdhsa_workgroup_processor_mode 1
		.amdhsa_memory_ordered 1
		.amdhsa_forward_progress 1
		.amdhsa_inst_pref_size 40
		.amdhsa_round_robin_scheduling 0
		.amdhsa_exception_fp_ieee_invalid_op 0
		.amdhsa_exception_fp_denorm_src 0
		.amdhsa_exception_fp_ieee_div_zero 0
		.amdhsa_exception_fp_ieee_overflow 0
		.amdhsa_exception_fp_ieee_underflow 0
		.amdhsa_exception_fp_ieee_inexact 0
		.amdhsa_exception_int_div_zero 0
	.end_amdhsa_kernel
	.section	.text._Z16sort_keys_kernelIaLj64ELj3EN10test_utils4lessELj10EEvPKT_PS2_T2_,"axG",@progbits,_Z16sort_keys_kernelIaLj64ELj3EN10test_utils4lessELj10EEvPKT_PS2_T2_,comdat
.Lfunc_end44:
	.size	_Z16sort_keys_kernelIaLj64ELj3EN10test_utils4lessELj10EEvPKT_PS2_T2_, .Lfunc_end44-_Z16sort_keys_kernelIaLj64ELj3EN10test_utils4lessELj10EEvPKT_PS2_T2_
                                        ; -- End function
	.set _Z16sort_keys_kernelIaLj64ELj3EN10test_utils4lessELj10EEvPKT_PS2_T2_.num_vgpr, 54
	.set _Z16sort_keys_kernelIaLj64ELj3EN10test_utils4lessELj10EEvPKT_PS2_T2_.num_agpr, 0
	.set _Z16sort_keys_kernelIaLj64ELj3EN10test_utils4lessELj10EEvPKT_PS2_T2_.numbered_sgpr, 14
	.set _Z16sort_keys_kernelIaLj64ELj3EN10test_utils4lessELj10EEvPKT_PS2_T2_.num_named_barrier, 0
	.set _Z16sort_keys_kernelIaLj64ELj3EN10test_utils4lessELj10EEvPKT_PS2_T2_.private_seg_size, 0
	.set _Z16sort_keys_kernelIaLj64ELj3EN10test_utils4lessELj10EEvPKT_PS2_T2_.uses_vcc, 1
	.set _Z16sort_keys_kernelIaLj64ELj3EN10test_utils4lessELj10EEvPKT_PS2_T2_.uses_flat_scratch, 0
	.set _Z16sort_keys_kernelIaLj64ELj3EN10test_utils4lessELj10EEvPKT_PS2_T2_.has_dyn_sized_stack, 0
	.set _Z16sort_keys_kernelIaLj64ELj3EN10test_utils4lessELj10EEvPKT_PS2_T2_.has_recursion, 0
	.set _Z16sort_keys_kernelIaLj64ELj3EN10test_utils4lessELj10EEvPKT_PS2_T2_.has_indirect_call, 0
	.section	.AMDGPU.csdata,"",@progbits
; Kernel info:
; codeLenInByte = 5024
; TotalNumSgprs: 16
; NumVgprs: 54
; ScratchSize: 0
; MemoryBound: 0
; FloatMode: 240
; IeeeMode: 1
; LDSByteSize: 193 bytes/workgroup (compile time only)
; SGPRBlocks: 0
; VGPRBlocks: 6
; NumSGPRsForWavesPerEU: 16
; NumVGPRsForWavesPerEU: 54
; Occupancy: 16
; WaveLimiterHint : 0
; COMPUTE_PGM_RSRC2:SCRATCH_EN: 0
; COMPUTE_PGM_RSRC2:USER_SGPR: 2
; COMPUTE_PGM_RSRC2:TRAP_HANDLER: 0
; COMPUTE_PGM_RSRC2:TGID_X_EN: 1
; COMPUTE_PGM_RSRC2:TGID_Y_EN: 0
; COMPUTE_PGM_RSRC2:TGID_Z_EN: 0
; COMPUTE_PGM_RSRC2:TIDIG_COMP_CNT: 0
	.section	.text._Z17sort_pairs_kernelIaLj64ELj3EN10test_utils4lessELj10EEvPKT_PS2_T2_,"axG",@progbits,_Z17sort_pairs_kernelIaLj64ELj3EN10test_utils4lessELj10EEvPKT_PS2_T2_,comdat
	.protected	_Z17sort_pairs_kernelIaLj64ELj3EN10test_utils4lessELj10EEvPKT_PS2_T2_ ; -- Begin function _Z17sort_pairs_kernelIaLj64ELj3EN10test_utils4lessELj10EEvPKT_PS2_T2_
	.globl	_Z17sort_pairs_kernelIaLj64ELj3EN10test_utils4lessELj10EEvPKT_PS2_T2_
	.p2align	8
	.type	_Z17sort_pairs_kernelIaLj64ELj3EN10test_utils4lessELj10EEvPKT_PS2_T2_,@function
_Z17sort_pairs_kernelIaLj64ELj3EN10test_utils4lessELj10EEvPKT_PS2_T2_: ; @_Z17sort_pairs_kernelIaLj64ELj3EN10test_utils4lessELj10EEvPKT_PS2_T2_
; %bb.0:
	s_load_b128 s[12:15], s[0:1], 0x0
	s_mul_i32 s16, ttmp9, 0xc0
	s_mov_b32 s17, 0
	v_and_b32_e32 v3, 62, v0
	v_and_b32_e32 v5, 60, v0
	;; [unrolled: 1-line block ×5, first 2 shown]
	v_mul_u32_u24_e32 v9, 3, v3
	v_and_b32_e32 v8, 32, v0
	v_mul_u32_u24_e32 v10, 3, v5
	v_mul_u32_u24_e32 v11, 3, v6
	v_cmp_eq_u32_e32 vcc_lo, 1, v4
	v_min_u32_e32 v20, 0xbd, v9
	v_min_u32_e32 v14, 0xba, v9
	v_mul_u32_u24_e32 v12, 3, v7
	v_mul_u32_u24_e32 v13, 3, v8
	v_min_u32_e32 v6, 0xc0, v10
	v_min_u32_e32 v21, 0xba, v10
	;; [unrolled: 1-line block ×3, first 2 shown]
	s_wait_kmcnt 0x0
	s_add_nc_u64 s[0:1], s[12:13], s[16:17]
	v_min_u32_e32 v7, 0xc0, v11
	s_clause 0x2
	global_load_u8 v39, v0, s[0:1]
	global_load_u8 v40, v0, s[0:1] offset:64
	global_load_u8 v43, v0, s[0:1] offset:128
	v_min_u32_e32 v22, 0xb4, v11
	v_min_u32_e32 v16, 0xa8, v11
	v_add_nc_u32_e32 v10, 3, v20
	v_add_nc_u32_e32 v11, 6, v14
	v_and_b32_e32 v25, 3, v0
	v_cndmask_b32_e64 v34, 0, 3, vcc_lo
	v_min_u32_e32 v5, 0xc0, v9
	v_min_u32_e32 v8, 0xc0, v12
	;; [unrolled: 1-line block ×7, first 2 shown]
	v_add_nc_u32_e32 v12, 6, v21
	v_add_nc_u32_e32 v13, 12, v15
	v_sub_nc_u32_e32 v41, v11, v10
	v_and_b32_e32 v26, 7, v0
	v_mul_u32_u24_e32 v35, 3, v25
	v_add_nc_u32_e32 v14, 12, v22
	v_add_nc_u32_e32 v15, 24, v16
	v_sub_nc_u32_e32 v29, v10, v5
	v_sub_nc_u32_e32 v42, v13, v12
	;; [unrolled: 1-line block ×3, first 2 shown]
	v_cmp_ge_i32_e64 s0, v34, v41
	v_and_b32_e32 v27, 15, v0
	v_mul_u32_u24_e32 v36, 3, v26
	v_add_nc_u32_e32 v16, 24, v23
	v_add_nc_u32_e32 v17, 48, v17
	;; [unrolled: 1-line block ×4, first 2 shown]
	v_sub_nc_u32_e32 v30, v12, v6
	v_sub_nc_u32_e32 v44, v15, v14
	v_min_i32_e32 v29, v34, v29
	v_sub_nc_u32_e32 v50, v35, v42
	v_cndmask_b32_e64 v34, 0, v49, s0
	v_cmp_ge_i32_e64 s0, v35, v42
	v_and_b32_e32 v45, 31, v0
	v_mul_u32_u24_e32 v37, 3, v27
	v_add_nc_u32_e32 v18, 48, v46
	v_add_nc_u32_e32 v19, 0x60, v19
	v_sub_nc_u32_e32 v31, v14, v7
	v_sub_nc_u32_e32 v47, v17, v16
	v_min_i32_e32 v30, v35, v30
	v_sub_nc_u32_e32 v51, v36, v44
	s_wait_alu 0xf1ff
	v_cndmask_b32_e64 v35, 0, v50, s0
	v_cmp_ge_i32_e64 s0, v36, v44
	v_mul_u32_u24_e32 v38, 3, v45
	v_sub_nc_u32_e32 v32, v16, v8
	v_sub_nc_u32_e32 v48, v19, v18
	v_min_i32_e32 v31, v36, v31
	v_sub_nc_u32_e32 v52, v37, v47
	s_wait_alu 0xf1ff
	v_cndmask_b32_e64 v36, 0, v51, s0
	v_cmp_ge_i32_e64 s0, v37, v47
	v_sub_nc_u32_e32 v33, v18, v9
	v_min_i32_e32 v32, v37, v32
	v_sub_nc_u32_e32 v53, v38, v48
	v_mul_u32_u24_e32 v1, 3, v0
	s_wait_alu 0xf1ff
	v_cndmask_b32_e64 v37, 0, v52, s0
	v_cmp_ge_i32_e64 s0, v38, v48
	v_min_i32_e32 v33, v38, v33
	v_mad_u32_u24 v2, v0, 3, 0x60
	v_subrev_nc_u32_e64 v3, 0x60, v1 clamp
	v_min_i32_e32 v4, 0x60, v1
	s_wait_alu 0xf1ff
	v_cndmask_b32_e64 v38, 0, v53, s0
	v_mad_u32_u24 v21, v25, 3, v21
	v_mad_u32_u24 v22, v26, 3, v22
	;; [unrolled: 1-line block ×7, first 2 shown]
	v_cmp_lt_i32_e64 s0, v34, v29
	v_cmp_lt_i32_e64 s1, v35, v30
	;; [unrolled: 1-line block ×5, first 2 shown]
	s_mov_b32 s12, s17
	v_cmp_lt_i32_e32 vcc_lo, v3, v4
	s_wait_loadcnt 0x2
	v_add_nc_u16 v42, v39, 1
	s_wait_loadcnt 0x1
	v_perm_b32 v44, v39, v40, 0xc0c0004
	s_wait_loadcnt 0x0
	v_lshlrev_b32_e32 v47, 16, v43
	v_add_nc_u16 v41, v40, 1
	v_add_nc_u16 v40, v43, 1
	v_mad_u32_u24 v39, v45, 3, v46
	s_delay_alu instid0(VALU_DEP_4)
	v_or_b32_e32 v44, v44, v47
	s_branch .LBB45_2
.LBB45_1:                               ;   in Loop: Header=BB45_2 Depth=1
	s_or_b32 exec_lo, exec_lo, s7
	s_wait_dscnt 0x0
	s_delay_alu instid0(VALU_DEP_1)
	v_bfe_i32 v54, v52, 0, 8
	v_bfe_i32 v55, v53, 0, 8
	v_cndmask_b32_e64 v46, v45, v46, s5
	v_cndmask_b32_e64 v45, v47, v48, s6
	v_cmp_le_i32_e64 s6, 0x60, v50
	v_cndmask_b32_e64 v44, v43, v44, s5
	v_cmp_lt_i16_e64 s7, v55, v54
	v_cmp_gt_i32_e64 s5, 0xc0, v49
	s_wait_loadcnt 0x0
	s_barrier_signal -1
	s_barrier_wait -1
	s_or_b32 s6, s6, s7
	global_inv scope:SCOPE_SE
	s_wait_alu 0xfffe
	s_and_b32 s5, s5, s6
	ds_store_b8 v1, v40
	ds_store_b8 v1, v42 offset:1
	ds_store_b8 v1, v41 offset:2
	s_wait_alu 0xfffe
	v_cndmask_b32_e64 v49, v50, v49, s5
	s_wait_loadcnt_dscnt 0x0
	s_barrier_signal -1
	s_barrier_wait -1
	global_inv scope:SCOPE_SE
	ds_load_u8 v42, v44
	ds_load_u8 v41, v51
	ds_load_u8 v40, v49
	v_lshlrev_b16 v47, 8, v45
	v_and_b32_e32 v48, 0xff, v46
	v_cndmask_b32_e64 v43, v52, v53, s5
	s_add_co_i32 s12, s12, 1
	s_delay_alu instid0(SALU_CYCLE_1) | instskip(NEXT) | instid1(VALU_DEP_2)
	s_cmp_eq_u32 s12, 10
	v_or_b32_e32 v44, v48, v47
	s_delay_alu instid0(VALU_DEP_2) | instskip(NEXT) | instid1(VALU_DEP_2)
	v_and_b32_e32 v47, 0xff, v43
	v_and_b32_e32 v44, 0xffff, v44
	s_delay_alu instid0(VALU_DEP_2) | instskip(NEXT) | instid1(VALU_DEP_1)
	v_lshlrev_b32_e32 v47, 16, v47
	v_or_b32_e32 v44, v44, v47
	s_cbranch_scc1 .LBB45_74
.LBB45_2:                               ; =>This Loop Header: Depth=1
                                        ;     Child Loop BB45_4 Depth 2
                                        ;     Child Loop BB45_16 Depth 2
	;; [unrolled: 1-line block ×6, first 2 shown]
	s_delay_alu instid0(VALU_DEP_1) | instskip(SKIP_3) | instid1(VALU_DEP_3)
	v_lshrrev_b32_e32 v43, 8, v44
	v_bfe_i32 v45, v44, 0, 8
	v_perm_b32 v46, v44, v44, 0x7060405
	s_barrier_signal -1
	v_bfe_i32 v43, v43, 0, 8
	s_barrier_wait -1
	global_inv scope:SCOPE_SE
	v_cmp_lt_i16_e64 s7, v43, v45
	v_max_i16 v43, v43, v45
	s_wait_alu 0xf1ff
	s_delay_alu instid0(VALU_DEP_2) | instskip(NEXT) | instid1(VALU_DEP_1)
	v_cndmask_b32_e64 v44, v44, v46, s7
	v_lshrrev_b32_e32 v46, 16, v44
	s_delay_alu instid0(VALU_DEP_1) | instskip(SKIP_1) | instid1(VALU_DEP_2)
	v_bfe_i32 v45, v46, 0, 8
	v_perm_b32 v46, v44, v43, 0x7000604
	v_cmp_lt_i16_e64 s6, v45, v43
	v_min_i16 v43, v45, v43
	s_wait_alu 0xf1ff
	s_delay_alu instid0(VALU_DEP_2) | instskip(NEXT) | instid1(VALU_DEP_2)
	v_cndmask_b32_e64 v44, v44, v46, s6
	v_and_b32_e32 v46, 0xff, v43
	s_delay_alu instid0(VALU_DEP_2) | instskip(NEXT) | instid1(VALU_DEP_1)
	v_lshlrev_b16 v45, 8, v44
	v_or_b32_e32 v45, v46, v45
	v_bfe_i32 v46, v44, 0, 8
	s_delay_alu instid0(VALU_DEP_2) | instskip(NEXT) | instid1(VALU_DEP_2)
	v_and_b32_e32 v45, 0xffff, v45
	v_cmp_lt_i16_e64 s5, v43, v46
	s_delay_alu instid0(VALU_DEP_2) | instskip(SKIP_1) | instid1(VALU_DEP_1)
	v_and_or_b32 v45, 0xffff0000, v44, v45
	s_wait_alu 0xf1ff
	v_cndmask_b32_e64 v43, v44, v45, s5
	v_mov_b32_e32 v45, v34
	s_delay_alu instid0(VALU_DEP_2)
	v_lshrrev_b32_e32 v44, 8, v43
	ds_store_b8 v1, v43
	ds_store_b8 v1, v44 offset:1
	ds_store_b8_d16_hi v1, v43 offset:2
	s_wait_loadcnt_dscnt 0x0
	s_barrier_signal -1
	s_barrier_wait -1
	global_inv scope:SCOPE_SE
	s_and_saveexec_b32 s9, s0
	s_cbranch_execz .LBB45_6
; %bb.3:                                ;   in Loop: Header=BB45_2 Depth=1
	v_mov_b32_e32 v45, v34
	v_mov_b32_e32 v43, v29
	s_mov_b32 s10, 0
.LBB45_4:                               ;   Parent Loop BB45_2 Depth=1
                                        ; =>  This Inner Loop Header: Depth=2
	s_delay_alu instid0(VALU_DEP_1) | instskip(NEXT) | instid1(VALU_DEP_1)
	v_sub_nc_u32_e32 v44, v43, v45
	v_lshrrev_b32_e32 v44, 1, v44
	s_delay_alu instid0(VALU_DEP_1) | instskip(NEXT) | instid1(VALU_DEP_1)
	v_add_nc_u32_e32 v44, v44, v45
	v_add_nc_u32_e32 v46, v5, v44
	v_xad_u32 v47, v44, -1, v20
	v_add_nc_u32_e32 v48, 1, v44
	ds_load_i8 v46, v46
	ds_load_i8 v47, v47 offset:3
	s_wait_dscnt 0x0
	v_cmp_lt_i16_e64 s8, v47, v46
	s_wait_alu 0xf1ff
	s_delay_alu instid0(VALU_DEP_1) | instskip(SKIP_1) | instid1(VALU_DEP_1)
	v_cndmask_b32_e64 v43, v43, v44, s8
	v_cndmask_b32_e64 v45, v48, v45, s8
	v_cmp_ge_i32_e64 s8, v45, v43
	s_or_b32 s10, s8, s10
	s_delay_alu instid0(SALU_CYCLE_1)
	s_and_not1_b32 exec_lo, exec_lo, s10
	s_cbranch_execnz .LBB45_4
; %bb.5:                                ;   in Loop: Header=BB45_2 Depth=1
	s_or_b32 exec_lo, exec_lo, s10
.LBB45_6:                               ;   in Loop: Header=BB45_2 Depth=1
	s_wait_alu 0xfffe
	s_or_b32 exec_lo, exec_lo, s9
	v_add_nc_u32_e32 v47, v45, v5
	v_sub_nc_u32_e32 v49, v20, v45
	v_sub_nc_u32_e32 v48, v24, v45
                                        ; implicit-def: $vgpr45
	ds_load_u8 v43, v47
	ds_load_u8 v44, v49 offset:3
	v_cmp_le_i32_e64 s8, v10, v47
	v_cmp_gt_i32_e64 s10, v11, v48
	s_wait_dscnt 0x1
	v_bfe_i32 v43, v43, 0, 8
	s_wait_dscnt 0x0
	v_bfe_i32 v44, v44, 0, 8
	s_delay_alu instid0(VALU_DEP_1)
	v_cmp_lt_i16_e64 s9, v44, v43
	s_or_b32 s8, s8, s9
	s_wait_alu 0xfffe
	s_and_b32 s8, s10, s8
	s_wait_alu 0xfffe
	s_xor_b32 s9, s8, -1
	s_wait_alu 0xfffe
	s_and_saveexec_b32 s10, s9
	s_delay_alu instid0(SALU_CYCLE_1)
	s_xor_b32 s9, exec_lo, s10
; %bb.7:                                ;   in Loop: Header=BB45_2 Depth=1
	ds_load_u8 v45, v47 offset:1
                                        ; implicit-def: $vgpr49
; %bb.8:                                ;   in Loop: Header=BB45_2 Depth=1
	s_wait_alu 0xfffe
	s_or_saveexec_b32 s9, s9
	v_mov_b32_e32 v46, v44
	s_wait_alu 0xfffe
	s_xor_b32 exec_lo, exec_lo, s9
	s_cbranch_execz .LBB45_10
; %bb.9:                                ;   in Loop: Header=BB45_2 Depth=1
	ds_load_u8 v46, v49 offset:4
	s_wait_dscnt 0x1
	v_mov_b32_e32 v45, v43
.LBB45_10:                              ;   in Loop: Header=BB45_2 Depth=1
	s_or_b32 exec_lo, exec_lo, s9
	v_add_nc_u32_e32 v49, 1, v47
	v_add_nc_u32_e32 v50, 1, v48
	s_wait_dscnt 0x0
	v_bfe_i32 v52, v45, 0, 8
	s_delay_alu instid0(VALU_DEP_3) | instskip(SKIP_2) | instid1(VALU_DEP_3)
	v_cndmask_b32_e64 v51, v49, v47, s8
	v_bfe_i32 v49, v46, 0, 8
	v_cndmask_b32_e64 v50, v48, v50, s8
	v_cmp_ge_i32_e64 s9, v51, v10
	s_delay_alu instid0(VALU_DEP_3) | instskip(NEXT) | instid1(VALU_DEP_3)
	v_cmp_lt_i16_e64 s10, v49, v52
	v_cmp_lt_i32_e64 s11, v50, v11
                                        ; implicit-def: $vgpr49
	s_or_b32 s9, s9, s10
	s_wait_alu 0xfffe
	s_and_b32 s9, s11, s9
	s_wait_alu 0xfffe
	s_xor_b32 s10, s9, -1
	s_delay_alu instid0(SALU_CYCLE_1) | instskip(NEXT) | instid1(SALU_CYCLE_1)
	s_and_saveexec_b32 s11, s10
	s_xor_b32 s10, exec_lo, s11
; %bb.11:                               ;   in Loop: Header=BB45_2 Depth=1
	ds_load_u8 v49, v51 offset:1
; %bb.12:                               ;   in Loop: Header=BB45_2 Depth=1
	s_or_saveexec_b32 s10, s10
	v_mov_b32_e32 v52, v46
	s_xor_b32 exec_lo, exec_lo, s10
	s_cbranch_execz .LBB45_14
; %bb.13:                               ;   in Loop: Header=BB45_2 Depth=1
	ds_load_u8 v52, v50 offset:1
	s_wait_dscnt 0x1
	v_mov_b32_e32 v49, v45
.LBB45_14:                              ;   in Loop: Header=BB45_2 Depth=1
	s_or_b32 exec_lo, exec_lo, s10
	v_perm_b32 v53, v41, v42, 0xc0c0004
	v_perm_b32 v41, v42, v41, 0xc0c0004
	v_and_b32_e32 v42, 0xff, v40
	v_cndmask_b32_e64 v47, v47, v48, s8
	s_wait_dscnt 0x0
	v_bfe_i32 v54, v49, 0, 8
	v_bfe_i32 v55, v52, 0, 8
	v_cndmask_b32_e64 v41, v41, v53, s7
	v_lshlrev_b32_e32 v42, 16, v42
	s_wait_loadcnt 0x0
	s_barrier_signal -1
	s_barrier_wait -1
	v_lshrrev_b16 v53, 8, v41
	v_perm_b32 v40, v41, v40, 0xc0c0004
	v_or_b32_e32 v41, v41, v42
	v_add_nc_u32_e32 v42, 1, v51
	global_inv scope:SCOPE_SE
	v_lshlrev_b32_e32 v53, 16, v53
	v_cndmask_b32_e64 v43, v43, v44, s8
	v_cndmask_b32_e64 v45, v45, v46, s9
	;; [unrolled: 1-line block ×3, first 2 shown]
	s_delay_alu instid0(VALU_DEP_4) | instskip(SKIP_1) | instid1(VALU_DEP_3)
	v_or_b32_e32 v40, v40, v53
	v_cndmask_b32_e64 v53, v51, v50, s9
	v_cmp_ge_i32_e64 s7, v42, v10
	s_delay_alu instid0(VALU_DEP_3) | instskip(SKIP_2) | instid1(VALU_DEP_3)
	v_cndmask_b32_e64 v40, v41, v40, s6
	v_add_nc_u32_e32 v41, 1, v50
	v_cmp_lt_i16_e64 s6, v55, v54
	v_perm_b32 v48, 0, v40, 0xc0c0001
	s_delay_alu instid0(VALU_DEP_3) | instskip(SKIP_1) | instid1(VALU_DEP_2)
	v_cndmask_b32_e64 v41, v50, v41, s9
	s_or_b32 s6, s7, s6
	v_and_or_b32 v48, 0xff0000, v40, v48
	s_delay_alu instid0(VALU_DEP_1) | instskip(NEXT) | instid1(VALU_DEP_3)
	v_cndmask_b32_e64 v40, v40, v48, s5
	v_cmp_lt_i32_e64 s5, v41, v11
	s_delay_alu instid0(VALU_DEP_2)
	v_lshrrev_b32_e32 v48, 8, v40
	s_wait_alu 0xfffe
	s_and_b32 s5, s5, s6
	ds_store_b8 v1, v40
	ds_store_b8 v1, v48 offset:1
	ds_store_b8_d16_hi v1, v40 offset:2
	s_wait_alu 0xfffe
	v_cndmask_b32_e64 v41, v42, v41, s5
	s_wait_loadcnt_dscnt 0x0
	s_barrier_signal -1
	s_barrier_wait -1
	global_inv scope:SCOPE_SE
	ds_load_u8 v40, v47
	ds_load_u8 v41, v41
	;; [unrolled: 1-line block ×3, first 2 shown]
	v_cndmask_b32_e64 v49, v49, v52, s5
	s_wait_loadcnt_dscnt 0x0
	s_barrier_signal -1
	s_barrier_wait -1
	global_inv scope:SCOPE_SE
	ds_store_b8 v1, v43
	ds_store_b8 v1, v45 offset:1
	ds_store_b8 v1, v49 offset:2
	v_mov_b32_e32 v45, v35
	s_wait_loadcnt_dscnt 0x0
	s_barrier_signal -1
	s_barrier_wait -1
	global_inv scope:SCOPE_SE
	s_and_saveexec_b32 s6, s1
	s_cbranch_execz .LBB45_18
; %bb.15:                               ;   in Loop: Header=BB45_2 Depth=1
	v_mov_b32_e32 v45, v35
	v_mov_b32_e32 v43, v30
	s_mov_b32 s7, 0
.LBB45_16:                              ;   Parent Loop BB45_2 Depth=1
                                        ; =>  This Inner Loop Header: Depth=2
	s_delay_alu instid0(VALU_DEP_1) | instskip(NEXT) | instid1(VALU_DEP_1)
	v_sub_nc_u32_e32 v44, v43, v45
	v_lshrrev_b32_e32 v44, 1, v44
	s_delay_alu instid0(VALU_DEP_1) | instskip(NEXT) | instid1(VALU_DEP_1)
	v_add_nc_u32_e32 v44, v44, v45
	v_add_nc_u32_e32 v46, v6, v44
	v_xad_u32 v47, v44, -1, v21
	v_add_nc_u32_e32 v48, 1, v44
	ds_load_i8 v46, v46
	ds_load_i8 v47, v47 offset:6
	s_wait_dscnt 0x0
	v_cmp_lt_i16_e64 s5, v47, v46
	s_wait_alu 0xf1ff
	s_delay_alu instid0(VALU_DEP_1) | instskip(SKIP_1) | instid1(VALU_DEP_1)
	v_cndmask_b32_e64 v43, v43, v44, s5
	v_cndmask_b32_e64 v45, v48, v45, s5
	v_cmp_ge_i32_e64 s5, v45, v43
	s_wait_alu 0xfffe
	s_or_b32 s7, s5, s7
	s_wait_alu 0xfffe
	s_and_not1_b32 exec_lo, exec_lo, s7
	s_cbranch_execnz .LBB45_16
; %bb.17:                               ;   in Loop: Header=BB45_2 Depth=1
	s_or_b32 exec_lo, exec_lo, s7
.LBB45_18:                              ;   in Loop: Header=BB45_2 Depth=1
	s_wait_alu 0xfffe
	s_or_b32 exec_lo, exec_lo, s6
	v_add_nc_u32_e32 v46, v45, v6
	v_sub_nc_u32_e32 v49, v21, v45
	v_sub_nc_u32_e32 v48, v25, v45
                                        ; implicit-def: $vgpr45
	ds_load_u8 v43, v46
	ds_load_u8 v44, v49 offset:6
	v_cmp_le_i32_e64 s5, v12, v46
	v_cmp_gt_i32_e64 s7, v13, v48
	s_wait_dscnt 0x1
	v_bfe_i32 v43, v43, 0, 8
	s_wait_dscnt 0x0
	v_bfe_i32 v44, v44, 0, 8
	s_delay_alu instid0(VALU_DEP_1)
	v_cmp_lt_i16_e64 s6, v44, v43
	s_or_b32 s5, s5, s6
	s_wait_alu 0xfffe
	s_and_b32 s5, s7, s5
	s_wait_alu 0xfffe
	s_xor_b32 s6, s5, -1
	s_wait_alu 0xfffe
	s_and_saveexec_b32 s7, s6
	s_wait_alu 0xfffe
	s_xor_b32 s6, exec_lo, s7
; %bb.19:                               ;   in Loop: Header=BB45_2 Depth=1
	ds_load_u8 v45, v46 offset:1
                                        ; implicit-def: $vgpr49
; %bb.20:                               ;   in Loop: Header=BB45_2 Depth=1
	s_wait_alu 0xfffe
	s_or_saveexec_b32 s6, s6
	v_mov_b32_e32 v47, v44
	s_wait_alu 0xfffe
	s_xor_b32 exec_lo, exec_lo, s6
	s_cbranch_execz .LBB45_22
; %bb.21:                               ;   in Loop: Header=BB45_2 Depth=1
	ds_load_u8 v47, v49 offset:7
	s_wait_dscnt 0x1
	v_mov_b32_e32 v45, v43
.LBB45_22:                              ;   in Loop: Header=BB45_2 Depth=1
	s_or_b32 exec_lo, exec_lo, s6
	v_add_nc_u32_e32 v49, 1, v46
	v_add_nc_u32_e32 v51, 1, v48
	s_wait_dscnt 0x0
	v_bfe_i32 v52, v45, 0, 8
	s_delay_alu instid0(VALU_DEP_3) | instskip(SKIP_2) | instid1(VALU_DEP_3)
	v_cndmask_b32_e64 v50, v49, v46, s5
	v_bfe_i32 v49, v47, 0, 8
	v_cndmask_b32_e64 v51, v48, v51, s5
	v_cmp_ge_i32_e64 s6, v50, v12
	s_delay_alu instid0(VALU_DEP_3) | instskip(NEXT) | instid1(VALU_DEP_3)
	v_cmp_lt_i16_e64 s7, v49, v52
	v_cmp_lt_i32_e64 s8, v51, v13
                                        ; implicit-def: $vgpr49
	s_or_b32 s6, s6, s7
	s_wait_alu 0xfffe
	s_and_b32 s6, s8, s6
	s_wait_alu 0xfffe
	s_xor_b32 s7, s6, -1
	s_wait_alu 0xfffe
	s_and_saveexec_b32 s8, s7
	s_wait_alu 0xfffe
	s_xor_b32 s7, exec_lo, s8
; %bb.23:                               ;   in Loop: Header=BB45_2 Depth=1
	ds_load_u8 v49, v50 offset:1
; %bb.24:                               ;   in Loop: Header=BB45_2 Depth=1
	s_wait_alu 0xfffe
	s_or_saveexec_b32 s7, s7
	v_mov_b32_e32 v52, v47
	s_wait_alu 0xfffe
	s_xor_b32 exec_lo, exec_lo, s7
	s_cbranch_execz .LBB45_26
; %bb.25:                               ;   in Loop: Header=BB45_2 Depth=1
	ds_load_u8 v52, v51 offset:1
	s_wait_dscnt 0x1
	v_mov_b32_e32 v49, v45
.LBB45_26:                              ;   in Loop: Header=BB45_2 Depth=1
	s_or_b32 exec_lo, exec_lo, s7
	v_add_nc_u32_e32 v53, 1, v50
	v_add_nc_u32_e32 v54, 1, v51
	s_wait_dscnt 0x0
	v_bfe_i32 v55, v49, 0, 8
	v_bfe_i32 v56, v52, 0, 8
	v_cndmask_b32_e64 v46, v46, v48, s5
	v_cndmask_b32_e64 v53, v53, v50, s6
	;; [unrolled: 1-line block ×4, first 2 shown]
	v_cmp_lt_i16_e64 s7, v56, v55
	s_wait_loadcnt 0x0
	v_cmp_ge_i32_e64 s8, v53, v12
	s_barrier_signal -1
	v_cmp_lt_i32_e64 s9, v51, v13
	s_barrier_wait -1
	global_inv scope:SCOPE_SE
	s_or_b32 s7, s8, s7
	ds_store_b8 v1, v40
	ds_store_b8 v1, v42 offset:1
	ds_store_b8 v1, v41 offset:2
	s_wait_alu 0xfffe
	s_and_b32 s7, s9, s7
	s_wait_loadcnt_dscnt 0x0
	s_wait_alu 0xfffe
	v_cndmask_b32_e64 v48, v49, v52, s7
	v_cndmask_b32_e64 v49, v53, v51, s7
	s_barrier_signal -1
	s_barrier_wait -1
	global_inv scope:SCOPE_SE
	ds_load_u8 v40, v46
	ds_load_u8 v41, v49
	;; [unrolled: 1-line block ×3, first 2 shown]
	v_cndmask_b32_e64 v43, v43, v44, s5
	v_cndmask_b32_e64 v45, v45, v47, s6
	s_wait_loadcnt_dscnt 0x0
	s_barrier_signal -1
	s_barrier_wait -1
	global_inv scope:SCOPE_SE
	ds_store_b8 v1, v43
	ds_store_b8 v1, v45 offset:1
	ds_store_b8 v1, v48 offset:2
	v_mov_b32_e32 v45, v36
	s_wait_loadcnt_dscnt 0x0
	s_barrier_signal -1
	s_barrier_wait -1
	global_inv scope:SCOPE_SE
	s_and_saveexec_b32 s6, s2
	s_cbranch_execz .LBB45_30
; %bb.27:                               ;   in Loop: Header=BB45_2 Depth=1
	v_mov_b32_e32 v45, v36
	v_mov_b32_e32 v43, v31
	s_mov_b32 s7, 0
.LBB45_28:                              ;   Parent Loop BB45_2 Depth=1
                                        ; =>  This Inner Loop Header: Depth=2
	s_delay_alu instid0(VALU_DEP_1) | instskip(NEXT) | instid1(VALU_DEP_1)
	v_sub_nc_u32_e32 v44, v43, v45
	v_lshrrev_b32_e32 v44, 1, v44
	s_delay_alu instid0(VALU_DEP_1) | instskip(NEXT) | instid1(VALU_DEP_1)
	v_add_nc_u32_e32 v44, v44, v45
	v_add_nc_u32_e32 v46, v7, v44
	v_xad_u32 v47, v44, -1, v22
	v_add_nc_u32_e32 v48, 1, v44
	ds_load_i8 v46, v46
	ds_load_i8 v47, v47 offset:12
	s_wait_dscnt 0x0
	v_cmp_lt_i16_e64 s5, v47, v46
	s_wait_alu 0xf1ff
	s_delay_alu instid0(VALU_DEP_1) | instskip(SKIP_1) | instid1(VALU_DEP_1)
	v_cndmask_b32_e64 v43, v43, v44, s5
	v_cndmask_b32_e64 v45, v48, v45, s5
	v_cmp_ge_i32_e64 s5, v45, v43
	s_wait_alu 0xfffe
	s_or_b32 s7, s5, s7
	s_wait_alu 0xfffe
	s_and_not1_b32 exec_lo, exec_lo, s7
	s_cbranch_execnz .LBB45_28
; %bb.29:                               ;   in Loop: Header=BB45_2 Depth=1
	s_or_b32 exec_lo, exec_lo, s7
.LBB45_30:                              ;   in Loop: Header=BB45_2 Depth=1
	s_wait_alu 0xfffe
	s_or_b32 exec_lo, exec_lo, s6
	v_add_nc_u32_e32 v46, v45, v7
	v_sub_nc_u32_e32 v49, v22, v45
	v_sub_nc_u32_e32 v48, v26, v45
                                        ; implicit-def: $vgpr45
	ds_load_u8 v43, v46
	ds_load_u8 v44, v49 offset:12
	v_cmp_le_i32_e64 s5, v14, v46
	v_cmp_gt_i32_e64 s7, v15, v48
	s_wait_dscnt 0x1
	v_bfe_i32 v43, v43, 0, 8
	s_wait_dscnt 0x0
	v_bfe_i32 v44, v44, 0, 8
	s_delay_alu instid0(VALU_DEP_1)
	v_cmp_lt_i16_e64 s6, v44, v43
	s_or_b32 s5, s5, s6
	s_wait_alu 0xfffe
	s_and_b32 s5, s7, s5
	s_wait_alu 0xfffe
	s_xor_b32 s6, s5, -1
	s_wait_alu 0xfffe
	s_and_saveexec_b32 s7, s6
	s_wait_alu 0xfffe
	s_xor_b32 s6, exec_lo, s7
; %bb.31:                               ;   in Loop: Header=BB45_2 Depth=1
	ds_load_u8 v45, v46 offset:1
                                        ; implicit-def: $vgpr49
; %bb.32:                               ;   in Loop: Header=BB45_2 Depth=1
	s_wait_alu 0xfffe
	s_or_saveexec_b32 s6, s6
	v_mov_b32_e32 v47, v44
	s_wait_alu 0xfffe
	s_xor_b32 exec_lo, exec_lo, s6
	s_cbranch_execz .LBB45_34
; %bb.33:                               ;   in Loop: Header=BB45_2 Depth=1
	ds_load_u8 v47, v49 offset:13
	s_wait_dscnt 0x1
	v_mov_b32_e32 v45, v43
.LBB45_34:                              ;   in Loop: Header=BB45_2 Depth=1
	s_or_b32 exec_lo, exec_lo, s6
	v_add_nc_u32_e32 v49, 1, v46
	v_add_nc_u32_e32 v51, 1, v48
	s_wait_dscnt 0x0
	v_bfe_i32 v52, v45, 0, 8
	s_delay_alu instid0(VALU_DEP_3) | instskip(SKIP_2) | instid1(VALU_DEP_3)
	v_cndmask_b32_e64 v50, v49, v46, s5
	v_bfe_i32 v49, v47, 0, 8
	v_cndmask_b32_e64 v51, v48, v51, s5
	v_cmp_ge_i32_e64 s6, v50, v14
	s_delay_alu instid0(VALU_DEP_3) | instskip(NEXT) | instid1(VALU_DEP_3)
	v_cmp_lt_i16_e64 s7, v49, v52
	v_cmp_lt_i32_e64 s8, v51, v15
                                        ; implicit-def: $vgpr49
	s_or_b32 s6, s6, s7
	s_wait_alu 0xfffe
	s_and_b32 s6, s8, s6
	s_wait_alu 0xfffe
	s_xor_b32 s7, s6, -1
	s_wait_alu 0xfffe
	s_and_saveexec_b32 s8, s7
	s_wait_alu 0xfffe
	s_xor_b32 s7, exec_lo, s8
; %bb.35:                               ;   in Loop: Header=BB45_2 Depth=1
	ds_load_u8 v49, v50 offset:1
; %bb.36:                               ;   in Loop: Header=BB45_2 Depth=1
	s_wait_alu 0xfffe
	s_or_saveexec_b32 s7, s7
	v_mov_b32_e32 v52, v47
	s_wait_alu 0xfffe
	s_xor_b32 exec_lo, exec_lo, s7
	s_cbranch_execz .LBB45_38
; %bb.37:                               ;   in Loop: Header=BB45_2 Depth=1
	ds_load_u8 v52, v51 offset:1
	s_wait_dscnt 0x1
	v_mov_b32_e32 v49, v45
.LBB45_38:                              ;   in Loop: Header=BB45_2 Depth=1
	s_or_b32 exec_lo, exec_lo, s7
	v_add_nc_u32_e32 v53, 1, v50
	v_add_nc_u32_e32 v54, 1, v51
	s_wait_dscnt 0x0
	v_bfe_i32 v55, v49, 0, 8
	v_bfe_i32 v56, v52, 0, 8
	v_cndmask_b32_e64 v46, v46, v48, s5
	v_cndmask_b32_e64 v53, v53, v50, s6
	v_cndmask_b32_e64 v50, v50, v51, s6
	v_cndmask_b32_e64 v51, v51, v54, s6
	v_cmp_lt_i16_e64 s7, v56, v55
	s_wait_loadcnt 0x0
	v_cmp_ge_i32_e64 s8, v53, v14
	s_barrier_signal -1
	v_cmp_lt_i32_e64 s9, v51, v15
	s_barrier_wait -1
	global_inv scope:SCOPE_SE
	s_or_b32 s7, s8, s7
	ds_store_b8 v1, v40
	ds_store_b8 v1, v42 offset:1
	ds_store_b8 v1, v41 offset:2
	s_wait_alu 0xfffe
	s_and_b32 s7, s9, s7
	s_wait_loadcnt_dscnt 0x0
	s_wait_alu 0xfffe
	v_cndmask_b32_e64 v48, v49, v52, s7
	v_cndmask_b32_e64 v49, v53, v51, s7
	s_barrier_signal -1
	s_barrier_wait -1
	global_inv scope:SCOPE_SE
	ds_load_u8 v40, v46
	ds_load_u8 v41, v49
	;; [unrolled: 1-line block ×3, first 2 shown]
	v_cndmask_b32_e64 v43, v43, v44, s5
	v_cndmask_b32_e64 v45, v45, v47, s6
	s_wait_loadcnt_dscnt 0x0
	s_barrier_signal -1
	s_barrier_wait -1
	global_inv scope:SCOPE_SE
	ds_store_b8 v1, v43
	ds_store_b8 v1, v45 offset:1
	ds_store_b8 v1, v48 offset:2
	v_mov_b32_e32 v45, v37
	s_wait_loadcnt_dscnt 0x0
	s_barrier_signal -1
	s_barrier_wait -1
	global_inv scope:SCOPE_SE
	s_and_saveexec_b32 s6, s3
	s_cbranch_execz .LBB45_42
; %bb.39:                               ;   in Loop: Header=BB45_2 Depth=1
	v_mov_b32_e32 v45, v37
	v_mov_b32_e32 v43, v32
	s_mov_b32 s7, 0
.LBB45_40:                              ;   Parent Loop BB45_2 Depth=1
                                        ; =>  This Inner Loop Header: Depth=2
	s_delay_alu instid0(VALU_DEP_1) | instskip(NEXT) | instid1(VALU_DEP_1)
	v_sub_nc_u32_e32 v44, v43, v45
	v_lshrrev_b32_e32 v44, 1, v44
	s_delay_alu instid0(VALU_DEP_1) | instskip(NEXT) | instid1(VALU_DEP_1)
	v_add_nc_u32_e32 v44, v44, v45
	v_add_nc_u32_e32 v46, v8, v44
	v_xad_u32 v47, v44, -1, v23
	v_add_nc_u32_e32 v48, 1, v44
	ds_load_i8 v46, v46
	ds_load_i8 v47, v47 offset:24
	s_wait_dscnt 0x0
	v_cmp_lt_i16_e64 s5, v47, v46
	s_wait_alu 0xf1ff
	s_delay_alu instid0(VALU_DEP_1) | instskip(SKIP_1) | instid1(VALU_DEP_1)
	v_cndmask_b32_e64 v43, v43, v44, s5
	v_cndmask_b32_e64 v45, v48, v45, s5
	v_cmp_ge_i32_e64 s5, v45, v43
	s_wait_alu 0xfffe
	s_or_b32 s7, s5, s7
	s_wait_alu 0xfffe
	s_and_not1_b32 exec_lo, exec_lo, s7
	s_cbranch_execnz .LBB45_40
; %bb.41:                               ;   in Loop: Header=BB45_2 Depth=1
	s_or_b32 exec_lo, exec_lo, s7
.LBB45_42:                              ;   in Loop: Header=BB45_2 Depth=1
	s_wait_alu 0xfffe
	s_or_b32 exec_lo, exec_lo, s6
	v_add_nc_u32_e32 v46, v45, v8
	v_sub_nc_u32_e32 v49, v23, v45
	v_sub_nc_u32_e32 v48, v27, v45
                                        ; implicit-def: $vgpr45
	ds_load_u8 v43, v46
	ds_load_u8 v44, v49 offset:24
	v_cmp_le_i32_e64 s5, v16, v46
	v_cmp_gt_i32_e64 s7, v17, v48
	s_wait_dscnt 0x1
	v_bfe_i32 v43, v43, 0, 8
	s_wait_dscnt 0x0
	v_bfe_i32 v44, v44, 0, 8
	s_delay_alu instid0(VALU_DEP_1)
	v_cmp_lt_i16_e64 s6, v44, v43
	s_or_b32 s5, s5, s6
	s_wait_alu 0xfffe
	s_and_b32 s5, s7, s5
	s_wait_alu 0xfffe
	s_xor_b32 s6, s5, -1
	s_wait_alu 0xfffe
	s_and_saveexec_b32 s7, s6
	s_wait_alu 0xfffe
	s_xor_b32 s6, exec_lo, s7
; %bb.43:                               ;   in Loop: Header=BB45_2 Depth=1
	ds_load_u8 v45, v46 offset:1
                                        ; implicit-def: $vgpr49
; %bb.44:                               ;   in Loop: Header=BB45_2 Depth=1
	s_wait_alu 0xfffe
	s_or_saveexec_b32 s6, s6
	v_mov_b32_e32 v47, v44
	s_wait_alu 0xfffe
	s_xor_b32 exec_lo, exec_lo, s6
	s_cbranch_execz .LBB45_46
; %bb.45:                               ;   in Loop: Header=BB45_2 Depth=1
	ds_load_u8 v47, v49 offset:25
	s_wait_dscnt 0x1
	v_mov_b32_e32 v45, v43
.LBB45_46:                              ;   in Loop: Header=BB45_2 Depth=1
	s_or_b32 exec_lo, exec_lo, s6
	v_add_nc_u32_e32 v49, 1, v46
	v_add_nc_u32_e32 v51, 1, v48
	s_wait_dscnt 0x0
	v_bfe_i32 v52, v45, 0, 8
	s_delay_alu instid0(VALU_DEP_3) | instskip(SKIP_2) | instid1(VALU_DEP_3)
	v_cndmask_b32_e64 v50, v49, v46, s5
	v_bfe_i32 v49, v47, 0, 8
	v_cndmask_b32_e64 v51, v48, v51, s5
	v_cmp_ge_i32_e64 s6, v50, v16
	s_delay_alu instid0(VALU_DEP_3) | instskip(NEXT) | instid1(VALU_DEP_3)
	v_cmp_lt_i16_e64 s7, v49, v52
	v_cmp_lt_i32_e64 s8, v51, v17
                                        ; implicit-def: $vgpr49
	s_or_b32 s6, s6, s7
	s_wait_alu 0xfffe
	s_and_b32 s6, s8, s6
	s_wait_alu 0xfffe
	s_xor_b32 s7, s6, -1
	s_wait_alu 0xfffe
	s_and_saveexec_b32 s8, s7
	s_wait_alu 0xfffe
	s_xor_b32 s7, exec_lo, s8
; %bb.47:                               ;   in Loop: Header=BB45_2 Depth=1
	ds_load_u8 v49, v50 offset:1
; %bb.48:                               ;   in Loop: Header=BB45_2 Depth=1
	s_wait_alu 0xfffe
	s_or_saveexec_b32 s7, s7
	v_mov_b32_e32 v52, v47
	s_wait_alu 0xfffe
	s_xor_b32 exec_lo, exec_lo, s7
	s_cbranch_execz .LBB45_50
; %bb.49:                               ;   in Loop: Header=BB45_2 Depth=1
	ds_load_u8 v52, v51 offset:1
	s_wait_dscnt 0x1
	v_mov_b32_e32 v49, v45
.LBB45_50:                              ;   in Loop: Header=BB45_2 Depth=1
	s_or_b32 exec_lo, exec_lo, s7
	v_add_nc_u32_e32 v53, 1, v50
	v_add_nc_u32_e32 v54, 1, v51
	s_wait_dscnt 0x0
	v_bfe_i32 v55, v49, 0, 8
	v_bfe_i32 v56, v52, 0, 8
	v_cndmask_b32_e64 v46, v46, v48, s5
	v_cndmask_b32_e64 v53, v53, v50, s6
	;; [unrolled: 1-line block ×4, first 2 shown]
	v_cmp_lt_i16_e64 s7, v56, v55
	s_wait_loadcnt 0x0
	v_cmp_ge_i32_e64 s8, v53, v16
	s_barrier_signal -1
	v_cmp_lt_i32_e64 s9, v51, v17
	s_barrier_wait -1
	global_inv scope:SCOPE_SE
	s_or_b32 s7, s8, s7
	ds_store_b8 v1, v40
	ds_store_b8 v1, v42 offset:1
	ds_store_b8 v1, v41 offset:2
	s_wait_alu 0xfffe
	s_and_b32 s7, s9, s7
	s_wait_loadcnt_dscnt 0x0
	s_wait_alu 0xfffe
	v_cndmask_b32_e64 v48, v49, v52, s7
	v_cndmask_b32_e64 v49, v53, v51, s7
	s_barrier_signal -1
	s_barrier_wait -1
	global_inv scope:SCOPE_SE
	ds_load_u8 v40, v46
	ds_load_u8 v41, v49
	;; [unrolled: 1-line block ×3, first 2 shown]
	v_cndmask_b32_e64 v43, v43, v44, s5
	v_cndmask_b32_e64 v45, v45, v47, s6
	s_wait_loadcnt_dscnt 0x0
	s_barrier_signal -1
	s_barrier_wait -1
	global_inv scope:SCOPE_SE
	ds_store_b8 v1, v43
	ds_store_b8 v1, v45 offset:1
	ds_store_b8 v1, v48 offset:2
	v_mov_b32_e32 v45, v38
	s_wait_loadcnt_dscnt 0x0
	s_barrier_signal -1
	s_barrier_wait -1
	global_inv scope:SCOPE_SE
	s_and_saveexec_b32 s6, s4
	s_cbranch_execz .LBB45_54
; %bb.51:                               ;   in Loop: Header=BB45_2 Depth=1
	v_mov_b32_e32 v45, v38
	v_mov_b32_e32 v43, v33
	s_mov_b32 s7, 0
.LBB45_52:                              ;   Parent Loop BB45_2 Depth=1
                                        ; =>  This Inner Loop Header: Depth=2
	s_delay_alu instid0(VALU_DEP_1) | instskip(NEXT) | instid1(VALU_DEP_1)
	v_sub_nc_u32_e32 v44, v43, v45
	v_lshrrev_b32_e32 v44, 1, v44
	s_delay_alu instid0(VALU_DEP_1) | instskip(NEXT) | instid1(VALU_DEP_1)
	v_add_nc_u32_e32 v44, v44, v45
	v_add_nc_u32_e32 v46, v9, v44
	v_xad_u32 v47, v44, -1, v39
	v_add_nc_u32_e32 v48, 1, v44
	ds_load_i8 v46, v46
	ds_load_i8 v47, v47 offset:48
	s_wait_dscnt 0x0
	v_cmp_lt_i16_e64 s5, v47, v46
	s_wait_alu 0xf1ff
	s_delay_alu instid0(VALU_DEP_1) | instskip(SKIP_1) | instid1(VALU_DEP_1)
	v_cndmask_b32_e64 v43, v43, v44, s5
	v_cndmask_b32_e64 v45, v48, v45, s5
	v_cmp_ge_i32_e64 s5, v45, v43
	s_wait_alu 0xfffe
	s_or_b32 s7, s5, s7
	s_wait_alu 0xfffe
	s_and_not1_b32 exec_lo, exec_lo, s7
	s_cbranch_execnz .LBB45_52
; %bb.53:                               ;   in Loop: Header=BB45_2 Depth=1
	s_or_b32 exec_lo, exec_lo, s7
.LBB45_54:                              ;   in Loop: Header=BB45_2 Depth=1
	s_wait_alu 0xfffe
	s_or_b32 exec_lo, exec_lo, s6
	v_add_nc_u32_e32 v46, v45, v9
	v_sub_nc_u32_e32 v49, v39, v45
	v_sub_nc_u32_e32 v48, v28, v45
                                        ; implicit-def: $vgpr45
	ds_load_u8 v43, v46
	ds_load_u8 v44, v49 offset:48
	v_cmp_le_i32_e64 s5, v18, v46
	v_cmp_gt_i32_e64 s7, v19, v48
	s_wait_dscnt 0x1
	v_bfe_i32 v43, v43, 0, 8
	s_wait_dscnt 0x0
	v_bfe_i32 v44, v44, 0, 8
	s_delay_alu instid0(VALU_DEP_1)
	v_cmp_lt_i16_e64 s6, v44, v43
	s_or_b32 s5, s5, s6
	s_wait_alu 0xfffe
	s_and_b32 s5, s7, s5
	s_wait_alu 0xfffe
	s_xor_b32 s6, s5, -1
	s_wait_alu 0xfffe
	s_and_saveexec_b32 s7, s6
	s_wait_alu 0xfffe
	s_xor_b32 s6, exec_lo, s7
; %bb.55:                               ;   in Loop: Header=BB45_2 Depth=1
	ds_load_u8 v45, v46 offset:1
                                        ; implicit-def: $vgpr49
; %bb.56:                               ;   in Loop: Header=BB45_2 Depth=1
	s_wait_alu 0xfffe
	s_or_saveexec_b32 s6, s6
	v_mov_b32_e32 v47, v44
	s_wait_alu 0xfffe
	s_xor_b32 exec_lo, exec_lo, s6
	s_cbranch_execz .LBB45_58
; %bb.57:                               ;   in Loop: Header=BB45_2 Depth=1
	ds_load_u8 v47, v49 offset:49
	s_wait_dscnt 0x1
	v_mov_b32_e32 v45, v43
.LBB45_58:                              ;   in Loop: Header=BB45_2 Depth=1
	s_or_b32 exec_lo, exec_lo, s6
	v_add_nc_u32_e32 v49, 1, v46
	v_add_nc_u32_e32 v51, 1, v48
	s_wait_dscnt 0x0
	v_bfe_i32 v52, v45, 0, 8
	s_delay_alu instid0(VALU_DEP_3) | instskip(SKIP_2) | instid1(VALU_DEP_3)
	v_cndmask_b32_e64 v50, v49, v46, s5
	v_bfe_i32 v49, v47, 0, 8
	v_cndmask_b32_e64 v51, v48, v51, s5
	v_cmp_ge_i32_e64 s6, v50, v18
	s_delay_alu instid0(VALU_DEP_3) | instskip(NEXT) | instid1(VALU_DEP_3)
	v_cmp_lt_i16_e64 s7, v49, v52
	v_cmp_lt_i32_e64 s8, v51, v19
                                        ; implicit-def: $vgpr49
	s_or_b32 s6, s6, s7
	s_wait_alu 0xfffe
	s_and_b32 s6, s8, s6
	s_wait_alu 0xfffe
	s_xor_b32 s7, s6, -1
	s_wait_alu 0xfffe
	s_and_saveexec_b32 s8, s7
	s_wait_alu 0xfffe
	s_xor_b32 s7, exec_lo, s8
; %bb.59:                               ;   in Loop: Header=BB45_2 Depth=1
	ds_load_u8 v49, v50 offset:1
; %bb.60:                               ;   in Loop: Header=BB45_2 Depth=1
	s_wait_alu 0xfffe
	s_or_saveexec_b32 s7, s7
	v_mov_b32_e32 v52, v47
	s_wait_alu 0xfffe
	s_xor_b32 exec_lo, exec_lo, s7
	s_cbranch_execz .LBB45_62
; %bb.61:                               ;   in Loop: Header=BB45_2 Depth=1
	ds_load_u8 v52, v51 offset:1
	s_wait_dscnt 0x1
	v_mov_b32_e32 v49, v45
.LBB45_62:                              ;   in Loop: Header=BB45_2 Depth=1
	s_or_b32 exec_lo, exec_lo, s7
	v_add_nc_u32_e32 v53, 1, v50
	v_add_nc_u32_e32 v54, 1, v51
	s_wait_dscnt 0x0
	v_bfe_i32 v55, v49, 0, 8
	v_bfe_i32 v56, v52, 0, 8
	v_cndmask_b32_e64 v46, v46, v48, s5
	v_cndmask_b32_e64 v53, v53, v50, s6
	;; [unrolled: 1-line block ×4, first 2 shown]
	v_cmp_lt_i16_e64 s7, v56, v55
	s_wait_loadcnt 0x0
	v_cmp_ge_i32_e64 s8, v53, v18
	s_barrier_signal -1
	v_cmp_lt_i32_e64 s9, v51, v19
	s_barrier_wait -1
	global_inv scope:SCOPE_SE
	s_or_b32 s7, s8, s7
	ds_store_b8 v1, v40
	ds_store_b8 v1, v42 offset:1
	ds_store_b8 v1, v41 offset:2
	s_wait_alu 0xfffe
	s_and_b32 s7, s9, s7
	s_wait_loadcnt_dscnt 0x0
	s_wait_alu 0xfffe
	v_cndmask_b32_e64 v48, v49, v52, s7
	v_cndmask_b32_e64 v49, v53, v51, s7
	s_barrier_signal -1
	s_barrier_wait -1
	global_inv scope:SCOPE_SE
	ds_load_u8 v40, v46
	ds_load_u8 v41, v49
	;; [unrolled: 1-line block ×3, first 2 shown]
	v_cndmask_b32_e64 v43, v43, v44, s5
	v_cndmask_b32_e64 v45, v45, v47, s6
	s_wait_loadcnt_dscnt 0x0
	s_barrier_signal -1
	s_barrier_wait -1
	global_inv scope:SCOPE_SE
	ds_store_b8 v1, v43
	ds_store_b8 v1, v45 offset:1
	ds_store_b8 v1, v48 offset:2
	v_mov_b32_e32 v43, v3
	s_wait_loadcnt_dscnt 0x0
	s_barrier_signal -1
	s_barrier_wait -1
	global_inv scope:SCOPE_SE
	s_and_saveexec_b32 s6, vcc_lo
	s_cbranch_execz .LBB45_66
; %bb.63:                               ;   in Loop: Header=BB45_2 Depth=1
	v_dual_mov_b32 v43, v3 :: v_dual_mov_b32 v44, v4
	s_mov_b32 s7, 0
.LBB45_64:                              ;   Parent Loop BB45_2 Depth=1
                                        ; =>  This Inner Loop Header: Depth=2
	s_delay_alu instid0(VALU_DEP_1) | instskip(NEXT) | instid1(VALU_DEP_1)
	v_sub_nc_u32_e32 v45, v44, v43
	v_lshrrev_b32_e32 v45, 1, v45
	s_delay_alu instid0(VALU_DEP_1) | instskip(NEXT) | instid1(VALU_DEP_1)
	v_add_nc_u32_e32 v45, v45, v43
	v_xad_u32 v46, v45, -1, v1
	v_add_nc_u32_e32 v48, 1, v45
	ds_load_i8 v47, v45
	ds_load_i8 v46, v46 offset:96
	s_wait_dscnt 0x0
	v_cmp_lt_i16_e64 s5, v46, v47
	s_wait_alu 0xf1ff
	s_delay_alu instid0(VALU_DEP_1) | instskip(SKIP_1) | instid1(VALU_DEP_1)
	v_cndmask_b32_e64 v44, v44, v45, s5
	v_cndmask_b32_e64 v43, v48, v43, s5
	v_cmp_ge_i32_e64 s5, v43, v44
	s_wait_alu 0xfffe
	s_or_b32 s7, s5, s7
	s_wait_alu 0xfffe
	s_and_not1_b32 exec_lo, exec_lo, s7
	s_cbranch_execnz .LBB45_64
; %bb.65:                               ;   in Loop: Header=BB45_2 Depth=1
	s_or_b32 exec_lo, exec_lo, s7
.LBB45_66:                              ;   in Loop: Header=BB45_2 Depth=1
	s_wait_alu 0xfffe
	s_or_b32 exec_lo, exec_lo, s6
	v_sub_nc_u32_e32 v49, v1, v43
	v_cmp_le_i32_e64 s5, 0x60, v43
                                        ; implicit-def: $vgpr47
	ds_load_u8 v44, v43
	ds_load_u8 v46, v49 offset:96
	s_wait_dscnt 0x1
	v_bfe_i32 v45, v44, 0, 8
	s_wait_dscnt 0x0
	v_bfe_i32 v46, v46, 0, 8
	v_sub_nc_u32_e32 v44, v2, v43
	s_delay_alu instid0(VALU_DEP_2) | instskip(NEXT) | instid1(VALU_DEP_2)
	v_cmp_lt_i16_e64 s6, v46, v45
	v_cmp_gt_i32_e64 s7, 0xc0, v44
	s_or_b32 s5, s5, s6
	s_wait_alu 0xfffe
	s_and_b32 s5, s7, s5
	s_wait_alu 0xfffe
	s_xor_b32 s6, s5, -1
	s_wait_alu 0xfffe
	s_and_saveexec_b32 s7, s6
	s_wait_alu 0xfffe
	s_xor_b32 s6, exec_lo, s7
; %bb.67:                               ;   in Loop: Header=BB45_2 Depth=1
	ds_load_u8 v47, v43 offset:1
                                        ; implicit-def: $vgpr49
; %bb.68:                               ;   in Loop: Header=BB45_2 Depth=1
	s_wait_alu 0xfffe
	s_or_saveexec_b32 s6, s6
	v_mov_b32_e32 v48, v46
	s_wait_alu 0xfffe
	s_xor_b32 exec_lo, exec_lo, s6
	s_cbranch_execz .LBB45_70
; %bb.69:                               ;   in Loop: Header=BB45_2 Depth=1
	ds_load_u8 v48, v49 offset:97
	s_wait_dscnt 0x1
	v_mov_b32_e32 v47, v45
.LBB45_70:                              ;   in Loop: Header=BB45_2 Depth=1
	s_or_b32 exec_lo, exec_lo, s6
	v_add_nc_u32_e32 v49, 1, v43
	v_add_nc_u32_e32 v50, 1, v44
	s_wait_dscnt 0x0
	v_bfe_i32 v51, v47, 0, 8
	v_bfe_i32 v52, v48, 0, 8
	v_cndmask_b32_e64 v54, v49, v43, s5
	v_cndmask_b32_e64 v49, v44, v50, s5
                                        ; implicit-def: $vgpr50
	s_delay_alu instid0(VALU_DEP_3) | instskip(NEXT) | instid1(VALU_DEP_3)
	v_cmp_lt_i16_e64 s7, v52, v51
                                        ; implicit-def: $vgpr52
	v_cmp_le_i32_e64 s6, 0x60, v54
	s_delay_alu instid0(VALU_DEP_3)
	v_cmp_gt_i32_e64 s8, 0xc0, v49
	s_or_b32 s6, s6, s7
	s_wait_alu 0xfffe
	s_and_b32 s6, s8, s6
	s_wait_alu 0xfffe
	s_xor_b32 s7, s6, -1
	s_wait_alu 0xfffe
	s_and_saveexec_b32 s8, s7
	s_wait_alu 0xfffe
	s_xor_b32 s7, exec_lo, s8
; %bb.71:                               ;   in Loop: Header=BB45_2 Depth=1
	ds_load_u8 v52, v54 offset:1
	v_add_nc_u32_e32 v50, 1, v54
; %bb.72:                               ;   in Loop: Header=BB45_2 Depth=1
	s_wait_alu 0xfffe
	s_or_saveexec_b32 s7, s7
	v_mov_b32_e32 v51, v54
	v_mov_b32_e32 v53, v48
	s_wait_alu 0xfffe
	s_xor_b32 exec_lo, exec_lo, s7
	s_cbranch_execz .LBB45_1
; %bb.73:                               ;   in Loop: Header=BB45_2 Depth=1
	ds_load_u8 v53, v49 offset:1
	s_wait_dscnt 0x1
	v_dual_mov_b32 v51, v49 :: v_dual_add_nc_u32 v52, 1, v49
	s_delay_alu instid0(VALU_DEP_1)
	v_dual_mov_b32 v50, v54 :: v_dual_mov_b32 v49, v52
	v_mov_b32_e32 v52, v47
	s_branch .LBB45_1
.LBB45_74:
	s_add_nc_u64 s[0:1], s[14:15], s[16:17]
	s_wait_dscnt 0x2
	v_add_nc_u16 v2, v46, v42
	s_wait_alu 0xfffe
	v_add_co_u32 v0, s0, s0, v0
	s_wait_alu 0xf1ff
	v_add_co_ci_u32_e64 v1, null, s1, 0, s0
	s_wait_dscnt 0x1
	v_add_nc_u16 v3, v45, v41
	s_wait_dscnt 0x0
	v_add_nc_u16 v4, v43, v40
	s_clause 0x2
	global_store_b8 v[0:1], v2, off
	global_store_b8 v[0:1], v3, off offset:64
	global_store_b8 v[0:1], v4, off offset:128
	s_endpgm
	.section	.rodata,"a",@progbits
	.p2align	6, 0x0
	.amdhsa_kernel _Z17sort_pairs_kernelIaLj64ELj3EN10test_utils4lessELj10EEvPKT_PS2_T2_
		.amdhsa_group_segment_fixed_size 193
		.amdhsa_private_segment_fixed_size 0
		.amdhsa_kernarg_size 20
		.amdhsa_user_sgpr_count 2
		.amdhsa_user_sgpr_dispatch_ptr 0
		.amdhsa_user_sgpr_queue_ptr 0
		.amdhsa_user_sgpr_kernarg_segment_ptr 1
		.amdhsa_user_sgpr_dispatch_id 0
		.amdhsa_user_sgpr_private_segment_size 0
		.amdhsa_wavefront_size32 1
		.amdhsa_uses_dynamic_stack 0
		.amdhsa_enable_private_segment 0
		.amdhsa_system_sgpr_workgroup_id_x 1
		.amdhsa_system_sgpr_workgroup_id_y 0
		.amdhsa_system_sgpr_workgroup_id_z 0
		.amdhsa_system_sgpr_workgroup_info 0
		.amdhsa_system_vgpr_workitem_id 0
		.amdhsa_next_free_vgpr 57
		.amdhsa_next_free_sgpr 18
		.amdhsa_reserve_vcc 1
		.amdhsa_float_round_mode_32 0
		.amdhsa_float_round_mode_16_64 0
		.amdhsa_float_denorm_mode_32 3
		.amdhsa_float_denorm_mode_16_64 3
		.amdhsa_fp16_overflow 0
		.amdhsa_workgroup_processor_mode 1
		.amdhsa_memory_ordered 1
		.amdhsa_forward_progress 1
		.amdhsa_inst_pref_size 47
		.amdhsa_round_robin_scheduling 0
		.amdhsa_exception_fp_ieee_invalid_op 0
		.amdhsa_exception_fp_denorm_src 0
		.amdhsa_exception_fp_ieee_div_zero 0
		.amdhsa_exception_fp_ieee_overflow 0
		.amdhsa_exception_fp_ieee_underflow 0
		.amdhsa_exception_fp_ieee_inexact 0
		.amdhsa_exception_int_div_zero 0
	.end_amdhsa_kernel
	.section	.text._Z17sort_pairs_kernelIaLj64ELj3EN10test_utils4lessELj10EEvPKT_PS2_T2_,"axG",@progbits,_Z17sort_pairs_kernelIaLj64ELj3EN10test_utils4lessELj10EEvPKT_PS2_T2_,comdat
.Lfunc_end45:
	.size	_Z17sort_pairs_kernelIaLj64ELj3EN10test_utils4lessELj10EEvPKT_PS2_T2_, .Lfunc_end45-_Z17sort_pairs_kernelIaLj64ELj3EN10test_utils4lessELj10EEvPKT_PS2_T2_
                                        ; -- End function
	.set _Z17sort_pairs_kernelIaLj64ELj3EN10test_utils4lessELj10EEvPKT_PS2_T2_.num_vgpr, 57
	.set _Z17sort_pairs_kernelIaLj64ELj3EN10test_utils4lessELj10EEvPKT_PS2_T2_.num_agpr, 0
	.set _Z17sort_pairs_kernelIaLj64ELj3EN10test_utils4lessELj10EEvPKT_PS2_T2_.numbered_sgpr, 18
	.set _Z17sort_pairs_kernelIaLj64ELj3EN10test_utils4lessELj10EEvPKT_PS2_T2_.num_named_barrier, 0
	.set _Z17sort_pairs_kernelIaLj64ELj3EN10test_utils4lessELj10EEvPKT_PS2_T2_.private_seg_size, 0
	.set _Z17sort_pairs_kernelIaLj64ELj3EN10test_utils4lessELj10EEvPKT_PS2_T2_.uses_vcc, 1
	.set _Z17sort_pairs_kernelIaLj64ELj3EN10test_utils4lessELj10EEvPKT_PS2_T2_.uses_flat_scratch, 0
	.set _Z17sort_pairs_kernelIaLj64ELj3EN10test_utils4lessELj10EEvPKT_PS2_T2_.has_dyn_sized_stack, 0
	.set _Z17sort_pairs_kernelIaLj64ELj3EN10test_utils4lessELj10EEvPKT_PS2_T2_.has_recursion, 0
	.set _Z17sort_pairs_kernelIaLj64ELj3EN10test_utils4lessELj10EEvPKT_PS2_T2_.has_indirect_call, 0
	.section	.AMDGPU.csdata,"",@progbits
; Kernel info:
; codeLenInByte = 5952
; TotalNumSgprs: 20
; NumVgprs: 57
; ScratchSize: 0
; MemoryBound: 0
; FloatMode: 240
; IeeeMode: 1
; LDSByteSize: 193 bytes/workgroup (compile time only)
; SGPRBlocks: 0
; VGPRBlocks: 7
; NumSGPRsForWavesPerEU: 20
; NumVGPRsForWavesPerEU: 57
; Occupancy: 16
; WaveLimiterHint : 0
; COMPUTE_PGM_RSRC2:SCRATCH_EN: 0
; COMPUTE_PGM_RSRC2:USER_SGPR: 2
; COMPUTE_PGM_RSRC2:TRAP_HANDLER: 0
; COMPUTE_PGM_RSRC2:TGID_X_EN: 1
; COMPUTE_PGM_RSRC2:TGID_Y_EN: 0
; COMPUTE_PGM_RSRC2:TGID_Z_EN: 0
; COMPUTE_PGM_RSRC2:TIDIG_COMP_CNT: 0
	.section	.text._Z16sort_keys_kernelIaLj64ELj4EN10test_utils4lessELj10EEvPKT_PS2_T2_,"axG",@progbits,_Z16sort_keys_kernelIaLj64ELj4EN10test_utils4lessELj10EEvPKT_PS2_T2_,comdat
	.protected	_Z16sort_keys_kernelIaLj64ELj4EN10test_utils4lessELj10EEvPKT_PS2_T2_ ; -- Begin function _Z16sort_keys_kernelIaLj64ELj4EN10test_utils4lessELj10EEvPKT_PS2_T2_
	.globl	_Z16sort_keys_kernelIaLj64ELj4EN10test_utils4lessELj10EEvPKT_PS2_T2_
	.p2align	8
	.type	_Z16sort_keys_kernelIaLj64ELj4EN10test_utils4lessELj10EEvPKT_PS2_T2_,@function
_Z16sort_keys_kernelIaLj64ELj4EN10test_utils4lessELj10EEvPKT_PS2_T2_: ; @_Z16sort_keys_kernelIaLj64ELj4EN10test_utils4lessELj10EEvPKT_PS2_T2_
; %bb.0:
	s_load_b128 s[12:15], s[0:1], 0x0
	s_lshl_b32 s16, ttmp9, 8
	s_mov_b32 s17, 0
	v_lshlrev_b32_e32 v1, 2, v0
	s_mov_b32 s11, s17
	s_delay_alu instid0(VALU_DEP_1)
	v_and_b32_e32 v2, 0xf8, v1
	v_and_b32_e32 v3, 0xf0, v1
	;; [unrolled: 1-line block ×5, first 2 shown]
	v_or_b32_e32 v9, 4, v2
	v_add_nc_u32_e32 v10, 8, v2
	v_or_b32_e32 v11, 8, v3
	v_add_nc_u32_e32 v12, 16, v3
	v_and_b32_e32 v5, 0xc0, v1
	v_or_b32_e32 v13, 16, v4
	v_sub_nc_u32_e32 v38, v10, v9
	s_wait_kmcnt 0x0
	s_add_nc_u64 s[0:1], s[12:13], s[16:17]
	v_add_nc_u32_e32 v14, 32, v4
	s_clause 0x3
	global_load_u8 v34, v0, s[0:1] offset:64
	global_load_u8 v35, v0, s[0:1] offset:128
	global_load_u8 v36, v0, s[0:1]
	global_load_u8 v37, v0, s[0:1] offset:192
	v_sub_nc_u32_e32 v24, v9, v2
	v_sub_nc_u32_e32 v39, v12, v11
	;; [unrolled: 1-line block ×3, first 2 shown]
	v_cmp_ge_i32_e64 s0, v29, v38
	v_and_b32_e32 v31, 28, v1
	v_and_b32_e32 v6, 0x80, v1
	v_or_b32_e32 v15, 32, v5
	v_add_nc_u32_e32 v16, 64, v5
	v_add_nc_u32_e32 v19, v9, v29
	v_sub_nc_u32_e32 v25, v11, v3
	v_sub_nc_u32_e32 v40, v14, v13
	v_min_i32_e32 v24, v29, v24
	v_sub_nc_u32_e32 v44, v30, v39
	v_cndmask_b32_e64 v29, 0, v43, s0
	v_cmp_ge_i32_e64 s0, v30, v39
	v_and_b32_e32 v32, 60, v1
	v_or_b32_e32 v17, 64, v6
	v_add_nc_u32_e32 v18, 0x80, v6
	v_add_nc_u32_e32 v20, v11, v30
	v_sub_nc_u32_e32 v26, v13, v4
	v_sub_nc_u32_e32 v41, v16, v15
	v_min_i32_e32 v25, v30, v25
	v_sub_nc_u32_e32 v45, v31, v40
	s_wait_alu 0xf1ff
	v_cndmask_b32_e64 v30, 0, v44, s0
	v_cmp_ge_i32_e64 s0, v31, v40
	v_and_b32_e32 v33, 0x7c, v1
	v_add_nc_u32_e32 v21, v13, v31
	v_sub_nc_u32_e32 v27, v15, v5
	v_sub_nc_u32_e32 v42, v18, v17
	v_min_i32_e32 v26, v31, v26
	v_sub_nc_u32_e32 v46, v32, v41
	s_wait_alu 0xf1ff
	v_cndmask_b32_e64 v31, 0, v45, s0
	v_cmp_ge_i32_e64 s0, v32, v41
	v_add_nc_u32_e32 v22, v15, v32
	v_sub_nc_u32_e32 v28, v17, v6
	v_min_i32_e32 v27, v32, v27
	v_sub_nc_u32_e32 v47, v33, v42
	s_wait_alu 0xf1ff
	v_cndmask_b32_e64 v32, 0, v46, s0
	v_cmp_ge_i32_e64 s0, v33, v42
	v_add_nc_u32_e32 v23, v17, v33
	v_min_i32_e32 v28, v33, v28
	v_subrev_nc_u32_e64 v7, 0x80, v1 clamp
	v_min_i32_e32 v8, 0x80, v1
	s_wait_alu 0xf1ff
	v_cndmask_b32_e64 v33, 0, v47, s0
	v_cmp_lt_i32_e64 s0, v29, v24
	v_cmp_lt_i32_e64 s1, v30, v25
	;; [unrolled: 1-line block ×5, first 2 shown]
	v_cmp_lt_i32_e32 vcc_lo, v7, v8
	s_wait_loadcnt 0x1
	v_perm_b32 v34, v36, v34, 0xc0c0004
	s_wait_loadcnt 0x0
	v_perm_b32 v35, v35, v37, 0xc0c0004
	s_delay_alu instid0(VALU_DEP_1)
	v_lshl_or_b32 v39, v35, 16, v34
	v_add_nc_u32_e32 v34, 0x80, v1
	s_branch .LBB46_2
.LBB46_1:                               ;   in Loop: Header=BB46_2 Depth=1
	s_or_b32 exec_lo, exec_lo, s8
	s_wait_dscnt 0x0
	v_bfe_i32 v44, v42, 0, 8
	v_bfe_i32 v46, v45, 0, 8
	v_cmp_le_i32_e64 s8, 0x80, v43
	v_cmp_gt_i32_e64 s10, 0x100, v41
	v_cndmask_b32_e64 v35, v35, v36, s5
	v_cndmask_b32_e64 v36, v37, v38, s6
	v_cmp_lt_i16_e64 s9, v46, v44
	v_cndmask_b32_e64 v37, v39, v40, s7
	s_add_co_i32 s11, s11, 1
	v_and_b32_e32 v40, 0xff, v35
	v_lshlrev_b16 v39, 8, v36
	s_or_b32 s5, s8, s9
	v_and_b32_e32 v41, 0xff, v37
	s_wait_alu 0xfffe
	s_and_b32 s5, s10, s5
	s_cmp_eq_u32 s11, 10
	s_wait_alu 0xfffe
	v_cndmask_b32_e64 v38, v42, v45, s5
	v_or_b32_e32 v39, v40, v39
	s_delay_alu instid0(VALU_DEP_2) | instskip(NEXT) | instid1(VALU_DEP_2)
	v_lshlrev_b16 v42, 8, v38
	v_and_b32_e32 v39, 0xffff, v39
	s_delay_alu instid0(VALU_DEP_2) | instskip(NEXT) | instid1(VALU_DEP_1)
	v_or_b32_e32 v40, v41, v42
	v_lshlrev_b32_e32 v40, 16, v40
	s_delay_alu instid0(VALU_DEP_1)
	v_or_b32_e32 v39, v39, v40
	s_cbranch_scc1 .LBB46_98
.LBB46_2:                               ; =>This Loop Header: Depth=1
                                        ;     Child Loop BB46_4 Depth 2
                                        ;     Child Loop BB46_20 Depth 2
	;; [unrolled: 1-line block ×6, first 2 shown]
	s_delay_alu instid0(VALU_DEP_1) | instskip(SKIP_3) | instid1(VALU_DEP_3)
	v_lshrrev_b32_e32 v35, 8, v39
	v_bfe_i32 v36, v39, 0, 8
	v_perm_b32 v37, v39, v39, 0x7060405
	s_barrier_signal -1
	v_bfe_i32 v35, v35, 0, 8
	s_barrier_wait -1
	global_inv scope:SCOPE_SE
	v_cmp_lt_i16_e64 s5, v35, v36
	s_wait_alu 0xf1ff
	s_delay_alu instid0(VALU_DEP_1) | instskip(NEXT) | instid1(VALU_DEP_1)
	v_cndmask_b32_e64 v37, v39, v37, s5
	v_lshrrev_b32_e32 v38, 16, v37
	v_lshrrev_b32_e32 v40, 24, v37
	s_delay_alu instid0(VALU_DEP_2) | instskip(NEXT) | instid1(VALU_DEP_2)
	v_perm_b32 v39, 0, v38, 0xc0c0001
	v_bfe_i32 v40, v40, 0, 8
	v_bfe_i32 v38, v38, 0, 8
	s_delay_alu instid0(VALU_DEP_3) | instskip(NEXT) | instid1(VALU_DEP_2)
	v_lshlrev_b32_e32 v39, 16, v39
	v_cmp_lt_i16_e64 s5, v40, v38
	v_min_i16 v41, v40, v38
	v_max_i16 v38, v40, v38
	s_delay_alu instid0(VALU_DEP_4) | instskip(NEXT) | instid1(VALU_DEP_3)
	v_and_or_b32 v39, 0xffff, v37, v39
	v_lshlrev_b16 v42, 8, v41
	s_wait_alu 0xf1ff
	s_delay_alu instid0(VALU_DEP_2) | instskip(SKIP_2) | instid1(VALU_DEP_3)
	v_cndmask_b32_e64 v37, v37, v39, s5
	v_max_i16 v39, v35, v36
	v_min_i16 v35, v35, v36
	v_and_b32_e32 v43, 0xff, v37
	s_delay_alu instid0(VALU_DEP_3)
	v_min_i16 v36, v41, v39
	v_perm_b32 v45, v39, v37, 0xc0c0304
	v_max_i16 v40, v41, v39
	v_cmp_lt_i16_e64 s5, v41, v39
	v_or_b32_e32 v42, v43, v42
	v_lshlrev_b16 v43, 8, v35
	v_and_b32_e32 v44, 0xff, v36
	v_cmp_gt_i16_e64 s6, v39, v38
	s_delay_alu instid0(VALU_DEP_4) | instskip(NEXT) | instid1(VALU_DEP_3)
	v_and_b32_e32 v42, 0xffff, v42
	v_or_b32_e32 v43, v44, v43
	v_and_b32_e32 v44, 0xff, v38
	s_wait_alu 0xf1ff
	v_cndmask_b32_e64 v38, v40, v38, s6
	v_lshl_or_b32 v42, v45, 16, v42
	v_lshlrev_b16 v45, 8, v40
	v_and_b32_e32 v43, 0xffff, v43
	s_delay_alu instid0(VALU_DEP_4) | instskip(NEXT) | instid1(VALU_DEP_4)
	v_lshlrev_b16 v40, 8, v38
	v_cndmask_b32_e64 v37, v37, v42, s5
	s_delay_alu instid0(VALU_DEP_4) | instskip(SKIP_1) | instid1(VALU_DEP_3)
	v_or_b32_e32 v42, v44, v45
	v_cmp_lt_i16_e64 s5, v41, v35
	v_and_or_b32 v43, 0xffff0000, v37, v43
	s_delay_alu instid0(VALU_DEP_3) | instskip(SKIP_1) | instid1(VALU_DEP_3)
	v_lshlrev_b32_e32 v42, 16, v42
	s_wait_alu 0xf1ff
	v_cndmask_b32_e64 v35, v36, v35, s5
	s_delay_alu instid0(VALU_DEP_3) | instskip(NEXT) | instid1(VALU_DEP_2)
	v_cndmask_b32_e64 v37, v37, v43, s5
	v_cmp_lt_i16_e64 s5, v38, v35
	s_delay_alu instid0(VALU_DEP_2) | instskip(NEXT) | instid1(VALU_DEP_1)
	v_and_or_b32 v41, 0xffff, v37, v42
	v_cndmask_b32_e64 v37, v37, v41, s6
	s_delay_alu instid0(VALU_DEP_1) | instskip(NEXT) | instid1(VALU_DEP_1)
	v_and_b32_e32 v39, 0xff, v37
	v_or_b32_e32 v36, v39, v40
	v_perm_b32 v39, v35, v37, 0xc0c0304
	s_delay_alu instid0(VALU_DEP_2) | instskip(NEXT) | instid1(VALU_DEP_1)
	v_dual_mov_b32 v35, v29 :: v_dual_and_b32 v36, 0xffff, v36
	v_lshl_or_b32 v36, v39, 16, v36
	s_wait_alu 0xf1ff
	s_delay_alu instid0(VALU_DEP_1)
	v_cndmask_b32_e64 v36, v37, v36, s5
	ds_store_b32 v1, v36
	s_wait_loadcnt_dscnt 0x0
	s_barrier_signal -1
	s_barrier_wait -1
	global_inv scope:SCOPE_SE
	s_and_saveexec_b32 s6, s0
	s_cbranch_execz .LBB46_6
; %bb.3:                                ;   in Loop: Header=BB46_2 Depth=1
	v_dual_mov_b32 v35, v29 :: v_dual_mov_b32 v36, v24
	s_mov_b32 s7, 0
.LBB46_4:                               ;   Parent Loop BB46_2 Depth=1
                                        ; =>  This Inner Loop Header: Depth=2
	s_delay_alu instid0(VALU_DEP_1) | instskip(NEXT) | instid1(VALU_DEP_1)
	v_sub_nc_u32_e32 v37, v36, v35
	v_lshrrev_b32_e32 v37, 1, v37
	s_delay_alu instid0(VALU_DEP_1) | instskip(NEXT) | instid1(VALU_DEP_1)
	v_add_nc_u32_e32 v37, v37, v35
	v_add_nc_u32_e32 v38, v2, v37
	v_xad_u32 v39, v37, -1, v19
	v_add_nc_u32_e32 v40, 1, v37
	ds_load_i8 v38, v38
	ds_load_i8 v39, v39
	s_wait_dscnt 0x0
	v_cmp_lt_i16_e64 s5, v39, v38
	s_wait_alu 0xf1ff
	s_delay_alu instid0(VALU_DEP_1) | instskip(SKIP_1) | instid1(VALU_DEP_1)
	v_cndmask_b32_e64 v36, v36, v37, s5
	v_cndmask_b32_e64 v35, v40, v35, s5
	v_cmp_ge_i32_e64 s5, v35, v36
	s_wait_alu 0xfffe
	s_or_b32 s7, s5, s7
	s_wait_alu 0xfffe
	s_and_not1_b32 exec_lo, exec_lo, s7
	s_cbranch_execnz .LBB46_4
; %bb.5:                                ;   in Loop: Header=BB46_2 Depth=1
	s_or_b32 exec_lo, exec_lo, s7
.LBB46_6:                               ;   in Loop: Header=BB46_2 Depth=1
	s_wait_alu 0xfffe
	s_or_b32 exec_lo, exec_lo, s6
	v_add_nc_u32_e32 v40, v35, v2
	v_sub_nc_u32_e32 v39, v19, v35
                                        ; implicit-def: $vgpr37
	ds_load_u8 v35, v40
	ds_load_u8 v36, v39
	v_cmp_le_i32_e64 s5, v9, v40
	v_cmp_gt_i32_e64 s7, v10, v39
	s_wait_dscnt 0x1
	v_bfe_i32 v35, v35, 0, 8
	s_wait_dscnt 0x0
	v_bfe_i32 v36, v36, 0, 8
	s_delay_alu instid0(VALU_DEP_1)
	v_cmp_lt_i16_e64 s6, v36, v35
	s_or_b32 s5, s5, s6
	s_wait_alu 0xfffe
	s_and_b32 s5, s7, s5
	s_wait_alu 0xfffe
	s_xor_b32 s6, s5, -1
	s_wait_alu 0xfffe
	s_and_saveexec_b32 s7, s6
	s_wait_alu 0xfffe
	s_xor_b32 s6, exec_lo, s7
; %bb.7:                                ;   in Loop: Header=BB46_2 Depth=1
	ds_load_u8 v37, v40 offset:1
; %bb.8:                                ;   in Loop: Header=BB46_2 Depth=1
	s_wait_alu 0xfffe
	s_or_saveexec_b32 s6, s6
	v_mov_b32_e32 v38, v36
	s_wait_alu 0xfffe
	s_xor_b32 exec_lo, exec_lo, s6
	s_cbranch_execz .LBB46_10
; %bb.9:                                ;   in Loop: Header=BB46_2 Depth=1
	ds_load_u8 v38, v39 offset:1
	s_wait_dscnt 0x1
	v_mov_b32_e32 v37, v35
.LBB46_10:                              ;   in Loop: Header=BB46_2 Depth=1
	s_or_b32 exec_lo, exec_lo, s6
	v_add_nc_u32_e32 v41, 1, v40
	v_add_nc_u32_e32 v43, 1, v39
	s_wait_dscnt 0x0
	v_bfe_i32 v44, v37, 0, 8
	s_delay_alu instid0(VALU_DEP_3) | instskip(SKIP_2) | instid1(VALU_DEP_3)
	v_cndmask_b32_e64 v42, v41, v40, s5
	v_bfe_i32 v40, v38, 0, 8
	v_cndmask_b32_e64 v41, v39, v43, s5
                                        ; implicit-def: $vgpr39
	v_cmp_ge_i32_e64 s6, v42, v9
	s_delay_alu instid0(VALU_DEP_3) | instskip(NEXT) | instid1(VALU_DEP_3)
	v_cmp_lt_i16_e64 s7, v40, v44
	v_cmp_lt_i32_e64 s8, v41, v10
	s_or_b32 s6, s6, s7
	s_wait_alu 0xfffe
	s_and_b32 s6, s8, s6
	s_wait_alu 0xfffe
	s_xor_b32 s7, s6, -1
	s_wait_alu 0xfffe
	s_and_saveexec_b32 s8, s7
	s_delay_alu instid0(SALU_CYCLE_1)
	s_xor_b32 s7, exec_lo, s8
; %bb.11:                               ;   in Loop: Header=BB46_2 Depth=1
	ds_load_u8 v39, v42 offset:1
; %bb.12:                               ;   in Loop: Header=BB46_2 Depth=1
	s_wait_alu 0xfffe
	s_or_saveexec_b32 s7, s7
	v_mov_b32_e32 v40, v38
	s_wait_alu 0xfffe
	s_xor_b32 exec_lo, exec_lo, s7
	s_cbranch_execz .LBB46_14
; %bb.13:                               ;   in Loop: Header=BB46_2 Depth=1
	ds_load_u8 v40, v41 offset:1
	s_wait_dscnt 0x1
	v_mov_b32_e32 v39, v37
.LBB46_14:                              ;   in Loop: Header=BB46_2 Depth=1
	s_or_b32 exec_lo, exec_lo, s7
	v_add_nc_u32_e32 v43, 1, v42
	v_add_nc_u32_e32 v44, 1, v41
	s_wait_dscnt 0x0
	v_bfe_i32 v45, v39, 0, 8
	v_bfe_i32 v46, v40, 0, 8
	v_cndmask_b32_e64 v43, v43, v42, s6
	v_cndmask_b32_e64 v42, v41, v44, s6
                                        ; implicit-def: $vgpr41
	s_delay_alu instid0(VALU_DEP_3) | instskip(NEXT) | instid1(VALU_DEP_3)
	v_cmp_lt_i16_e64 s8, v46, v45
	v_cmp_ge_i32_e64 s7, v43, v9
	s_delay_alu instid0(VALU_DEP_3)
	v_cmp_lt_i32_e64 s9, v42, v10
	s_or_b32 s7, s7, s8
	s_wait_alu 0xfffe
	s_and_b32 s7, s9, s7
	s_wait_alu 0xfffe
	s_xor_b32 s8, s7, -1
	s_delay_alu instid0(SALU_CYCLE_1) | instskip(NEXT) | instid1(SALU_CYCLE_1)
	s_and_saveexec_b32 s9, s8
	s_xor_b32 s8, exec_lo, s9
; %bb.15:                               ;   in Loop: Header=BB46_2 Depth=1
	ds_load_u8 v41, v43 offset:1
; %bb.16:                               ;   in Loop: Header=BB46_2 Depth=1
	s_or_saveexec_b32 s8, s8
	v_mov_b32_e32 v44, v40
	s_xor_b32 exec_lo, exec_lo, s8
	s_cbranch_execz .LBB46_18
; %bb.17:                               ;   in Loop: Header=BB46_2 Depth=1
	ds_load_u8 v44, v42 offset:1
	s_wait_dscnt 0x1
	v_mov_b32_e32 v41, v39
.LBB46_18:                              ;   in Loop: Header=BB46_2 Depth=1
	s_or_b32 exec_lo, exec_lo, s8
	v_add_nc_u32_e32 v45, 1, v43
	v_add_nc_u32_e32 v46, 1, v42
	s_wait_dscnt 0x0
	v_bfe_i32 v47, v41, 0, 8
	v_bfe_i32 v48, v44, 0, 8
	v_cndmask_b32_e64 v39, v39, v40, s7
	v_cndmask_b32_e64 v43, v45, v43, s7
	;; [unrolled: 1-line block ×4, first 2 shown]
	v_cmp_lt_i16_e64 s6, v48, v47
	v_cndmask_b32_e64 v35, v35, v36, s5
	v_cmp_ge_i32_e64 s7, v43, v9
	v_cmp_lt_i32_e64 s5, v40, v10
	s_wait_loadcnt 0x0
	s_barrier_signal -1
	s_barrier_wait -1
	s_or_b32 s6, s7, s6
	global_inv scope:SCOPE_SE
	s_wait_alu 0xfffe
	s_and_b32 s5, s5, s6
	s_wait_alu 0xfffe
	v_cndmask_b32_e64 v36, v41, v44, s5
	ds_store_b8 v1, v35
	ds_store_b8 v1, v37 offset:1
	ds_store_b8 v1, v39 offset:2
	;; [unrolled: 1-line block ×3, first 2 shown]
	v_mov_b32_e32 v35, v30
	s_wait_loadcnt_dscnt 0x0
	s_barrier_signal -1
	s_barrier_wait -1
	global_inv scope:SCOPE_SE
	s_and_saveexec_b32 s6, s1
	s_cbranch_execz .LBB46_22
; %bb.19:                               ;   in Loop: Header=BB46_2 Depth=1
	v_dual_mov_b32 v35, v30 :: v_dual_mov_b32 v36, v25
	s_mov_b32 s7, 0
.LBB46_20:                              ;   Parent Loop BB46_2 Depth=1
                                        ; =>  This Inner Loop Header: Depth=2
	s_delay_alu instid0(VALU_DEP_1) | instskip(NEXT) | instid1(VALU_DEP_1)
	v_sub_nc_u32_e32 v37, v36, v35
	v_lshrrev_b32_e32 v37, 1, v37
	s_delay_alu instid0(VALU_DEP_1) | instskip(NEXT) | instid1(VALU_DEP_1)
	v_add_nc_u32_e32 v37, v37, v35
	v_add_nc_u32_e32 v38, v3, v37
	v_xad_u32 v39, v37, -1, v20
	v_add_nc_u32_e32 v40, 1, v37
	ds_load_i8 v38, v38
	ds_load_i8 v39, v39
	s_wait_dscnt 0x0
	v_cmp_lt_i16_e64 s5, v39, v38
	s_wait_alu 0xf1ff
	s_delay_alu instid0(VALU_DEP_1) | instskip(SKIP_1) | instid1(VALU_DEP_1)
	v_cndmask_b32_e64 v36, v36, v37, s5
	v_cndmask_b32_e64 v35, v40, v35, s5
	v_cmp_ge_i32_e64 s5, v35, v36
	s_wait_alu 0xfffe
	s_or_b32 s7, s5, s7
	s_wait_alu 0xfffe
	s_and_not1_b32 exec_lo, exec_lo, s7
	s_cbranch_execnz .LBB46_20
; %bb.21:                               ;   in Loop: Header=BB46_2 Depth=1
	s_or_b32 exec_lo, exec_lo, s7
.LBB46_22:                              ;   in Loop: Header=BB46_2 Depth=1
	s_wait_alu 0xfffe
	s_or_b32 exec_lo, exec_lo, s6
	v_add_nc_u32_e32 v40, v35, v3
	v_sub_nc_u32_e32 v39, v20, v35
                                        ; implicit-def: $vgpr37
	ds_load_u8 v35, v40
	ds_load_u8 v36, v39
	v_cmp_le_i32_e64 s5, v11, v40
	v_cmp_gt_i32_e64 s7, v12, v39
	s_wait_dscnt 0x1
	v_bfe_i32 v35, v35, 0, 8
	s_wait_dscnt 0x0
	v_bfe_i32 v36, v36, 0, 8
	s_delay_alu instid0(VALU_DEP_1)
	v_cmp_lt_i16_e64 s6, v36, v35
	s_or_b32 s5, s5, s6
	s_wait_alu 0xfffe
	s_and_b32 s5, s7, s5
	s_wait_alu 0xfffe
	s_xor_b32 s6, s5, -1
	s_wait_alu 0xfffe
	s_and_saveexec_b32 s7, s6
	s_wait_alu 0xfffe
	s_xor_b32 s6, exec_lo, s7
; %bb.23:                               ;   in Loop: Header=BB46_2 Depth=1
	ds_load_u8 v37, v40 offset:1
; %bb.24:                               ;   in Loop: Header=BB46_2 Depth=1
	s_wait_alu 0xfffe
	s_or_saveexec_b32 s6, s6
	v_mov_b32_e32 v38, v36
	s_wait_alu 0xfffe
	s_xor_b32 exec_lo, exec_lo, s6
	s_cbranch_execz .LBB46_26
; %bb.25:                               ;   in Loop: Header=BB46_2 Depth=1
	ds_load_u8 v38, v39 offset:1
	s_wait_dscnt 0x1
	v_mov_b32_e32 v37, v35
.LBB46_26:                              ;   in Loop: Header=BB46_2 Depth=1
	s_or_b32 exec_lo, exec_lo, s6
	v_add_nc_u32_e32 v41, 1, v40
	v_add_nc_u32_e32 v43, 1, v39
	s_wait_dscnt 0x0
	v_bfe_i32 v44, v37, 0, 8
	s_delay_alu instid0(VALU_DEP_3) | instskip(SKIP_2) | instid1(VALU_DEP_3)
	v_cndmask_b32_e64 v42, v41, v40, s5
	v_bfe_i32 v40, v38, 0, 8
	v_cndmask_b32_e64 v41, v39, v43, s5
                                        ; implicit-def: $vgpr39
	v_cmp_ge_i32_e64 s6, v42, v11
	s_delay_alu instid0(VALU_DEP_3) | instskip(NEXT) | instid1(VALU_DEP_3)
	v_cmp_lt_i16_e64 s7, v40, v44
	v_cmp_lt_i32_e64 s8, v41, v12
	s_or_b32 s6, s6, s7
	s_wait_alu 0xfffe
	s_and_b32 s6, s8, s6
	s_wait_alu 0xfffe
	s_xor_b32 s7, s6, -1
	s_wait_alu 0xfffe
	s_and_saveexec_b32 s8, s7
	s_delay_alu instid0(SALU_CYCLE_1)
	s_xor_b32 s7, exec_lo, s8
; %bb.27:                               ;   in Loop: Header=BB46_2 Depth=1
	ds_load_u8 v39, v42 offset:1
; %bb.28:                               ;   in Loop: Header=BB46_2 Depth=1
	s_wait_alu 0xfffe
	s_or_saveexec_b32 s7, s7
	v_mov_b32_e32 v40, v38
	s_wait_alu 0xfffe
	s_xor_b32 exec_lo, exec_lo, s7
	s_cbranch_execz .LBB46_30
; %bb.29:                               ;   in Loop: Header=BB46_2 Depth=1
	ds_load_u8 v40, v41 offset:1
	s_wait_dscnt 0x1
	v_mov_b32_e32 v39, v37
.LBB46_30:                              ;   in Loop: Header=BB46_2 Depth=1
	s_or_b32 exec_lo, exec_lo, s7
	v_add_nc_u32_e32 v43, 1, v42
	v_add_nc_u32_e32 v44, 1, v41
	s_wait_dscnt 0x0
	v_bfe_i32 v45, v39, 0, 8
	v_bfe_i32 v46, v40, 0, 8
	v_cndmask_b32_e64 v43, v43, v42, s6
	v_cndmask_b32_e64 v42, v41, v44, s6
                                        ; implicit-def: $vgpr41
	s_delay_alu instid0(VALU_DEP_3) | instskip(NEXT) | instid1(VALU_DEP_3)
	v_cmp_lt_i16_e64 s8, v46, v45
	v_cmp_ge_i32_e64 s7, v43, v11
	s_delay_alu instid0(VALU_DEP_3)
	v_cmp_lt_i32_e64 s9, v42, v12
	s_or_b32 s7, s7, s8
	s_wait_alu 0xfffe
	s_and_b32 s7, s9, s7
	s_wait_alu 0xfffe
	s_xor_b32 s8, s7, -1
	s_delay_alu instid0(SALU_CYCLE_1) | instskip(NEXT) | instid1(SALU_CYCLE_1)
	s_and_saveexec_b32 s9, s8
	s_xor_b32 s8, exec_lo, s9
; %bb.31:                               ;   in Loop: Header=BB46_2 Depth=1
	ds_load_u8 v41, v43 offset:1
; %bb.32:                               ;   in Loop: Header=BB46_2 Depth=1
	s_or_saveexec_b32 s8, s8
	v_mov_b32_e32 v44, v40
	s_xor_b32 exec_lo, exec_lo, s8
	s_cbranch_execz .LBB46_34
; %bb.33:                               ;   in Loop: Header=BB46_2 Depth=1
	ds_load_u8 v44, v42 offset:1
	s_wait_dscnt 0x1
	v_mov_b32_e32 v41, v39
.LBB46_34:                              ;   in Loop: Header=BB46_2 Depth=1
	s_or_b32 exec_lo, exec_lo, s8
	v_add_nc_u32_e32 v45, 1, v43
	v_add_nc_u32_e32 v46, 1, v42
	s_wait_dscnt 0x0
	v_bfe_i32 v47, v41, 0, 8
	v_bfe_i32 v48, v44, 0, 8
	v_cndmask_b32_e64 v39, v39, v40, s7
	v_cndmask_b32_e64 v43, v45, v43, s7
	;; [unrolled: 1-line block ×4, first 2 shown]
	v_cmp_lt_i16_e64 s6, v48, v47
	v_cndmask_b32_e64 v35, v35, v36, s5
	v_cmp_ge_i32_e64 s7, v43, v11
	v_cmp_lt_i32_e64 s5, v40, v12
	s_wait_loadcnt 0x0
	s_barrier_signal -1
	s_barrier_wait -1
	s_or_b32 s6, s7, s6
	global_inv scope:SCOPE_SE
	s_wait_alu 0xfffe
	s_and_b32 s5, s5, s6
	s_wait_alu 0xfffe
	v_cndmask_b32_e64 v36, v41, v44, s5
	ds_store_b8 v1, v35
	ds_store_b8 v1, v37 offset:1
	ds_store_b8 v1, v39 offset:2
	;; [unrolled: 1-line block ×3, first 2 shown]
	v_mov_b32_e32 v35, v31
	s_wait_loadcnt_dscnt 0x0
	s_barrier_signal -1
	s_barrier_wait -1
	global_inv scope:SCOPE_SE
	s_and_saveexec_b32 s6, s2
	s_cbranch_execz .LBB46_38
; %bb.35:                               ;   in Loop: Header=BB46_2 Depth=1
	v_dual_mov_b32 v35, v31 :: v_dual_mov_b32 v36, v26
	s_mov_b32 s7, 0
.LBB46_36:                              ;   Parent Loop BB46_2 Depth=1
                                        ; =>  This Inner Loop Header: Depth=2
	s_delay_alu instid0(VALU_DEP_1) | instskip(NEXT) | instid1(VALU_DEP_1)
	v_sub_nc_u32_e32 v37, v36, v35
	v_lshrrev_b32_e32 v37, 1, v37
	s_delay_alu instid0(VALU_DEP_1) | instskip(NEXT) | instid1(VALU_DEP_1)
	v_add_nc_u32_e32 v37, v37, v35
	v_add_nc_u32_e32 v38, v4, v37
	v_xad_u32 v39, v37, -1, v21
	v_add_nc_u32_e32 v40, 1, v37
	ds_load_i8 v38, v38
	ds_load_i8 v39, v39
	s_wait_dscnt 0x0
	v_cmp_lt_i16_e64 s5, v39, v38
	s_wait_alu 0xf1ff
	s_delay_alu instid0(VALU_DEP_1) | instskip(SKIP_1) | instid1(VALU_DEP_1)
	v_cndmask_b32_e64 v36, v36, v37, s5
	v_cndmask_b32_e64 v35, v40, v35, s5
	v_cmp_ge_i32_e64 s5, v35, v36
	s_wait_alu 0xfffe
	s_or_b32 s7, s5, s7
	s_wait_alu 0xfffe
	s_and_not1_b32 exec_lo, exec_lo, s7
	s_cbranch_execnz .LBB46_36
; %bb.37:                               ;   in Loop: Header=BB46_2 Depth=1
	s_or_b32 exec_lo, exec_lo, s7
.LBB46_38:                              ;   in Loop: Header=BB46_2 Depth=1
	s_wait_alu 0xfffe
	s_or_b32 exec_lo, exec_lo, s6
	v_add_nc_u32_e32 v40, v35, v4
	v_sub_nc_u32_e32 v39, v21, v35
                                        ; implicit-def: $vgpr37
	ds_load_u8 v35, v40
	ds_load_u8 v36, v39
	v_cmp_le_i32_e64 s5, v13, v40
	v_cmp_gt_i32_e64 s7, v14, v39
	s_wait_dscnt 0x1
	v_bfe_i32 v35, v35, 0, 8
	s_wait_dscnt 0x0
	v_bfe_i32 v36, v36, 0, 8
	s_delay_alu instid0(VALU_DEP_1)
	v_cmp_lt_i16_e64 s6, v36, v35
	s_or_b32 s5, s5, s6
	s_wait_alu 0xfffe
	s_and_b32 s5, s7, s5
	s_wait_alu 0xfffe
	s_xor_b32 s6, s5, -1
	s_wait_alu 0xfffe
	s_and_saveexec_b32 s7, s6
	s_wait_alu 0xfffe
	s_xor_b32 s6, exec_lo, s7
; %bb.39:                               ;   in Loop: Header=BB46_2 Depth=1
	ds_load_u8 v37, v40 offset:1
; %bb.40:                               ;   in Loop: Header=BB46_2 Depth=1
	s_wait_alu 0xfffe
	s_or_saveexec_b32 s6, s6
	v_mov_b32_e32 v38, v36
	s_wait_alu 0xfffe
	s_xor_b32 exec_lo, exec_lo, s6
	s_cbranch_execz .LBB46_42
; %bb.41:                               ;   in Loop: Header=BB46_2 Depth=1
	ds_load_u8 v38, v39 offset:1
	s_wait_dscnt 0x1
	v_mov_b32_e32 v37, v35
.LBB46_42:                              ;   in Loop: Header=BB46_2 Depth=1
	s_or_b32 exec_lo, exec_lo, s6
	v_add_nc_u32_e32 v41, 1, v40
	v_add_nc_u32_e32 v43, 1, v39
	s_wait_dscnt 0x0
	v_bfe_i32 v44, v37, 0, 8
	s_delay_alu instid0(VALU_DEP_3) | instskip(SKIP_2) | instid1(VALU_DEP_3)
	v_cndmask_b32_e64 v42, v41, v40, s5
	v_bfe_i32 v40, v38, 0, 8
	v_cndmask_b32_e64 v41, v39, v43, s5
                                        ; implicit-def: $vgpr39
	v_cmp_ge_i32_e64 s6, v42, v13
	s_delay_alu instid0(VALU_DEP_3) | instskip(NEXT) | instid1(VALU_DEP_3)
	v_cmp_lt_i16_e64 s7, v40, v44
	v_cmp_lt_i32_e64 s8, v41, v14
	s_or_b32 s6, s6, s7
	s_wait_alu 0xfffe
	s_and_b32 s6, s8, s6
	s_wait_alu 0xfffe
	s_xor_b32 s7, s6, -1
	s_wait_alu 0xfffe
	s_and_saveexec_b32 s8, s7
	s_delay_alu instid0(SALU_CYCLE_1)
	s_xor_b32 s7, exec_lo, s8
; %bb.43:                               ;   in Loop: Header=BB46_2 Depth=1
	ds_load_u8 v39, v42 offset:1
; %bb.44:                               ;   in Loop: Header=BB46_2 Depth=1
	s_wait_alu 0xfffe
	s_or_saveexec_b32 s7, s7
	v_mov_b32_e32 v40, v38
	s_wait_alu 0xfffe
	s_xor_b32 exec_lo, exec_lo, s7
	s_cbranch_execz .LBB46_46
; %bb.45:                               ;   in Loop: Header=BB46_2 Depth=1
	ds_load_u8 v40, v41 offset:1
	s_wait_dscnt 0x1
	v_mov_b32_e32 v39, v37
.LBB46_46:                              ;   in Loop: Header=BB46_2 Depth=1
	s_or_b32 exec_lo, exec_lo, s7
	v_add_nc_u32_e32 v43, 1, v42
	v_add_nc_u32_e32 v44, 1, v41
	s_wait_dscnt 0x0
	v_bfe_i32 v45, v39, 0, 8
	v_bfe_i32 v46, v40, 0, 8
	v_cndmask_b32_e64 v43, v43, v42, s6
	v_cndmask_b32_e64 v42, v41, v44, s6
                                        ; implicit-def: $vgpr41
	s_delay_alu instid0(VALU_DEP_3) | instskip(NEXT) | instid1(VALU_DEP_3)
	v_cmp_lt_i16_e64 s8, v46, v45
	v_cmp_ge_i32_e64 s7, v43, v13
	s_delay_alu instid0(VALU_DEP_3)
	v_cmp_lt_i32_e64 s9, v42, v14
	s_or_b32 s7, s7, s8
	s_wait_alu 0xfffe
	s_and_b32 s7, s9, s7
	s_wait_alu 0xfffe
	s_xor_b32 s8, s7, -1
	s_delay_alu instid0(SALU_CYCLE_1) | instskip(NEXT) | instid1(SALU_CYCLE_1)
	s_and_saveexec_b32 s9, s8
	s_xor_b32 s8, exec_lo, s9
; %bb.47:                               ;   in Loop: Header=BB46_2 Depth=1
	ds_load_u8 v41, v43 offset:1
; %bb.48:                               ;   in Loop: Header=BB46_2 Depth=1
	s_or_saveexec_b32 s8, s8
	v_mov_b32_e32 v44, v40
	s_xor_b32 exec_lo, exec_lo, s8
	s_cbranch_execz .LBB46_50
; %bb.49:                               ;   in Loop: Header=BB46_2 Depth=1
	ds_load_u8 v44, v42 offset:1
	s_wait_dscnt 0x1
	v_mov_b32_e32 v41, v39
.LBB46_50:                              ;   in Loop: Header=BB46_2 Depth=1
	s_or_b32 exec_lo, exec_lo, s8
	v_add_nc_u32_e32 v45, 1, v43
	v_add_nc_u32_e32 v46, 1, v42
	s_wait_dscnt 0x0
	v_bfe_i32 v47, v41, 0, 8
	v_bfe_i32 v48, v44, 0, 8
	v_cndmask_b32_e64 v39, v39, v40, s7
	v_cndmask_b32_e64 v43, v45, v43, s7
	;; [unrolled: 1-line block ×4, first 2 shown]
	v_cmp_lt_i16_e64 s6, v48, v47
	v_cndmask_b32_e64 v35, v35, v36, s5
	v_cmp_ge_i32_e64 s7, v43, v13
	v_cmp_lt_i32_e64 s5, v40, v14
	s_wait_loadcnt 0x0
	s_barrier_signal -1
	s_barrier_wait -1
	s_or_b32 s6, s7, s6
	global_inv scope:SCOPE_SE
	s_wait_alu 0xfffe
	s_and_b32 s5, s5, s6
	s_wait_alu 0xfffe
	v_cndmask_b32_e64 v36, v41, v44, s5
	ds_store_b8 v1, v35
	ds_store_b8 v1, v37 offset:1
	ds_store_b8 v1, v39 offset:2
	;; [unrolled: 1-line block ×3, first 2 shown]
	v_mov_b32_e32 v35, v32
	s_wait_loadcnt_dscnt 0x0
	s_barrier_signal -1
	s_barrier_wait -1
	global_inv scope:SCOPE_SE
	s_and_saveexec_b32 s6, s3
	s_cbranch_execz .LBB46_54
; %bb.51:                               ;   in Loop: Header=BB46_2 Depth=1
	v_dual_mov_b32 v35, v32 :: v_dual_mov_b32 v36, v27
	s_mov_b32 s7, 0
.LBB46_52:                              ;   Parent Loop BB46_2 Depth=1
                                        ; =>  This Inner Loop Header: Depth=2
	s_delay_alu instid0(VALU_DEP_1) | instskip(NEXT) | instid1(VALU_DEP_1)
	v_sub_nc_u32_e32 v37, v36, v35
	v_lshrrev_b32_e32 v37, 1, v37
	s_delay_alu instid0(VALU_DEP_1) | instskip(NEXT) | instid1(VALU_DEP_1)
	v_add_nc_u32_e32 v37, v37, v35
	v_add_nc_u32_e32 v38, v5, v37
	v_xad_u32 v39, v37, -1, v22
	v_add_nc_u32_e32 v40, 1, v37
	ds_load_i8 v38, v38
	ds_load_i8 v39, v39
	s_wait_dscnt 0x0
	v_cmp_lt_i16_e64 s5, v39, v38
	s_wait_alu 0xf1ff
	s_delay_alu instid0(VALU_DEP_1) | instskip(SKIP_1) | instid1(VALU_DEP_1)
	v_cndmask_b32_e64 v36, v36, v37, s5
	v_cndmask_b32_e64 v35, v40, v35, s5
	v_cmp_ge_i32_e64 s5, v35, v36
	s_wait_alu 0xfffe
	s_or_b32 s7, s5, s7
	s_wait_alu 0xfffe
	s_and_not1_b32 exec_lo, exec_lo, s7
	s_cbranch_execnz .LBB46_52
; %bb.53:                               ;   in Loop: Header=BB46_2 Depth=1
	s_or_b32 exec_lo, exec_lo, s7
.LBB46_54:                              ;   in Loop: Header=BB46_2 Depth=1
	s_wait_alu 0xfffe
	s_or_b32 exec_lo, exec_lo, s6
	v_add_nc_u32_e32 v40, v35, v5
	v_sub_nc_u32_e32 v39, v22, v35
                                        ; implicit-def: $vgpr37
	ds_load_u8 v35, v40
	ds_load_u8 v36, v39
	v_cmp_le_i32_e64 s5, v15, v40
	v_cmp_gt_i32_e64 s7, v16, v39
	s_wait_dscnt 0x1
	v_bfe_i32 v35, v35, 0, 8
	s_wait_dscnt 0x0
	v_bfe_i32 v36, v36, 0, 8
	s_delay_alu instid0(VALU_DEP_1)
	v_cmp_lt_i16_e64 s6, v36, v35
	s_or_b32 s5, s5, s6
	s_wait_alu 0xfffe
	s_and_b32 s5, s7, s5
	s_wait_alu 0xfffe
	s_xor_b32 s6, s5, -1
	s_wait_alu 0xfffe
	s_and_saveexec_b32 s7, s6
	s_wait_alu 0xfffe
	s_xor_b32 s6, exec_lo, s7
; %bb.55:                               ;   in Loop: Header=BB46_2 Depth=1
	ds_load_u8 v37, v40 offset:1
; %bb.56:                               ;   in Loop: Header=BB46_2 Depth=1
	s_wait_alu 0xfffe
	s_or_saveexec_b32 s6, s6
	v_mov_b32_e32 v38, v36
	s_wait_alu 0xfffe
	s_xor_b32 exec_lo, exec_lo, s6
	s_cbranch_execz .LBB46_58
; %bb.57:                               ;   in Loop: Header=BB46_2 Depth=1
	ds_load_u8 v38, v39 offset:1
	s_wait_dscnt 0x1
	v_mov_b32_e32 v37, v35
.LBB46_58:                              ;   in Loop: Header=BB46_2 Depth=1
	s_or_b32 exec_lo, exec_lo, s6
	v_add_nc_u32_e32 v41, 1, v40
	v_add_nc_u32_e32 v43, 1, v39
	s_wait_dscnt 0x0
	v_bfe_i32 v44, v37, 0, 8
	s_delay_alu instid0(VALU_DEP_3) | instskip(SKIP_2) | instid1(VALU_DEP_3)
	v_cndmask_b32_e64 v42, v41, v40, s5
	v_bfe_i32 v40, v38, 0, 8
	v_cndmask_b32_e64 v41, v39, v43, s5
                                        ; implicit-def: $vgpr39
	v_cmp_ge_i32_e64 s6, v42, v15
	s_delay_alu instid0(VALU_DEP_3) | instskip(NEXT) | instid1(VALU_DEP_3)
	v_cmp_lt_i16_e64 s7, v40, v44
	v_cmp_lt_i32_e64 s8, v41, v16
	s_or_b32 s6, s6, s7
	s_wait_alu 0xfffe
	s_and_b32 s6, s8, s6
	s_wait_alu 0xfffe
	s_xor_b32 s7, s6, -1
	s_wait_alu 0xfffe
	s_and_saveexec_b32 s8, s7
	s_delay_alu instid0(SALU_CYCLE_1)
	s_xor_b32 s7, exec_lo, s8
; %bb.59:                               ;   in Loop: Header=BB46_2 Depth=1
	ds_load_u8 v39, v42 offset:1
; %bb.60:                               ;   in Loop: Header=BB46_2 Depth=1
	s_wait_alu 0xfffe
	s_or_saveexec_b32 s7, s7
	v_mov_b32_e32 v40, v38
	s_wait_alu 0xfffe
	s_xor_b32 exec_lo, exec_lo, s7
	s_cbranch_execz .LBB46_62
; %bb.61:                               ;   in Loop: Header=BB46_2 Depth=1
	ds_load_u8 v40, v41 offset:1
	s_wait_dscnt 0x1
	v_mov_b32_e32 v39, v37
.LBB46_62:                              ;   in Loop: Header=BB46_2 Depth=1
	s_or_b32 exec_lo, exec_lo, s7
	v_add_nc_u32_e32 v43, 1, v42
	v_add_nc_u32_e32 v44, 1, v41
	s_wait_dscnt 0x0
	v_bfe_i32 v45, v39, 0, 8
	v_bfe_i32 v46, v40, 0, 8
	v_cndmask_b32_e64 v43, v43, v42, s6
	v_cndmask_b32_e64 v42, v41, v44, s6
                                        ; implicit-def: $vgpr41
	s_delay_alu instid0(VALU_DEP_3) | instskip(NEXT) | instid1(VALU_DEP_3)
	v_cmp_lt_i16_e64 s8, v46, v45
	v_cmp_ge_i32_e64 s7, v43, v15
	s_delay_alu instid0(VALU_DEP_3)
	v_cmp_lt_i32_e64 s9, v42, v16
	s_or_b32 s7, s7, s8
	s_wait_alu 0xfffe
	s_and_b32 s7, s9, s7
	s_wait_alu 0xfffe
	s_xor_b32 s8, s7, -1
	s_delay_alu instid0(SALU_CYCLE_1) | instskip(NEXT) | instid1(SALU_CYCLE_1)
	s_and_saveexec_b32 s9, s8
	s_xor_b32 s8, exec_lo, s9
; %bb.63:                               ;   in Loop: Header=BB46_2 Depth=1
	ds_load_u8 v41, v43 offset:1
; %bb.64:                               ;   in Loop: Header=BB46_2 Depth=1
	s_or_saveexec_b32 s8, s8
	v_mov_b32_e32 v44, v40
	s_xor_b32 exec_lo, exec_lo, s8
	s_cbranch_execz .LBB46_66
; %bb.65:                               ;   in Loop: Header=BB46_2 Depth=1
	ds_load_u8 v44, v42 offset:1
	s_wait_dscnt 0x1
	v_mov_b32_e32 v41, v39
.LBB46_66:                              ;   in Loop: Header=BB46_2 Depth=1
	s_or_b32 exec_lo, exec_lo, s8
	v_add_nc_u32_e32 v45, 1, v43
	v_add_nc_u32_e32 v46, 1, v42
	s_wait_dscnt 0x0
	v_bfe_i32 v47, v41, 0, 8
	v_bfe_i32 v48, v44, 0, 8
	v_cndmask_b32_e64 v39, v39, v40, s7
	v_cndmask_b32_e64 v43, v45, v43, s7
	;; [unrolled: 1-line block ×4, first 2 shown]
	v_cmp_lt_i16_e64 s6, v48, v47
	v_cndmask_b32_e64 v35, v35, v36, s5
	v_cmp_ge_i32_e64 s7, v43, v15
	v_cmp_lt_i32_e64 s5, v40, v16
	s_wait_loadcnt 0x0
	s_barrier_signal -1
	s_barrier_wait -1
	s_or_b32 s6, s7, s6
	global_inv scope:SCOPE_SE
	s_wait_alu 0xfffe
	s_and_b32 s5, s5, s6
	s_wait_alu 0xfffe
	v_cndmask_b32_e64 v36, v41, v44, s5
	ds_store_b8 v1, v35
	ds_store_b8 v1, v37 offset:1
	ds_store_b8 v1, v39 offset:2
	;; [unrolled: 1-line block ×3, first 2 shown]
	v_mov_b32_e32 v35, v33
	s_wait_loadcnt_dscnt 0x0
	s_barrier_signal -1
	s_barrier_wait -1
	global_inv scope:SCOPE_SE
	s_and_saveexec_b32 s6, s4
	s_cbranch_execz .LBB46_70
; %bb.67:                               ;   in Loop: Header=BB46_2 Depth=1
	v_dual_mov_b32 v35, v33 :: v_dual_mov_b32 v36, v28
	s_mov_b32 s7, 0
.LBB46_68:                              ;   Parent Loop BB46_2 Depth=1
                                        ; =>  This Inner Loop Header: Depth=2
	s_delay_alu instid0(VALU_DEP_1) | instskip(NEXT) | instid1(VALU_DEP_1)
	v_sub_nc_u32_e32 v37, v36, v35
	v_lshrrev_b32_e32 v37, 1, v37
	s_delay_alu instid0(VALU_DEP_1) | instskip(NEXT) | instid1(VALU_DEP_1)
	v_add_nc_u32_e32 v37, v37, v35
	v_add_nc_u32_e32 v38, v6, v37
	v_xad_u32 v39, v37, -1, v23
	v_add_nc_u32_e32 v40, 1, v37
	ds_load_i8 v38, v38
	ds_load_i8 v39, v39
	s_wait_dscnt 0x0
	v_cmp_lt_i16_e64 s5, v39, v38
	s_wait_alu 0xf1ff
	s_delay_alu instid0(VALU_DEP_1) | instskip(SKIP_1) | instid1(VALU_DEP_1)
	v_cndmask_b32_e64 v36, v36, v37, s5
	v_cndmask_b32_e64 v35, v40, v35, s5
	v_cmp_ge_i32_e64 s5, v35, v36
	s_wait_alu 0xfffe
	s_or_b32 s7, s5, s7
	s_wait_alu 0xfffe
	s_and_not1_b32 exec_lo, exec_lo, s7
	s_cbranch_execnz .LBB46_68
; %bb.69:                               ;   in Loop: Header=BB46_2 Depth=1
	s_or_b32 exec_lo, exec_lo, s7
.LBB46_70:                              ;   in Loop: Header=BB46_2 Depth=1
	s_wait_alu 0xfffe
	s_or_b32 exec_lo, exec_lo, s6
	v_add_nc_u32_e32 v40, v35, v6
	v_sub_nc_u32_e32 v39, v23, v35
                                        ; implicit-def: $vgpr37
	ds_load_u8 v35, v40
	ds_load_u8 v36, v39
	v_cmp_le_i32_e64 s5, v17, v40
	v_cmp_gt_i32_e64 s7, v18, v39
	s_wait_dscnt 0x1
	v_bfe_i32 v35, v35, 0, 8
	s_wait_dscnt 0x0
	v_bfe_i32 v36, v36, 0, 8
	s_delay_alu instid0(VALU_DEP_1)
	v_cmp_lt_i16_e64 s6, v36, v35
	s_or_b32 s5, s5, s6
	s_wait_alu 0xfffe
	s_and_b32 s5, s7, s5
	s_wait_alu 0xfffe
	s_xor_b32 s6, s5, -1
	s_wait_alu 0xfffe
	s_and_saveexec_b32 s7, s6
	s_wait_alu 0xfffe
	s_xor_b32 s6, exec_lo, s7
; %bb.71:                               ;   in Loop: Header=BB46_2 Depth=1
	ds_load_u8 v37, v40 offset:1
; %bb.72:                               ;   in Loop: Header=BB46_2 Depth=1
	s_wait_alu 0xfffe
	s_or_saveexec_b32 s6, s6
	v_mov_b32_e32 v38, v36
	s_wait_alu 0xfffe
	s_xor_b32 exec_lo, exec_lo, s6
	s_cbranch_execz .LBB46_74
; %bb.73:                               ;   in Loop: Header=BB46_2 Depth=1
	ds_load_u8 v38, v39 offset:1
	s_wait_dscnt 0x1
	v_mov_b32_e32 v37, v35
.LBB46_74:                              ;   in Loop: Header=BB46_2 Depth=1
	s_or_b32 exec_lo, exec_lo, s6
	v_add_nc_u32_e32 v41, 1, v40
	v_add_nc_u32_e32 v43, 1, v39
	s_wait_dscnt 0x0
	v_bfe_i32 v44, v37, 0, 8
	s_delay_alu instid0(VALU_DEP_3) | instskip(SKIP_2) | instid1(VALU_DEP_3)
	v_cndmask_b32_e64 v42, v41, v40, s5
	v_bfe_i32 v40, v38, 0, 8
	v_cndmask_b32_e64 v41, v39, v43, s5
                                        ; implicit-def: $vgpr39
	v_cmp_ge_i32_e64 s6, v42, v17
	s_delay_alu instid0(VALU_DEP_3) | instskip(NEXT) | instid1(VALU_DEP_3)
	v_cmp_lt_i16_e64 s7, v40, v44
	v_cmp_lt_i32_e64 s8, v41, v18
	s_or_b32 s6, s6, s7
	s_wait_alu 0xfffe
	s_and_b32 s6, s8, s6
	s_wait_alu 0xfffe
	s_xor_b32 s7, s6, -1
	s_wait_alu 0xfffe
	s_and_saveexec_b32 s8, s7
	s_delay_alu instid0(SALU_CYCLE_1)
	s_xor_b32 s7, exec_lo, s8
; %bb.75:                               ;   in Loop: Header=BB46_2 Depth=1
	ds_load_u8 v39, v42 offset:1
; %bb.76:                               ;   in Loop: Header=BB46_2 Depth=1
	s_wait_alu 0xfffe
	s_or_saveexec_b32 s7, s7
	v_mov_b32_e32 v40, v38
	s_wait_alu 0xfffe
	s_xor_b32 exec_lo, exec_lo, s7
	s_cbranch_execz .LBB46_78
; %bb.77:                               ;   in Loop: Header=BB46_2 Depth=1
	ds_load_u8 v40, v41 offset:1
	s_wait_dscnt 0x1
	v_mov_b32_e32 v39, v37
.LBB46_78:                              ;   in Loop: Header=BB46_2 Depth=1
	s_or_b32 exec_lo, exec_lo, s7
	v_add_nc_u32_e32 v43, 1, v42
	v_add_nc_u32_e32 v44, 1, v41
	s_wait_dscnt 0x0
	v_bfe_i32 v45, v39, 0, 8
	v_bfe_i32 v46, v40, 0, 8
	v_cndmask_b32_e64 v43, v43, v42, s6
	v_cndmask_b32_e64 v42, v41, v44, s6
                                        ; implicit-def: $vgpr41
	s_delay_alu instid0(VALU_DEP_3) | instskip(NEXT) | instid1(VALU_DEP_3)
	v_cmp_lt_i16_e64 s8, v46, v45
	v_cmp_ge_i32_e64 s7, v43, v17
	s_delay_alu instid0(VALU_DEP_3)
	v_cmp_lt_i32_e64 s9, v42, v18
	s_or_b32 s7, s7, s8
	s_wait_alu 0xfffe
	s_and_b32 s7, s9, s7
	s_wait_alu 0xfffe
	s_xor_b32 s8, s7, -1
	s_delay_alu instid0(SALU_CYCLE_1) | instskip(NEXT) | instid1(SALU_CYCLE_1)
	s_and_saveexec_b32 s9, s8
	s_xor_b32 s8, exec_lo, s9
; %bb.79:                               ;   in Loop: Header=BB46_2 Depth=1
	ds_load_u8 v41, v43 offset:1
; %bb.80:                               ;   in Loop: Header=BB46_2 Depth=1
	s_or_saveexec_b32 s8, s8
	v_mov_b32_e32 v44, v40
	s_xor_b32 exec_lo, exec_lo, s8
	s_cbranch_execz .LBB46_82
; %bb.81:                               ;   in Loop: Header=BB46_2 Depth=1
	ds_load_u8 v44, v42 offset:1
	s_wait_dscnt 0x1
	v_mov_b32_e32 v41, v39
.LBB46_82:                              ;   in Loop: Header=BB46_2 Depth=1
	s_or_b32 exec_lo, exec_lo, s8
	v_add_nc_u32_e32 v45, 1, v43
	v_add_nc_u32_e32 v46, 1, v42
	s_wait_dscnt 0x0
	v_bfe_i32 v47, v41, 0, 8
	v_bfe_i32 v48, v44, 0, 8
	v_cndmask_b32_e64 v39, v39, v40, s7
	v_cndmask_b32_e64 v43, v45, v43, s7
	;; [unrolled: 1-line block ×4, first 2 shown]
	v_cmp_lt_i16_e64 s6, v48, v47
	v_cndmask_b32_e64 v35, v35, v36, s5
	v_cmp_ge_i32_e64 s7, v43, v17
	v_cmp_lt_i32_e64 s5, v40, v18
	s_wait_loadcnt 0x0
	s_barrier_signal -1
	s_barrier_wait -1
	s_or_b32 s6, s7, s6
	global_inv scope:SCOPE_SE
	s_wait_alu 0xfffe
	s_and_b32 s5, s5, s6
	s_wait_alu 0xfffe
	v_cndmask_b32_e64 v36, v41, v44, s5
	ds_store_b8 v1, v35
	ds_store_b8 v1, v37 offset:1
	ds_store_b8 v1, v39 offset:2
	;; [unrolled: 1-line block ×3, first 2 shown]
	v_mov_b32_e32 v39, v7
	s_wait_loadcnt_dscnt 0x0
	s_barrier_signal -1
	s_barrier_wait -1
	global_inv scope:SCOPE_SE
	s_and_saveexec_b32 s6, vcc_lo
	s_cbranch_execz .LBB46_86
; %bb.83:                               ;   in Loop: Header=BB46_2 Depth=1
	v_mov_b32_e32 v39, v7
	v_mov_b32_e32 v35, v8
	s_mov_b32 s7, 0
.LBB46_84:                              ;   Parent Loop BB46_2 Depth=1
                                        ; =>  This Inner Loop Header: Depth=2
	s_delay_alu instid0(VALU_DEP_1) | instskip(NEXT) | instid1(VALU_DEP_1)
	v_sub_nc_u32_e32 v36, v35, v39
	v_lshrrev_b32_e32 v36, 1, v36
	s_delay_alu instid0(VALU_DEP_1) | instskip(NEXT) | instid1(VALU_DEP_1)
	v_add_nc_u32_e32 v36, v36, v39
	v_xad_u32 v37, v36, -1, v34
	v_add_nc_u32_e32 v40, 1, v36
	ds_load_i8 v38, v36
	ds_load_i8 v37, v37
	s_wait_dscnt 0x0
	v_cmp_lt_i16_e64 s5, v37, v38
	s_wait_alu 0xf1ff
	s_delay_alu instid0(VALU_DEP_1) | instskip(SKIP_1) | instid1(VALU_DEP_1)
	v_cndmask_b32_e64 v35, v35, v36, s5
	v_cndmask_b32_e64 v39, v40, v39, s5
	v_cmp_ge_i32_e64 s5, v39, v35
	s_wait_alu 0xfffe
	s_or_b32 s7, s5, s7
	s_wait_alu 0xfffe
	s_and_not1_b32 exec_lo, exec_lo, s7
	s_cbranch_execnz .LBB46_84
; %bb.85:                               ;   in Loop: Header=BB46_2 Depth=1
	s_or_b32 exec_lo, exec_lo, s7
.LBB46_86:                              ;   in Loop: Header=BB46_2 Depth=1
	s_wait_alu 0xfffe
	s_or_b32 exec_lo, exec_lo, s6
	v_sub_nc_u32_e32 v40, v34, v39
	v_cmp_le_i32_e64 s5, 0x80, v39
                                        ; implicit-def: $vgpr37
	ds_load_u8 v35, v39
	ds_load_u8 v36, v40
	v_cmp_gt_i32_e64 s7, 0x100, v40
	s_wait_dscnt 0x1
	v_bfe_i32 v35, v35, 0, 8
	s_wait_dscnt 0x0
	v_bfe_i32 v36, v36, 0, 8
	s_delay_alu instid0(VALU_DEP_1)
	v_cmp_lt_i16_e64 s6, v36, v35
	s_or_b32 s5, s5, s6
	s_wait_alu 0xfffe
	s_and_b32 s5, s7, s5
	s_wait_alu 0xfffe
	s_xor_b32 s6, s5, -1
	s_wait_alu 0xfffe
	s_and_saveexec_b32 s7, s6
	s_wait_alu 0xfffe
	s_xor_b32 s6, exec_lo, s7
; %bb.87:                               ;   in Loop: Header=BB46_2 Depth=1
	ds_load_u8 v37, v39 offset:1
; %bb.88:                               ;   in Loop: Header=BB46_2 Depth=1
	s_wait_alu 0xfffe
	s_or_saveexec_b32 s6, s6
	v_mov_b32_e32 v38, v36
	s_wait_alu 0xfffe
	s_xor_b32 exec_lo, exec_lo, s6
	s_cbranch_execz .LBB46_90
; %bb.89:                               ;   in Loop: Header=BB46_2 Depth=1
	ds_load_u8 v38, v40 offset:1
	s_wait_dscnt 0x1
	v_mov_b32_e32 v37, v35
.LBB46_90:                              ;   in Loop: Header=BB46_2 Depth=1
	s_or_b32 exec_lo, exec_lo, s6
	v_add_nc_u32_e32 v41, 1, v39
	v_add_nc_u32_e32 v43, 1, v40
	s_wait_dscnt 0x0
	v_bfe_i32 v44, v37, 0, 8
	s_delay_alu instid0(VALU_DEP_3) | instskip(SKIP_2) | instid1(VALU_DEP_3)
	v_cndmask_b32_e64 v42, v41, v39, s5
	v_bfe_i32 v39, v38, 0, 8
	v_cndmask_b32_e64 v41, v40, v43, s5
	v_cmp_le_i32_e64 s6, 0x80, v42
	s_delay_alu instid0(VALU_DEP_3) | instskip(NEXT) | instid1(VALU_DEP_3)
	v_cmp_lt_i16_e64 s7, v39, v44
	v_cmp_gt_i32_e64 s8, 0x100, v41
                                        ; implicit-def: $vgpr39
	s_or_b32 s6, s6, s7
	s_wait_alu 0xfffe
	s_and_b32 s6, s8, s6
	s_wait_alu 0xfffe
	s_xor_b32 s7, s6, -1
	s_wait_alu 0xfffe
	s_and_saveexec_b32 s8, s7
	s_delay_alu instid0(SALU_CYCLE_1)
	s_xor_b32 s7, exec_lo, s8
; %bb.91:                               ;   in Loop: Header=BB46_2 Depth=1
	ds_load_u8 v39, v42 offset:1
; %bb.92:                               ;   in Loop: Header=BB46_2 Depth=1
	s_wait_alu 0xfffe
	s_or_saveexec_b32 s7, s7
	v_mov_b32_e32 v40, v38
	s_wait_alu 0xfffe
	s_xor_b32 exec_lo, exec_lo, s7
	s_cbranch_execz .LBB46_94
; %bb.93:                               ;   in Loop: Header=BB46_2 Depth=1
	ds_load_u8 v40, v41 offset:1
	s_wait_dscnt 0x1
	v_mov_b32_e32 v39, v37
.LBB46_94:                              ;   in Loop: Header=BB46_2 Depth=1
	s_or_b32 exec_lo, exec_lo, s7
	v_add_nc_u32_e32 v43, 1, v42
	v_add_nc_u32_e32 v45, 1, v41
	s_wait_dscnt 0x0
	v_bfe_i32 v46, v39, 0, 8
	s_delay_alu instid0(VALU_DEP_3) | instskip(SKIP_2) | instid1(VALU_DEP_3)
	v_cndmask_b32_e64 v44, v43, v42, s6
	v_bfe_i32 v42, v40, 0, 8
	v_cndmask_b32_e64 v41, v41, v45, s6
                                        ; implicit-def: $vgpr43
	v_cmp_le_i32_e64 s7, 0x80, v44
	s_delay_alu instid0(VALU_DEP_3) | instskip(NEXT) | instid1(VALU_DEP_3)
	v_cmp_lt_i16_e64 s8, v42, v46
	v_cmp_gt_i32_e64 s9, 0x100, v41
                                        ; implicit-def: $vgpr42
	s_or_b32 s7, s7, s8
	s_wait_alu 0xfffe
	s_and_b32 s7, s9, s7
	s_wait_alu 0xfffe
	s_xor_b32 s8, s7, -1
	s_delay_alu instid0(SALU_CYCLE_1) | instskip(NEXT) | instid1(SALU_CYCLE_1)
	s_and_saveexec_b32 s9, s8
	s_xor_b32 s8, exec_lo, s9
; %bb.95:                               ;   in Loop: Header=BB46_2 Depth=1
	ds_load_u8 v42, v44 offset:1
	v_add_nc_u32_e32 v43, 1, v44
                                        ; implicit-def: $vgpr44
; %bb.96:                               ;   in Loop: Header=BB46_2 Depth=1
	s_or_saveexec_b32 s8, s8
	v_mov_b32_e32 v45, v40
	s_xor_b32 exec_lo, exec_lo, s8
	s_cbranch_execz .LBB46_1
; %bb.97:                               ;   in Loop: Header=BB46_2 Depth=1
	ds_load_u8 v45, v41 offset:1
	s_wait_dscnt 0x1
	v_dual_mov_b32 v42, v39 :: v_dual_add_nc_u32 v41, 1, v41
	v_mov_b32_e32 v43, v44
	s_branch .LBB46_1
.LBB46_98:
	s_add_nc_u64 s[0:1], s[14:15], s[16:17]
	s_wait_alu 0xfffe
	v_add_co_u32 v0, s0, s0, v0
	s_wait_alu 0xf1ff
	v_add_co_ci_u32_e64 v1, null, s1, 0, s0
	s_clause 0x3
	global_store_b8 v[0:1], v35, off
	global_store_b8 v[0:1], v36, off offset:64
	global_store_b8 v[0:1], v37, off offset:128
	;; [unrolled: 1-line block ×3, first 2 shown]
	s_endpgm
	.section	.rodata,"a",@progbits
	.p2align	6, 0x0
	.amdhsa_kernel _Z16sort_keys_kernelIaLj64ELj4EN10test_utils4lessELj10EEvPKT_PS2_T2_
		.amdhsa_group_segment_fixed_size 257
		.amdhsa_private_segment_fixed_size 0
		.amdhsa_kernarg_size 20
		.amdhsa_user_sgpr_count 2
		.amdhsa_user_sgpr_dispatch_ptr 0
		.amdhsa_user_sgpr_queue_ptr 0
		.amdhsa_user_sgpr_kernarg_segment_ptr 1
		.amdhsa_user_sgpr_dispatch_id 0
		.amdhsa_user_sgpr_private_segment_size 0
		.amdhsa_wavefront_size32 1
		.amdhsa_uses_dynamic_stack 0
		.amdhsa_enable_private_segment 0
		.amdhsa_system_sgpr_workgroup_id_x 1
		.amdhsa_system_sgpr_workgroup_id_y 0
		.amdhsa_system_sgpr_workgroup_id_z 0
		.amdhsa_system_sgpr_workgroup_info 0
		.amdhsa_system_vgpr_workitem_id 0
		.amdhsa_next_free_vgpr 49
		.amdhsa_next_free_sgpr 18
		.amdhsa_reserve_vcc 1
		.amdhsa_float_round_mode_32 0
		.amdhsa_float_round_mode_16_64 0
		.amdhsa_float_denorm_mode_32 3
		.amdhsa_float_denorm_mode_16_64 3
		.amdhsa_fp16_overflow 0
		.amdhsa_workgroup_processor_mode 1
		.amdhsa_memory_ordered 1
		.amdhsa_forward_progress 1
		.amdhsa_inst_pref_size 48
		.amdhsa_round_robin_scheduling 0
		.amdhsa_exception_fp_ieee_invalid_op 0
		.amdhsa_exception_fp_denorm_src 0
		.amdhsa_exception_fp_ieee_div_zero 0
		.amdhsa_exception_fp_ieee_overflow 0
		.amdhsa_exception_fp_ieee_underflow 0
		.amdhsa_exception_fp_ieee_inexact 0
		.amdhsa_exception_int_div_zero 0
	.end_amdhsa_kernel
	.section	.text._Z16sort_keys_kernelIaLj64ELj4EN10test_utils4lessELj10EEvPKT_PS2_T2_,"axG",@progbits,_Z16sort_keys_kernelIaLj64ELj4EN10test_utils4lessELj10EEvPKT_PS2_T2_,comdat
.Lfunc_end46:
	.size	_Z16sort_keys_kernelIaLj64ELj4EN10test_utils4lessELj10EEvPKT_PS2_T2_, .Lfunc_end46-_Z16sort_keys_kernelIaLj64ELj4EN10test_utils4lessELj10EEvPKT_PS2_T2_
                                        ; -- End function
	.set _Z16sort_keys_kernelIaLj64ELj4EN10test_utils4lessELj10EEvPKT_PS2_T2_.num_vgpr, 49
	.set _Z16sort_keys_kernelIaLj64ELj4EN10test_utils4lessELj10EEvPKT_PS2_T2_.num_agpr, 0
	.set _Z16sort_keys_kernelIaLj64ELj4EN10test_utils4lessELj10EEvPKT_PS2_T2_.numbered_sgpr, 18
	.set _Z16sort_keys_kernelIaLj64ELj4EN10test_utils4lessELj10EEvPKT_PS2_T2_.num_named_barrier, 0
	.set _Z16sort_keys_kernelIaLj64ELj4EN10test_utils4lessELj10EEvPKT_PS2_T2_.private_seg_size, 0
	.set _Z16sort_keys_kernelIaLj64ELj4EN10test_utils4lessELj10EEvPKT_PS2_T2_.uses_vcc, 1
	.set _Z16sort_keys_kernelIaLj64ELj4EN10test_utils4lessELj10EEvPKT_PS2_T2_.uses_flat_scratch, 0
	.set _Z16sort_keys_kernelIaLj64ELj4EN10test_utils4lessELj10EEvPKT_PS2_T2_.has_dyn_sized_stack, 0
	.set _Z16sort_keys_kernelIaLj64ELj4EN10test_utils4lessELj10EEvPKT_PS2_T2_.has_recursion, 0
	.set _Z16sort_keys_kernelIaLj64ELj4EN10test_utils4lessELj10EEvPKT_PS2_T2_.has_indirect_call, 0
	.section	.AMDGPU.csdata,"",@progbits
; Kernel info:
; codeLenInByte = 6132
; TotalNumSgprs: 20
; NumVgprs: 49
; ScratchSize: 0
; MemoryBound: 0
; FloatMode: 240
; IeeeMode: 1
; LDSByteSize: 257 bytes/workgroup (compile time only)
; SGPRBlocks: 0
; VGPRBlocks: 6
; NumSGPRsForWavesPerEU: 20
; NumVGPRsForWavesPerEU: 49
; Occupancy: 16
; WaveLimiterHint : 0
; COMPUTE_PGM_RSRC2:SCRATCH_EN: 0
; COMPUTE_PGM_RSRC2:USER_SGPR: 2
; COMPUTE_PGM_RSRC2:TRAP_HANDLER: 0
; COMPUTE_PGM_RSRC2:TGID_X_EN: 1
; COMPUTE_PGM_RSRC2:TGID_Y_EN: 0
; COMPUTE_PGM_RSRC2:TGID_Z_EN: 0
; COMPUTE_PGM_RSRC2:TIDIG_COMP_CNT: 0
	.section	.text._Z17sort_pairs_kernelIaLj64ELj4EN10test_utils4lessELj10EEvPKT_PS2_T2_,"axG",@progbits,_Z17sort_pairs_kernelIaLj64ELj4EN10test_utils4lessELj10EEvPKT_PS2_T2_,comdat
	.protected	_Z17sort_pairs_kernelIaLj64ELj4EN10test_utils4lessELj10EEvPKT_PS2_T2_ ; -- Begin function _Z17sort_pairs_kernelIaLj64ELj4EN10test_utils4lessELj10EEvPKT_PS2_T2_
	.globl	_Z17sort_pairs_kernelIaLj64ELj4EN10test_utils4lessELj10EEvPKT_PS2_T2_
	.p2align	8
	.type	_Z17sort_pairs_kernelIaLj64ELj4EN10test_utils4lessELj10EEvPKT_PS2_T2_,@function
_Z17sort_pairs_kernelIaLj64ELj4EN10test_utils4lessELj10EEvPKT_PS2_T2_: ; @_Z17sort_pairs_kernelIaLj64ELj4EN10test_utils4lessELj10EEvPKT_PS2_T2_
; %bb.0:
	s_load_b128 s[16:19], s[0:1], 0x0
	s_lshl_b32 s20, ttmp9, 8
	s_mov_b32 s21, 0
	v_lshlrev_b32_e32 v1, 2, v0
	s_delay_alu instid0(VALU_DEP_1)
	v_and_b32_e32 v2, 0xf8, v1
	v_and_b32_e32 v3, 0xf0, v1
	;; [unrolled: 1-line block ×5, first 2 shown]
	v_or_b32_e32 v9, 4, v2
	v_add_nc_u32_e32 v10, 8, v2
	v_or_b32_e32 v11, 8, v3
	v_add_nc_u32_e32 v12, 16, v3
	v_and_b32_e32 v5, 0xc0, v1
	v_or_b32_e32 v13, 16, v4
	v_sub_nc_u32_e32 v34, v10, v9
	s_wait_kmcnt 0x0
	s_add_nc_u64 s[0:1], s[16:17], s[20:21]
	v_add_nc_u32_e32 v14, 32, v4
	s_clause 0x3
	global_load_u8 v41, v0, s[0:1]
	global_load_u8 v40, v0, s[0:1] offset:64
	global_load_u8 v42, v0, s[0:1] offset:128
	;; [unrolled: 1-line block ×3, first 2 shown]
	v_sub_nc_u32_e32 v24, v9, v2
	v_sub_nc_u32_e32 v35, v12, v11
	;; [unrolled: 1-line block ×3, first 2 shown]
	v_cmp_ge_i32_e64 s0, v29, v34
	v_and_b32_e32 v31, 28, v1
	v_and_b32_e32 v6, 0x80, v1
	v_or_b32_e32 v15, 32, v5
	v_add_nc_u32_e32 v16, 64, v5
	v_add_nc_u32_e32 v19, v9, v29
	v_sub_nc_u32_e32 v25, v11, v3
	v_sub_nc_u32_e32 v36, v14, v13
	v_min_i32_e32 v24, v29, v24
	v_sub_nc_u32_e32 v44, v30, v35
	v_cndmask_b32_e64 v29, 0, v43, s0
	v_cmp_ge_i32_e64 s0, v30, v35
	v_and_b32_e32 v32, 60, v1
	v_or_b32_e32 v17, 64, v6
	v_add_nc_u32_e32 v18, 0x80, v6
	v_add_nc_u32_e32 v20, v11, v30
	v_sub_nc_u32_e32 v26, v13, v4
	v_sub_nc_u32_e32 v37, v16, v15
	v_min_i32_e32 v25, v30, v25
	v_sub_nc_u32_e32 v45, v31, v36
	s_wait_alu 0xf1ff
	v_cndmask_b32_e64 v30, 0, v44, s0
	v_cmp_ge_i32_e64 s0, v31, v36
	v_and_b32_e32 v33, 0x7c, v1
	v_add_nc_u32_e32 v21, v13, v31
	v_sub_nc_u32_e32 v27, v15, v5
	v_sub_nc_u32_e32 v38, v18, v17
	v_min_i32_e32 v26, v31, v26
	v_sub_nc_u32_e32 v46, v32, v37
	s_wait_alu 0xf1ff
	v_cndmask_b32_e64 v31, 0, v45, s0
	v_cmp_ge_i32_e64 s0, v32, v37
	v_add_nc_u32_e32 v22, v15, v32
	v_sub_nc_u32_e32 v28, v17, v6
	v_min_i32_e32 v27, v32, v27
	v_sub_nc_u32_e32 v47, v33, v38
	s_wait_alu 0xf1ff
	v_cndmask_b32_e64 v32, 0, v46, s0
	v_cmp_ge_i32_e64 s0, v33, v38
	v_add_nc_u32_e32 v23, v17, v33
	v_min_i32_e32 v28, v33, v28
	v_subrev_nc_u32_e64 v7, 0x80, v1 clamp
	v_min_i32_e32 v8, 0x80, v1
	s_wait_alu 0xf1ff
	v_cndmask_b32_e64 v33, 0, v47, s0
	v_cmp_lt_i32_e64 s0, v29, v24
	v_cmp_lt_i32_e64 s1, v30, v25
	v_cmp_lt_i32_e64 s2, v31, v26
	v_cmp_lt_i32_e64 s3, v32, v27
	v_cmp_lt_i32_e64 s4, v33, v28
	v_add_nc_u32_e32 v34, 0x80, v1
	s_mov_b32 s16, s21
	v_cmp_lt_i32_e32 vcc_lo, v7, v8
	s_wait_loadcnt 0x3
	v_add_nc_u16 v38, v41, 1
	s_wait_loadcnt 0x2
	v_add_nc_u16 v37, v40, 1
	;; [unrolled: 2-line block ×4, first 2 shown]
	s_branch .LBB47_2
.LBB47_1:                               ;   in Loop: Header=BB47_2 Depth=1
	s_or_b32 exec_lo, exec_lo, s8
	s_wait_dscnt 0x0
	s_delay_alu instid0(VALU_DEP_1)
	v_bfe_i32 v54, v51, 0, 8
	v_bfe_i32 v55, v53, 0, 8
	v_cmp_le_i32_e64 s8, 0x80, v50
	v_cmp_gt_i32_e64 s10, 0x100, v49
	v_cndmask_b32_e64 v44, v39, v44, s5
	v_cndmask_b32_e64 v47, v47, v48, s6
	v_cmp_lt_i16_e64 s9, v55, v54
	s_wait_loadcnt 0x0
	s_barrier_signal -1
	s_barrier_wait -1
	global_inv scope:SCOPE_SE
	s_or_b32 s8, s8, s9
	ds_store_b8 v1, v35
	ds_store_b8 v1, v37 offset:1
	ds_store_b8 v1, v38 offset:2
	;; [unrolled: 1-line block ×3, first 2 shown]
	s_wait_alu 0xfffe
	s_and_b32 s8, s10, s8
	s_wait_loadcnt_dscnt 0x0
	s_wait_alu 0xfffe
	v_cndmask_b32_e64 v48, v50, v49, s8
	s_barrier_signal -1
	s_barrier_wait -1
	global_inv scope:SCOPE_SE
	ds_load_u8 v38, v44
	ds_load_u8 v35, v52
	;; [unrolled: 1-line block ×4, first 2 shown]
	v_cndmask_b32_e64 v39, v51, v53, s8
	v_cndmask_b32_e64 v41, v40, v41, s5
	v_cndmask_b32_e64 v40, v42, v43, s6
	v_cndmask_b32_e64 v42, v45, v46, s7
	s_add_co_i32 s16, s16, 1
	s_delay_alu instid0(SALU_CYCLE_1)
	s_cmp_eq_u32 s16, 10
	s_cbranch_scc1 .LBB47_98
.LBB47_2:                               ; =>This Loop Header: Depth=1
                                        ;     Child Loop BB47_4 Depth 2
                                        ;     Child Loop BB47_20 Depth 2
	;; [unrolled: 1-line block ×6, first 2 shown]
	s_delay_alu instid0(VALU_DEP_1)
	v_perm_b32 v39, v42, v39, 0xc0c0004
	v_perm_b32 v42, v40, v41, 0xc0c0004
	;; [unrolled: 1-line block ×3, first 2 shown]
	v_bfe_i32 v41, v41, 0, 8
	v_bfe_i32 v40, v40, 0, 8
	v_lshlrev_b32_e32 v39, 16, v39
	s_barrier_signal -1
	s_barrier_wait -1
	s_delay_alu instid0(VALU_DEP_2) | instskip(NEXT) | instid1(VALU_DEP_2)
	v_cmp_lt_i16_e64 s5, v40, v41
	v_or_b32_e32 v42, v42, v39
	v_or_b32_e32 v39, v43, v39
	global_inv scope:SCOPE_SE
	s_wait_alu 0xf1ff
	v_cndmask_b32_e64 v39, v39, v42, s5
	s_delay_alu instid0(VALU_DEP_1) | instskip(SKIP_1) | instid1(VALU_DEP_2)
	v_lshrrev_b32_e32 v40, 16, v39
	v_lshrrev_b32_e32 v42, 24, v39
	v_perm_b32 v41, 0, v40, 0xc0c0001
	s_delay_alu instid0(VALU_DEP_2) | instskip(SKIP_1) | instid1(VALU_DEP_3)
	v_bfe_i32 v42, v42, 0, 8
	v_bfe_i32 v40, v40, 0, 8
	v_lshlrev_b32_e32 v41, 16, v41
	s_delay_alu instid0(VALU_DEP_2) | instskip(SKIP_1) | instid1(VALU_DEP_3)
	v_cmp_lt_i16_e64 s6, v42, v40
	v_min_i16 v40, v42, v40
	v_and_or_b32 v41, 0xffff, v39, v41
	s_delay_alu instid0(VALU_DEP_2) | instskip(SKIP_1) | instid1(VALU_DEP_2)
	v_lshlrev_b16 v42, 8, v40
	s_wait_alu 0xf1ff
	v_cndmask_b32_e64 v39, v39, v41, s6
	s_delay_alu instid0(VALU_DEP_1) | instskip(SKIP_2) | instid1(VALU_DEP_3)
	v_lshrrev_b32_e32 v41, 16, v39
	v_lshrrev_b16 v43, 8, v39
	v_and_b32_e32 v44, 0xff, v39
	v_and_b32_e32 v41, 0xffffff00, v41
	s_delay_alu instid0(VALU_DEP_2) | instskip(NEXT) | instid1(VALU_DEP_2)
	v_or_b32_e32 v42, v44, v42
	v_or_b32_e32 v41, v43, v41
	v_lshrrev_b32_e32 v43, 8, v39
	s_delay_alu instid0(VALU_DEP_3) | instskip(NEXT) | instid1(VALU_DEP_3)
	v_and_b32_e32 v42, 0xffff, v42
	v_lshlrev_b32_e32 v41, 16, v41
	s_delay_alu instid0(VALU_DEP_3) | instskip(NEXT) | instid1(VALU_DEP_2)
	v_bfe_i32 v43, v43, 0, 8
	v_or_b32_e32 v41, v42, v41
	s_delay_alu instid0(VALU_DEP_2) | instskip(SKIP_2) | instid1(VALU_DEP_2)
	v_cmp_lt_i16_e64 s7, v40, v43
	v_min_i16 v42, v40, v43
	s_wait_alu 0xf1ff
	v_cndmask_b32_e64 v39, v39, v41, s7
	s_delay_alu instid0(VALU_DEP_2) | instskip(NEXT) | instid1(VALU_DEP_2)
	v_and_b32_e32 v40, 0xff, v42
	v_lshlrev_b16 v41, 8, v39
	s_delay_alu instid0(VALU_DEP_1) | instskip(SKIP_1) | instid1(VALU_DEP_2)
	v_or_b32_e32 v40, v40, v41
	v_bfe_i32 v41, v39, 0, 8
	v_and_b32_e32 v40, 0xffff, v40
	s_delay_alu instid0(VALU_DEP_2) | instskip(NEXT) | instid1(VALU_DEP_2)
	v_cmp_lt_i16_e64 s9, v42, v41
	v_and_or_b32 v40, 0xffff0000, v39, v40
	s_wait_alu 0xf1ff
	s_delay_alu instid0(VALU_DEP_1) | instskip(NEXT) | instid1(VALU_DEP_1)
	v_cndmask_b32_e64 v39, v39, v40, s9
	v_lshrrev_b32_e32 v40, 16, v39
	v_lshrrev_b32_e32 v42, 24, v39
	s_delay_alu instid0(VALU_DEP_2) | instskip(NEXT) | instid1(VALU_DEP_2)
	v_perm_b32 v41, 0, v40, 0xc0c0001
	v_bfe_i32 v42, v42, 0, 8
	v_bfe_i32 v40, v40, 0, 8
	s_delay_alu instid0(VALU_DEP_3) | instskip(NEXT) | instid1(VALU_DEP_2)
	v_lshlrev_b32_e32 v41, 16, v41
	v_cmp_lt_i16_e64 s8, v42, v40
	v_min_i16 v40, v42, v40
	s_delay_alu instid0(VALU_DEP_3) | instskip(NEXT) | instid1(VALU_DEP_2)
	v_and_or_b32 v41, 0xffff, v39, v41
	v_lshlrev_b16 v42, 8, v40
	s_wait_alu 0xf1ff
	s_delay_alu instid0(VALU_DEP_2) | instskip(NEXT) | instid1(VALU_DEP_1)
	v_cndmask_b32_e64 v39, v39, v41, s8
	v_lshrrev_b32_e32 v41, 16, v39
	v_lshrrev_b16 v43, 8, v39
	v_and_b32_e32 v44, 0xff, v39
	s_delay_alu instid0(VALU_DEP_3) | instskip(NEXT) | instid1(VALU_DEP_2)
	v_and_b32_e32 v41, 0xffffff00, v41
	v_or_b32_e32 v42, v44, v42
	s_delay_alu instid0(VALU_DEP_2) | instskip(SKIP_1) | instid1(VALU_DEP_3)
	v_or_b32_e32 v41, v43, v41
	v_lshrrev_b32_e32 v43, 8, v39
	v_and_b32_e32 v42, 0xffff, v42
	s_delay_alu instid0(VALU_DEP_3) | instskip(NEXT) | instid1(VALU_DEP_3)
	v_lshlrev_b32_e32 v41, 16, v41
	v_bfe_i32 v43, v43, 0, 8
	s_delay_alu instid0(VALU_DEP_2) | instskip(NEXT) | instid1(VALU_DEP_2)
	v_or_b32_e32 v41, v42, v41
	v_cmp_lt_i16_e64 s10, v40, v43
	s_wait_alu 0xf1ff
	s_delay_alu instid0(VALU_DEP_1)
	v_cndmask_b32_e64 v40, v39, v41, s10
	v_mov_b32_e32 v39, v29
	ds_store_b32 v1, v40
	s_wait_loadcnt_dscnt 0x0
	s_barrier_signal -1
	s_barrier_wait -1
	global_inv scope:SCOPE_SE
	s_and_saveexec_b32 s12, s0
	s_cbranch_execz .LBB47_6
; %bb.3:                                ;   in Loop: Header=BB47_2 Depth=1
	v_dual_mov_b32 v39, v29 :: v_dual_mov_b32 v40, v24
	s_mov_b32 s13, 0
.LBB47_4:                               ;   Parent Loop BB47_2 Depth=1
                                        ; =>  This Inner Loop Header: Depth=2
	s_delay_alu instid0(VALU_DEP_1) | instskip(NEXT) | instid1(VALU_DEP_1)
	v_sub_nc_u32_e32 v41, v40, v39
	v_lshrrev_b32_e32 v41, 1, v41
	s_delay_alu instid0(VALU_DEP_1) | instskip(NEXT) | instid1(VALU_DEP_1)
	v_add_nc_u32_e32 v41, v41, v39
	v_add_nc_u32_e32 v42, v2, v41
	v_xad_u32 v43, v41, -1, v19
	v_add_nc_u32_e32 v44, 1, v41
	ds_load_i8 v42, v42
	ds_load_i8 v43, v43
	s_wait_dscnt 0x0
	v_cmp_lt_i16_e64 s11, v43, v42
	s_wait_alu 0xf1ff
	s_delay_alu instid0(VALU_DEP_1) | instskip(SKIP_1) | instid1(VALU_DEP_1)
	v_cndmask_b32_e64 v40, v40, v41, s11
	v_cndmask_b32_e64 v39, v44, v39, s11
	v_cmp_ge_i32_e64 s11, v39, v40
	s_wait_alu 0xfffe
	s_or_b32 s13, s11, s13
	s_wait_alu 0xfffe
	s_and_not1_b32 exec_lo, exec_lo, s13
	s_cbranch_execnz .LBB47_4
; %bb.5:                                ;   in Loop: Header=BB47_2 Depth=1
	s_or_b32 exec_lo, exec_lo, s13
.LBB47_6:                               ;   in Loop: Header=BB47_2 Depth=1
	s_wait_alu 0xfffe
	s_or_b32 exec_lo, exec_lo, s12
	v_add_nc_u32_e32 v43, v39, v2
	v_sub_nc_u32_e32 v44, v19, v39
                                        ; implicit-def: $vgpr41
	ds_load_u8 v39, v43
	ds_load_u8 v40, v44
	v_cmp_le_i32_e64 s11, v9, v43
	v_cmp_gt_i32_e64 s13, v10, v44
	s_wait_dscnt 0x1
	v_bfe_i32 v39, v39, 0, 8
	s_wait_dscnt 0x0
	v_bfe_i32 v40, v40, 0, 8
	s_delay_alu instid0(VALU_DEP_1)
	v_cmp_lt_i16_e64 s12, v40, v39
	s_or_b32 s11, s11, s12
	s_wait_alu 0xfffe
	s_and_b32 s11, s13, s11
	s_wait_alu 0xfffe
	s_xor_b32 s12, s11, -1
	s_wait_alu 0xfffe
	s_and_saveexec_b32 s13, s12
	s_wait_alu 0xfffe
	s_xor_b32 s12, exec_lo, s13
; %bb.7:                                ;   in Loop: Header=BB47_2 Depth=1
	ds_load_u8 v41, v43 offset:1
; %bb.8:                                ;   in Loop: Header=BB47_2 Depth=1
	s_wait_alu 0xfffe
	s_or_saveexec_b32 s12, s12
	v_mov_b32_e32 v42, v40
	s_wait_alu 0xfffe
	s_xor_b32 exec_lo, exec_lo, s12
	s_cbranch_execz .LBB47_10
; %bb.9:                                ;   in Loop: Header=BB47_2 Depth=1
	ds_load_u8 v42, v44 offset:1
	s_wait_dscnt 0x1
	v_mov_b32_e32 v41, v39
.LBB47_10:                              ;   in Loop: Header=BB47_2 Depth=1
	s_or_b32 exec_lo, exec_lo, s12
	v_add_nc_u32_e32 v45, 1, v43
	v_add_nc_u32_e32 v46, 1, v44
	s_wait_dscnt 0x0
	v_bfe_i32 v49, v41, 0, 8
	s_delay_alu instid0(VALU_DEP_3) | instskip(SKIP_2) | instid1(VALU_DEP_3)
	v_cndmask_b32_e64 v47, v45, v43, s11
	v_bfe_i32 v45, v42, 0, 8
	v_cndmask_b32_e64 v48, v44, v46, s11
	v_cmp_ge_i32_e64 s12, v47, v9
	s_delay_alu instid0(VALU_DEP_3) | instskip(NEXT) | instid1(VALU_DEP_3)
	v_cmp_lt_i16_e64 s13, v45, v49
	v_cmp_lt_i32_e64 s14, v48, v10
                                        ; implicit-def: $vgpr45
	s_or_b32 s12, s12, s13
	s_wait_alu 0xfffe
	s_and_b32 s12, s14, s12
	s_wait_alu 0xfffe
	s_xor_b32 s13, s12, -1
	s_wait_alu 0xfffe
	s_and_saveexec_b32 s14, s13
	s_delay_alu instid0(SALU_CYCLE_1)
	s_xor_b32 s13, exec_lo, s14
; %bb.11:                               ;   in Loop: Header=BB47_2 Depth=1
	ds_load_u8 v45, v47 offset:1
; %bb.12:                               ;   in Loop: Header=BB47_2 Depth=1
	s_wait_alu 0xfffe
	s_or_saveexec_b32 s13, s13
	v_mov_b32_e32 v46, v42
	s_wait_alu 0xfffe
	s_xor_b32 exec_lo, exec_lo, s13
	s_cbranch_execz .LBB47_14
; %bb.13:                               ;   in Loop: Header=BB47_2 Depth=1
	ds_load_u8 v46, v48 offset:1
	s_wait_dscnt 0x1
	v_mov_b32_e32 v45, v41
.LBB47_14:                              ;   in Loop: Header=BB47_2 Depth=1
	s_or_b32 exec_lo, exec_lo, s13
	v_add_nc_u32_e32 v49, 1, v47
	v_add_nc_u32_e32 v50, 1, v48
	s_wait_dscnt 0x0
	v_bfe_i32 v52, v45, 0, 8
	s_delay_alu instid0(VALU_DEP_3) | instskip(SKIP_2) | instid1(VALU_DEP_3)
	v_cndmask_b32_e64 v51, v49, v47, s12
	v_bfe_i32 v49, v46, 0, 8
	v_cndmask_b32_e64 v50, v48, v50, s12
	v_cmp_ge_i32_e64 s13, v51, v9
	s_delay_alu instid0(VALU_DEP_3) | instskip(NEXT) | instid1(VALU_DEP_3)
	v_cmp_lt_i16_e64 s14, v49, v52
	v_cmp_lt_i32_e64 s15, v50, v10
                                        ; implicit-def: $vgpr49
	s_or_b32 s13, s13, s14
	s_wait_alu 0xfffe
	s_and_b32 s13, s15, s13
	s_wait_alu 0xfffe
	s_xor_b32 s14, s13, -1
	s_delay_alu instid0(SALU_CYCLE_1) | instskip(NEXT) | instid1(SALU_CYCLE_1)
	s_and_saveexec_b32 s15, s14
	s_xor_b32 s14, exec_lo, s15
; %bb.15:                               ;   in Loop: Header=BB47_2 Depth=1
	ds_load_u8 v49, v51 offset:1
; %bb.16:                               ;   in Loop: Header=BB47_2 Depth=1
	s_or_saveexec_b32 s14, s14
	v_mov_b32_e32 v52, v46
	s_xor_b32 exec_lo, exec_lo, s14
	s_cbranch_execz .LBB47_18
; %bb.17:                               ;   in Loop: Header=BB47_2 Depth=1
	ds_load_u8 v52, v50 offset:1
	s_wait_dscnt 0x1
	v_mov_b32_e32 v49, v45
.LBB47_18:                              ;   in Loop: Header=BB47_2 Depth=1
	s_or_b32 exec_lo, exec_lo, s14
	v_perm_b32 v53, v37, v38, 0xc0c0004
	v_perm_b32 v37, v38, v37, 0xc0c0004
	;; [unrolled: 1-line block ×3, first 2 shown]
	v_add_nc_u32_e32 v38, 1, v51
	v_cndmask_b32_e64 v47, v47, v48, s12
	v_cndmask_b32_e64 v43, v43, v44, s11
	;; [unrolled: 1-line block ×3, first 2 shown]
	v_perm_b32 v37, 0, v35, 0xc0c0001
	s_wait_dscnt 0x0
	v_bfe_i32 v44, v49, 0, 8
	v_bfe_i32 v48, v52, 0, 8
	v_cndmask_b32_e64 v38, v38, v51, s13
	v_lshl_or_b32 v35, v35, 16, v36
	v_lshlrev_b32_e32 v36, 16, v37
	v_add_nc_u32_e32 v37, 1, v50
	v_cmp_lt_i16_e64 s5, v48, v44
	v_cndmask_b32_e64 v53, v51, v50, s13
	s_wait_loadcnt 0x0
	v_and_or_b32 v36, 0xffff, v35, v36
	s_barrier_signal -1
	s_barrier_wait -1
	global_inv scope:SCOPE_SE
	v_cndmask_b32_e64 v39, v39, v40, s11
	v_cndmask_b32_e64 v35, v35, v36, s6
	v_cmp_ge_i32_e64 s6, v38, v9
	v_cndmask_b32_e64 v41, v41, v42, s12
	s_delay_alu instid0(VALU_DEP_3) | instskip(SKIP_1) | instid1(VALU_DEP_1)
	v_perm_b32 v36, v35, v35, 0x7050604
	s_or_b32 s5, s6, s5
	v_cndmask_b32_e64 v35, v35, v36, s7
	s_delay_alu instid0(VALU_DEP_1) | instskip(NEXT) | instid1(VALU_DEP_1)
	v_perm_b32 v36, 0, v35, 0xc0c0001
	v_and_or_b32 v36, 0xffff0000, v35, v36
	s_delay_alu instid0(VALU_DEP_1) | instskip(NEXT) | instid1(VALU_DEP_1)
	v_cndmask_b32_e64 v35, v35, v36, s9
	v_lshrrev_b32_e32 v36, 16, v35
	s_delay_alu instid0(VALU_DEP_1) | instskip(NEXT) | instid1(VALU_DEP_1)
	v_perm_b32 v36, 0, v36, 0xc0c0001
	v_lshlrev_b32_e32 v36, 16, v36
	s_delay_alu instid0(VALU_DEP_1) | instskip(NEXT) | instid1(VALU_DEP_1)
	v_and_or_b32 v36, 0xffff, v35, v36
	v_cndmask_b32_e64 v35, v35, v36, s8
	v_cndmask_b32_e64 v36, v50, v37, s13
	s_delay_alu instid0(VALU_DEP_2) | instskip(NEXT) | instid1(VALU_DEP_2)
	v_perm_b32 v37, v35, v35, 0x7050604
	v_cmp_lt_i32_e64 s7, v36, v10
	s_delay_alu instid0(VALU_DEP_2)
	v_cndmask_b32_e64 v35, v35, v37, s10
	s_wait_alu 0xfffe
	s_and_b32 s5, s7, s5
	s_wait_alu 0xfffe
	v_cndmask_b32_e64 v36, v38, v36, s5
	v_cndmask_b32_e64 v44, v49, v52, s5
	ds_store_b32 v1, v35
	s_wait_loadcnt_dscnt 0x0
	s_barrier_signal -1
	s_barrier_wait -1
	global_inv scope:SCOPE_SE
	ds_load_u8 v35, v43
	ds_load_u8 v36, v36
	;; [unrolled: 1-line block ×4, first 2 shown]
	v_cndmask_b32_e64 v43, v45, v46, s13
	s_wait_loadcnt_dscnt 0x0
	s_barrier_signal -1
	s_barrier_wait -1
	global_inv scope:SCOPE_SE
	ds_store_b8 v1, v39
	ds_store_b8 v1, v41 offset:1
	ds_store_b8 v1, v43 offset:2
	ds_store_b8 v1, v44 offset:3
	v_mov_b32_e32 v39, v30
	s_wait_loadcnt_dscnt 0x0
	s_barrier_signal -1
	s_barrier_wait -1
	global_inv scope:SCOPE_SE
	s_and_saveexec_b32 s6, s1
	s_cbranch_execz .LBB47_22
; %bb.19:                               ;   in Loop: Header=BB47_2 Depth=1
	v_dual_mov_b32 v39, v30 :: v_dual_mov_b32 v40, v25
	s_mov_b32 s7, 0
.LBB47_20:                              ;   Parent Loop BB47_2 Depth=1
                                        ; =>  This Inner Loop Header: Depth=2
	s_delay_alu instid0(VALU_DEP_1) | instskip(NEXT) | instid1(VALU_DEP_1)
	v_sub_nc_u32_e32 v41, v40, v39
	v_lshrrev_b32_e32 v41, 1, v41
	s_delay_alu instid0(VALU_DEP_1) | instskip(NEXT) | instid1(VALU_DEP_1)
	v_add_nc_u32_e32 v41, v41, v39
	v_add_nc_u32_e32 v42, v3, v41
	v_xad_u32 v43, v41, -1, v20
	v_add_nc_u32_e32 v44, 1, v41
	ds_load_i8 v42, v42
	ds_load_i8 v43, v43
	s_wait_dscnt 0x0
	v_cmp_lt_i16_e64 s5, v43, v42
	s_wait_alu 0xf1ff
	s_delay_alu instid0(VALU_DEP_1) | instskip(SKIP_1) | instid1(VALU_DEP_1)
	v_cndmask_b32_e64 v40, v40, v41, s5
	v_cndmask_b32_e64 v39, v44, v39, s5
	v_cmp_ge_i32_e64 s5, v39, v40
	s_wait_alu 0xfffe
	s_or_b32 s7, s5, s7
	s_wait_alu 0xfffe
	s_and_not1_b32 exec_lo, exec_lo, s7
	s_cbranch_execnz .LBB47_20
; %bb.21:                               ;   in Loop: Header=BB47_2 Depth=1
	s_or_b32 exec_lo, exec_lo, s7
.LBB47_22:                              ;   in Loop: Header=BB47_2 Depth=1
	s_wait_alu 0xfffe
	s_or_b32 exec_lo, exec_lo, s6
	v_add_nc_u32_e32 v43, v39, v3
	v_sub_nc_u32_e32 v44, v20, v39
                                        ; implicit-def: $vgpr41
	ds_load_u8 v39, v43
	ds_load_u8 v40, v44
	v_cmp_le_i32_e64 s5, v11, v43
	v_cmp_gt_i32_e64 s7, v12, v44
	s_wait_dscnt 0x1
	v_bfe_i32 v39, v39, 0, 8
	s_wait_dscnt 0x0
	v_bfe_i32 v40, v40, 0, 8
	s_delay_alu instid0(VALU_DEP_1)
	v_cmp_lt_i16_e64 s6, v40, v39
	s_or_b32 s5, s5, s6
	s_wait_alu 0xfffe
	s_and_b32 s5, s7, s5
	s_wait_alu 0xfffe
	s_xor_b32 s6, s5, -1
	s_wait_alu 0xfffe
	s_and_saveexec_b32 s7, s6
	s_wait_alu 0xfffe
	s_xor_b32 s6, exec_lo, s7
; %bb.23:                               ;   in Loop: Header=BB47_2 Depth=1
	ds_load_u8 v41, v43 offset:1
; %bb.24:                               ;   in Loop: Header=BB47_2 Depth=1
	s_wait_alu 0xfffe
	s_or_saveexec_b32 s6, s6
	v_mov_b32_e32 v42, v40
	s_wait_alu 0xfffe
	s_xor_b32 exec_lo, exec_lo, s6
	s_cbranch_execz .LBB47_26
; %bb.25:                               ;   in Loop: Header=BB47_2 Depth=1
	ds_load_u8 v42, v44 offset:1
	s_wait_dscnt 0x1
	v_mov_b32_e32 v41, v39
.LBB47_26:                              ;   in Loop: Header=BB47_2 Depth=1
	s_or_b32 exec_lo, exec_lo, s6
	v_add_nc_u32_e32 v45, 1, v43
	v_add_nc_u32_e32 v46, 1, v44
	s_wait_dscnt 0x0
	v_bfe_i32 v49, v41, 0, 8
	s_delay_alu instid0(VALU_DEP_3) | instskip(SKIP_2) | instid1(VALU_DEP_3)
	v_cndmask_b32_e64 v47, v45, v43, s5
	v_bfe_i32 v45, v42, 0, 8
	v_cndmask_b32_e64 v48, v44, v46, s5
	v_cmp_ge_i32_e64 s6, v47, v11
	s_delay_alu instid0(VALU_DEP_3) | instskip(NEXT) | instid1(VALU_DEP_3)
	v_cmp_lt_i16_e64 s7, v45, v49
	v_cmp_lt_i32_e64 s8, v48, v12
                                        ; implicit-def: $vgpr45
	s_or_b32 s6, s6, s7
	s_wait_alu 0xfffe
	s_and_b32 s6, s8, s6
	s_wait_alu 0xfffe
	s_xor_b32 s7, s6, -1
	s_wait_alu 0xfffe
	s_and_saveexec_b32 s8, s7
	s_wait_alu 0xfffe
	s_xor_b32 s7, exec_lo, s8
; %bb.27:                               ;   in Loop: Header=BB47_2 Depth=1
	ds_load_u8 v45, v47 offset:1
; %bb.28:                               ;   in Loop: Header=BB47_2 Depth=1
	s_wait_alu 0xfffe
	s_or_saveexec_b32 s7, s7
	v_mov_b32_e32 v46, v42
	s_wait_alu 0xfffe
	s_xor_b32 exec_lo, exec_lo, s7
	s_cbranch_execz .LBB47_30
; %bb.29:                               ;   in Loop: Header=BB47_2 Depth=1
	ds_load_u8 v46, v48 offset:1
	s_wait_dscnt 0x1
	v_mov_b32_e32 v45, v41
.LBB47_30:                              ;   in Loop: Header=BB47_2 Depth=1
	s_or_b32 exec_lo, exec_lo, s7
	v_add_nc_u32_e32 v49, 1, v47
	v_add_nc_u32_e32 v50, 1, v48
	s_wait_dscnt 0x0
	v_bfe_i32 v52, v45, 0, 8
	s_delay_alu instid0(VALU_DEP_3) | instskip(SKIP_2) | instid1(VALU_DEP_3)
	v_cndmask_b32_e64 v51, v49, v47, s6
	v_bfe_i32 v49, v46, 0, 8
	v_cndmask_b32_e64 v50, v48, v50, s6
	v_cmp_ge_i32_e64 s7, v51, v11
	s_delay_alu instid0(VALU_DEP_3) | instskip(NEXT) | instid1(VALU_DEP_3)
	v_cmp_lt_i16_e64 s8, v49, v52
	v_cmp_lt_i32_e64 s9, v50, v12
                                        ; implicit-def: $vgpr49
	s_or_b32 s7, s7, s8
	s_wait_alu 0xfffe
	s_and_b32 s7, s9, s7
	s_wait_alu 0xfffe
	s_xor_b32 s8, s7, -1
	s_wait_alu 0xfffe
	s_and_saveexec_b32 s9, s8
	s_wait_alu 0xfffe
	s_xor_b32 s8, exec_lo, s9
; %bb.31:                               ;   in Loop: Header=BB47_2 Depth=1
	ds_load_u8 v49, v51 offset:1
; %bb.32:                               ;   in Loop: Header=BB47_2 Depth=1
	s_wait_alu 0xfffe
	s_or_saveexec_b32 s8, s8
	v_mov_b32_e32 v52, v46
	s_wait_alu 0xfffe
	s_xor_b32 exec_lo, exec_lo, s8
	s_cbranch_execz .LBB47_34
; %bb.33:                               ;   in Loop: Header=BB47_2 Depth=1
	ds_load_u8 v52, v50 offset:1
	s_wait_dscnt 0x1
	v_mov_b32_e32 v49, v45
.LBB47_34:                              ;   in Loop: Header=BB47_2 Depth=1
	s_or_b32 exec_lo, exec_lo, s8
	v_add_nc_u32_e32 v53, 1, v51
	v_add_nc_u32_e32 v54, 1, v50
	v_cndmask_b32_e64 v55, v51, v50, s7
	s_wait_dscnt 0x0
	v_bfe_i32 v56, v49, 0, 8
	v_bfe_i32 v57, v52, 0, 8
	v_cndmask_b32_e64 v51, v53, v51, s7
	v_cndmask_b32_e64 v47, v47, v48, s6
	;; [unrolled: 1-line block ×4, first 2 shown]
	v_cmp_lt_i16_e64 s8, v57, v56
	v_cmp_ge_i32_e64 s9, v51, v11
	s_wait_loadcnt 0x0
	v_cmp_lt_i32_e64 s10, v48, v12
	s_barrier_signal -1
	s_barrier_wait -1
	s_or_b32 s8, s9, s8
	global_inv scope:SCOPE_SE
	s_wait_alu 0xfffe
	s_and_b32 s8, s10, s8
	ds_store_b8 v1, v35
	ds_store_b8 v1, v37 offset:1
	ds_store_b8 v1, v38 offset:2
	;; [unrolled: 1-line block ×3, first 2 shown]
	s_wait_alu 0xfffe
	v_cndmask_b32_e64 v48, v51, v48, s8
	s_wait_loadcnt_dscnt 0x0
	s_barrier_signal -1
	s_barrier_wait -1
	global_inv scope:SCOPE_SE
	ds_load_u8 v35, v43
	ds_load_u8 v36, v48
	;; [unrolled: 1-line block ×4, first 2 shown]
	v_cndmask_b32_e64 v39, v39, v40, s5
	v_cndmask_b32_e64 v41, v41, v42, s6
	;; [unrolled: 1-line block ×4, first 2 shown]
	s_wait_loadcnt_dscnt 0x0
	s_barrier_signal -1
	s_barrier_wait -1
	global_inv scope:SCOPE_SE
	ds_store_b8 v1, v39
	ds_store_b8 v1, v41 offset:1
	ds_store_b8 v1, v43 offset:2
	ds_store_b8 v1, v44 offset:3
	v_mov_b32_e32 v39, v31
	s_wait_loadcnt_dscnt 0x0
	s_barrier_signal -1
	s_barrier_wait -1
	global_inv scope:SCOPE_SE
	s_and_saveexec_b32 s6, s2
	s_cbranch_execz .LBB47_38
; %bb.35:                               ;   in Loop: Header=BB47_2 Depth=1
	v_dual_mov_b32 v39, v31 :: v_dual_mov_b32 v40, v26
	s_mov_b32 s7, 0
.LBB47_36:                              ;   Parent Loop BB47_2 Depth=1
                                        ; =>  This Inner Loop Header: Depth=2
	s_delay_alu instid0(VALU_DEP_1) | instskip(NEXT) | instid1(VALU_DEP_1)
	v_sub_nc_u32_e32 v41, v40, v39
	v_lshrrev_b32_e32 v41, 1, v41
	s_delay_alu instid0(VALU_DEP_1) | instskip(NEXT) | instid1(VALU_DEP_1)
	v_add_nc_u32_e32 v41, v41, v39
	v_add_nc_u32_e32 v42, v4, v41
	v_xad_u32 v43, v41, -1, v21
	v_add_nc_u32_e32 v44, 1, v41
	ds_load_i8 v42, v42
	ds_load_i8 v43, v43
	s_wait_dscnt 0x0
	v_cmp_lt_i16_e64 s5, v43, v42
	s_wait_alu 0xf1ff
	s_delay_alu instid0(VALU_DEP_1) | instskip(SKIP_1) | instid1(VALU_DEP_1)
	v_cndmask_b32_e64 v40, v40, v41, s5
	v_cndmask_b32_e64 v39, v44, v39, s5
	v_cmp_ge_i32_e64 s5, v39, v40
	s_wait_alu 0xfffe
	s_or_b32 s7, s5, s7
	s_wait_alu 0xfffe
	s_and_not1_b32 exec_lo, exec_lo, s7
	s_cbranch_execnz .LBB47_36
; %bb.37:                               ;   in Loop: Header=BB47_2 Depth=1
	s_or_b32 exec_lo, exec_lo, s7
.LBB47_38:                              ;   in Loop: Header=BB47_2 Depth=1
	s_wait_alu 0xfffe
	s_or_b32 exec_lo, exec_lo, s6
	v_add_nc_u32_e32 v43, v39, v4
	v_sub_nc_u32_e32 v44, v21, v39
                                        ; implicit-def: $vgpr41
	ds_load_u8 v39, v43
	ds_load_u8 v40, v44
	v_cmp_le_i32_e64 s5, v13, v43
	v_cmp_gt_i32_e64 s7, v14, v44
	s_wait_dscnt 0x1
	v_bfe_i32 v39, v39, 0, 8
	s_wait_dscnt 0x0
	v_bfe_i32 v40, v40, 0, 8
	s_delay_alu instid0(VALU_DEP_1)
	v_cmp_lt_i16_e64 s6, v40, v39
	s_or_b32 s5, s5, s6
	s_wait_alu 0xfffe
	s_and_b32 s5, s7, s5
	s_wait_alu 0xfffe
	s_xor_b32 s6, s5, -1
	s_wait_alu 0xfffe
	s_and_saveexec_b32 s7, s6
	s_wait_alu 0xfffe
	s_xor_b32 s6, exec_lo, s7
; %bb.39:                               ;   in Loop: Header=BB47_2 Depth=1
	ds_load_u8 v41, v43 offset:1
; %bb.40:                               ;   in Loop: Header=BB47_2 Depth=1
	s_wait_alu 0xfffe
	s_or_saveexec_b32 s6, s6
	v_mov_b32_e32 v42, v40
	s_wait_alu 0xfffe
	s_xor_b32 exec_lo, exec_lo, s6
	s_cbranch_execz .LBB47_42
; %bb.41:                               ;   in Loop: Header=BB47_2 Depth=1
	ds_load_u8 v42, v44 offset:1
	s_wait_dscnt 0x1
	v_mov_b32_e32 v41, v39
.LBB47_42:                              ;   in Loop: Header=BB47_2 Depth=1
	s_or_b32 exec_lo, exec_lo, s6
	v_add_nc_u32_e32 v45, 1, v43
	v_add_nc_u32_e32 v46, 1, v44
	s_wait_dscnt 0x0
	v_bfe_i32 v49, v41, 0, 8
	s_delay_alu instid0(VALU_DEP_3) | instskip(SKIP_2) | instid1(VALU_DEP_3)
	v_cndmask_b32_e64 v47, v45, v43, s5
	v_bfe_i32 v45, v42, 0, 8
	v_cndmask_b32_e64 v48, v44, v46, s5
	v_cmp_ge_i32_e64 s6, v47, v13
	s_delay_alu instid0(VALU_DEP_3) | instskip(NEXT) | instid1(VALU_DEP_3)
	v_cmp_lt_i16_e64 s7, v45, v49
	v_cmp_lt_i32_e64 s8, v48, v14
                                        ; implicit-def: $vgpr45
	s_or_b32 s6, s6, s7
	s_wait_alu 0xfffe
	s_and_b32 s6, s8, s6
	s_wait_alu 0xfffe
	s_xor_b32 s7, s6, -1
	s_wait_alu 0xfffe
	s_and_saveexec_b32 s8, s7
	s_wait_alu 0xfffe
	s_xor_b32 s7, exec_lo, s8
; %bb.43:                               ;   in Loop: Header=BB47_2 Depth=1
	ds_load_u8 v45, v47 offset:1
; %bb.44:                               ;   in Loop: Header=BB47_2 Depth=1
	s_wait_alu 0xfffe
	s_or_saveexec_b32 s7, s7
	v_mov_b32_e32 v46, v42
	s_wait_alu 0xfffe
	s_xor_b32 exec_lo, exec_lo, s7
	s_cbranch_execz .LBB47_46
; %bb.45:                               ;   in Loop: Header=BB47_2 Depth=1
	ds_load_u8 v46, v48 offset:1
	s_wait_dscnt 0x1
	v_mov_b32_e32 v45, v41
.LBB47_46:                              ;   in Loop: Header=BB47_2 Depth=1
	s_or_b32 exec_lo, exec_lo, s7
	v_add_nc_u32_e32 v49, 1, v47
	v_add_nc_u32_e32 v50, 1, v48
	s_wait_dscnt 0x0
	v_bfe_i32 v52, v45, 0, 8
	s_delay_alu instid0(VALU_DEP_3) | instskip(SKIP_2) | instid1(VALU_DEP_3)
	v_cndmask_b32_e64 v51, v49, v47, s6
	v_bfe_i32 v49, v46, 0, 8
	v_cndmask_b32_e64 v50, v48, v50, s6
	v_cmp_ge_i32_e64 s7, v51, v13
	s_delay_alu instid0(VALU_DEP_3) | instskip(NEXT) | instid1(VALU_DEP_3)
	v_cmp_lt_i16_e64 s8, v49, v52
	v_cmp_lt_i32_e64 s9, v50, v14
                                        ; implicit-def: $vgpr49
	s_or_b32 s7, s7, s8
	s_wait_alu 0xfffe
	s_and_b32 s7, s9, s7
	s_wait_alu 0xfffe
	s_xor_b32 s8, s7, -1
	s_wait_alu 0xfffe
	s_and_saveexec_b32 s9, s8
	s_wait_alu 0xfffe
	s_xor_b32 s8, exec_lo, s9
; %bb.47:                               ;   in Loop: Header=BB47_2 Depth=1
	ds_load_u8 v49, v51 offset:1
; %bb.48:                               ;   in Loop: Header=BB47_2 Depth=1
	s_wait_alu 0xfffe
	s_or_saveexec_b32 s8, s8
	v_mov_b32_e32 v52, v46
	s_wait_alu 0xfffe
	s_xor_b32 exec_lo, exec_lo, s8
	s_cbranch_execz .LBB47_50
; %bb.49:                               ;   in Loop: Header=BB47_2 Depth=1
	ds_load_u8 v52, v50 offset:1
	s_wait_dscnt 0x1
	v_mov_b32_e32 v49, v45
.LBB47_50:                              ;   in Loop: Header=BB47_2 Depth=1
	s_or_b32 exec_lo, exec_lo, s8
	v_add_nc_u32_e32 v53, 1, v51
	v_add_nc_u32_e32 v54, 1, v50
	v_cndmask_b32_e64 v55, v51, v50, s7
	s_wait_dscnt 0x0
	v_bfe_i32 v56, v49, 0, 8
	v_bfe_i32 v57, v52, 0, 8
	v_cndmask_b32_e64 v51, v53, v51, s7
	v_cndmask_b32_e64 v47, v47, v48, s6
	v_cndmask_b32_e64 v48, v50, v54, s7
	v_cndmask_b32_e64 v43, v43, v44, s5
	v_cmp_lt_i16_e64 s8, v57, v56
	v_cmp_ge_i32_e64 s9, v51, v13
	s_wait_loadcnt 0x0
	v_cmp_lt_i32_e64 s10, v48, v14
	s_barrier_signal -1
	s_barrier_wait -1
	s_or_b32 s8, s9, s8
	global_inv scope:SCOPE_SE
	s_wait_alu 0xfffe
	s_and_b32 s8, s10, s8
	ds_store_b8 v1, v35
	ds_store_b8 v1, v37 offset:1
	ds_store_b8 v1, v38 offset:2
	;; [unrolled: 1-line block ×3, first 2 shown]
	s_wait_alu 0xfffe
	v_cndmask_b32_e64 v48, v51, v48, s8
	s_wait_loadcnt_dscnt 0x0
	s_barrier_signal -1
	s_barrier_wait -1
	global_inv scope:SCOPE_SE
	ds_load_u8 v35, v43
	ds_load_u8 v36, v48
	;; [unrolled: 1-line block ×4, first 2 shown]
	v_cndmask_b32_e64 v39, v39, v40, s5
	v_cndmask_b32_e64 v41, v41, v42, s6
	;; [unrolled: 1-line block ×4, first 2 shown]
	s_wait_loadcnt_dscnt 0x0
	s_barrier_signal -1
	s_barrier_wait -1
	global_inv scope:SCOPE_SE
	ds_store_b8 v1, v39
	ds_store_b8 v1, v41 offset:1
	ds_store_b8 v1, v43 offset:2
	;; [unrolled: 1-line block ×3, first 2 shown]
	v_mov_b32_e32 v39, v32
	s_wait_loadcnt_dscnt 0x0
	s_barrier_signal -1
	s_barrier_wait -1
	global_inv scope:SCOPE_SE
	s_and_saveexec_b32 s6, s3
	s_cbranch_execz .LBB47_54
; %bb.51:                               ;   in Loop: Header=BB47_2 Depth=1
	v_dual_mov_b32 v39, v32 :: v_dual_mov_b32 v40, v27
	s_mov_b32 s7, 0
.LBB47_52:                              ;   Parent Loop BB47_2 Depth=1
                                        ; =>  This Inner Loop Header: Depth=2
	s_delay_alu instid0(VALU_DEP_1) | instskip(NEXT) | instid1(VALU_DEP_1)
	v_sub_nc_u32_e32 v41, v40, v39
	v_lshrrev_b32_e32 v41, 1, v41
	s_delay_alu instid0(VALU_DEP_1) | instskip(NEXT) | instid1(VALU_DEP_1)
	v_add_nc_u32_e32 v41, v41, v39
	v_add_nc_u32_e32 v42, v5, v41
	v_xad_u32 v43, v41, -1, v22
	v_add_nc_u32_e32 v44, 1, v41
	ds_load_i8 v42, v42
	ds_load_i8 v43, v43
	s_wait_dscnt 0x0
	v_cmp_lt_i16_e64 s5, v43, v42
	s_wait_alu 0xf1ff
	s_delay_alu instid0(VALU_DEP_1) | instskip(SKIP_1) | instid1(VALU_DEP_1)
	v_cndmask_b32_e64 v40, v40, v41, s5
	v_cndmask_b32_e64 v39, v44, v39, s5
	v_cmp_ge_i32_e64 s5, v39, v40
	s_wait_alu 0xfffe
	s_or_b32 s7, s5, s7
	s_wait_alu 0xfffe
	s_and_not1_b32 exec_lo, exec_lo, s7
	s_cbranch_execnz .LBB47_52
; %bb.53:                               ;   in Loop: Header=BB47_2 Depth=1
	s_or_b32 exec_lo, exec_lo, s7
.LBB47_54:                              ;   in Loop: Header=BB47_2 Depth=1
	s_wait_alu 0xfffe
	s_or_b32 exec_lo, exec_lo, s6
	v_add_nc_u32_e32 v43, v39, v5
	v_sub_nc_u32_e32 v44, v22, v39
                                        ; implicit-def: $vgpr41
	ds_load_u8 v39, v43
	ds_load_u8 v40, v44
	v_cmp_le_i32_e64 s5, v15, v43
	v_cmp_gt_i32_e64 s7, v16, v44
	s_wait_dscnt 0x1
	v_bfe_i32 v39, v39, 0, 8
	s_wait_dscnt 0x0
	v_bfe_i32 v40, v40, 0, 8
	s_delay_alu instid0(VALU_DEP_1)
	v_cmp_lt_i16_e64 s6, v40, v39
	s_or_b32 s5, s5, s6
	s_wait_alu 0xfffe
	s_and_b32 s5, s7, s5
	s_wait_alu 0xfffe
	s_xor_b32 s6, s5, -1
	s_wait_alu 0xfffe
	s_and_saveexec_b32 s7, s6
	s_wait_alu 0xfffe
	s_xor_b32 s6, exec_lo, s7
; %bb.55:                               ;   in Loop: Header=BB47_2 Depth=1
	ds_load_u8 v41, v43 offset:1
; %bb.56:                               ;   in Loop: Header=BB47_2 Depth=1
	s_wait_alu 0xfffe
	s_or_saveexec_b32 s6, s6
	v_mov_b32_e32 v42, v40
	s_wait_alu 0xfffe
	s_xor_b32 exec_lo, exec_lo, s6
	s_cbranch_execz .LBB47_58
; %bb.57:                               ;   in Loop: Header=BB47_2 Depth=1
	ds_load_u8 v42, v44 offset:1
	s_wait_dscnt 0x1
	v_mov_b32_e32 v41, v39
.LBB47_58:                              ;   in Loop: Header=BB47_2 Depth=1
	s_or_b32 exec_lo, exec_lo, s6
	v_add_nc_u32_e32 v45, 1, v43
	v_add_nc_u32_e32 v46, 1, v44
	s_wait_dscnt 0x0
	v_bfe_i32 v49, v41, 0, 8
	s_delay_alu instid0(VALU_DEP_3) | instskip(SKIP_2) | instid1(VALU_DEP_3)
	v_cndmask_b32_e64 v47, v45, v43, s5
	v_bfe_i32 v45, v42, 0, 8
	v_cndmask_b32_e64 v48, v44, v46, s5
	v_cmp_ge_i32_e64 s6, v47, v15
	s_delay_alu instid0(VALU_DEP_3) | instskip(NEXT) | instid1(VALU_DEP_3)
	v_cmp_lt_i16_e64 s7, v45, v49
	v_cmp_lt_i32_e64 s8, v48, v16
                                        ; implicit-def: $vgpr45
	s_or_b32 s6, s6, s7
	s_wait_alu 0xfffe
	s_and_b32 s6, s8, s6
	s_wait_alu 0xfffe
	s_xor_b32 s7, s6, -1
	s_wait_alu 0xfffe
	s_and_saveexec_b32 s8, s7
	s_wait_alu 0xfffe
	s_xor_b32 s7, exec_lo, s8
; %bb.59:                               ;   in Loop: Header=BB47_2 Depth=1
	ds_load_u8 v45, v47 offset:1
; %bb.60:                               ;   in Loop: Header=BB47_2 Depth=1
	s_wait_alu 0xfffe
	s_or_saveexec_b32 s7, s7
	v_mov_b32_e32 v46, v42
	s_wait_alu 0xfffe
	s_xor_b32 exec_lo, exec_lo, s7
	s_cbranch_execz .LBB47_62
; %bb.61:                               ;   in Loop: Header=BB47_2 Depth=1
	ds_load_u8 v46, v48 offset:1
	s_wait_dscnt 0x1
	v_mov_b32_e32 v45, v41
.LBB47_62:                              ;   in Loop: Header=BB47_2 Depth=1
	s_or_b32 exec_lo, exec_lo, s7
	v_add_nc_u32_e32 v49, 1, v47
	v_add_nc_u32_e32 v50, 1, v48
	s_wait_dscnt 0x0
	v_bfe_i32 v52, v45, 0, 8
	s_delay_alu instid0(VALU_DEP_3) | instskip(SKIP_2) | instid1(VALU_DEP_3)
	v_cndmask_b32_e64 v51, v49, v47, s6
	v_bfe_i32 v49, v46, 0, 8
	v_cndmask_b32_e64 v50, v48, v50, s6
	v_cmp_ge_i32_e64 s7, v51, v15
	s_delay_alu instid0(VALU_DEP_3) | instskip(NEXT) | instid1(VALU_DEP_3)
	v_cmp_lt_i16_e64 s8, v49, v52
	v_cmp_lt_i32_e64 s9, v50, v16
                                        ; implicit-def: $vgpr49
	s_or_b32 s7, s7, s8
	s_wait_alu 0xfffe
	s_and_b32 s7, s9, s7
	s_wait_alu 0xfffe
	s_xor_b32 s8, s7, -1
	s_wait_alu 0xfffe
	s_and_saveexec_b32 s9, s8
	s_wait_alu 0xfffe
	s_xor_b32 s8, exec_lo, s9
; %bb.63:                               ;   in Loop: Header=BB47_2 Depth=1
	ds_load_u8 v49, v51 offset:1
; %bb.64:                               ;   in Loop: Header=BB47_2 Depth=1
	s_wait_alu 0xfffe
	s_or_saveexec_b32 s8, s8
	v_mov_b32_e32 v52, v46
	s_wait_alu 0xfffe
	s_xor_b32 exec_lo, exec_lo, s8
	s_cbranch_execz .LBB47_66
; %bb.65:                               ;   in Loop: Header=BB47_2 Depth=1
	ds_load_u8 v52, v50 offset:1
	s_wait_dscnt 0x1
	v_mov_b32_e32 v49, v45
.LBB47_66:                              ;   in Loop: Header=BB47_2 Depth=1
	s_or_b32 exec_lo, exec_lo, s8
	v_add_nc_u32_e32 v53, 1, v51
	v_add_nc_u32_e32 v54, 1, v50
	v_cndmask_b32_e64 v55, v51, v50, s7
	s_wait_dscnt 0x0
	v_bfe_i32 v56, v49, 0, 8
	v_bfe_i32 v57, v52, 0, 8
	v_cndmask_b32_e64 v51, v53, v51, s7
	v_cndmask_b32_e64 v47, v47, v48, s6
	;; [unrolled: 1-line block ×4, first 2 shown]
	v_cmp_lt_i16_e64 s8, v57, v56
	v_cmp_ge_i32_e64 s9, v51, v15
	s_wait_loadcnt 0x0
	v_cmp_lt_i32_e64 s10, v48, v16
	s_barrier_signal -1
	s_barrier_wait -1
	s_or_b32 s8, s9, s8
	global_inv scope:SCOPE_SE
	s_wait_alu 0xfffe
	s_and_b32 s8, s10, s8
	ds_store_b8 v1, v35
	ds_store_b8 v1, v37 offset:1
	ds_store_b8 v1, v38 offset:2
	;; [unrolled: 1-line block ×3, first 2 shown]
	s_wait_alu 0xfffe
	v_cndmask_b32_e64 v48, v51, v48, s8
	s_wait_loadcnt_dscnt 0x0
	s_barrier_signal -1
	s_barrier_wait -1
	global_inv scope:SCOPE_SE
	ds_load_u8 v35, v43
	ds_load_u8 v36, v48
	;; [unrolled: 1-line block ×4, first 2 shown]
	v_cndmask_b32_e64 v39, v39, v40, s5
	v_cndmask_b32_e64 v41, v41, v42, s6
	;; [unrolled: 1-line block ×4, first 2 shown]
	s_wait_loadcnt_dscnt 0x0
	s_barrier_signal -1
	s_barrier_wait -1
	global_inv scope:SCOPE_SE
	ds_store_b8 v1, v39
	ds_store_b8 v1, v41 offset:1
	ds_store_b8 v1, v43 offset:2
	;; [unrolled: 1-line block ×3, first 2 shown]
	v_mov_b32_e32 v39, v33
	s_wait_loadcnt_dscnt 0x0
	s_barrier_signal -1
	s_barrier_wait -1
	global_inv scope:SCOPE_SE
	s_and_saveexec_b32 s6, s4
	s_cbranch_execz .LBB47_70
; %bb.67:                               ;   in Loop: Header=BB47_2 Depth=1
	v_dual_mov_b32 v39, v33 :: v_dual_mov_b32 v40, v28
	s_mov_b32 s7, 0
.LBB47_68:                              ;   Parent Loop BB47_2 Depth=1
                                        ; =>  This Inner Loop Header: Depth=2
	s_delay_alu instid0(VALU_DEP_1) | instskip(NEXT) | instid1(VALU_DEP_1)
	v_sub_nc_u32_e32 v41, v40, v39
	v_lshrrev_b32_e32 v41, 1, v41
	s_delay_alu instid0(VALU_DEP_1) | instskip(NEXT) | instid1(VALU_DEP_1)
	v_add_nc_u32_e32 v41, v41, v39
	v_add_nc_u32_e32 v42, v6, v41
	v_xad_u32 v43, v41, -1, v23
	v_add_nc_u32_e32 v44, 1, v41
	ds_load_i8 v42, v42
	ds_load_i8 v43, v43
	s_wait_dscnt 0x0
	v_cmp_lt_i16_e64 s5, v43, v42
	s_wait_alu 0xf1ff
	s_delay_alu instid0(VALU_DEP_1) | instskip(SKIP_1) | instid1(VALU_DEP_1)
	v_cndmask_b32_e64 v40, v40, v41, s5
	v_cndmask_b32_e64 v39, v44, v39, s5
	v_cmp_ge_i32_e64 s5, v39, v40
	s_wait_alu 0xfffe
	s_or_b32 s7, s5, s7
	s_wait_alu 0xfffe
	s_and_not1_b32 exec_lo, exec_lo, s7
	s_cbranch_execnz .LBB47_68
; %bb.69:                               ;   in Loop: Header=BB47_2 Depth=1
	s_or_b32 exec_lo, exec_lo, s7
.LBB47_70:                              ;   in Loop: Header=BB47_2 Depth=1
	s_wait_alu 0xfffe
	s_or_b32 exec_lo, exec_lo, s6
	v_add_nc_u32_e32 v43, v39, v6
	v_sub_nc_u32_e32 v44, v23, v39
                                        ; implicit-def: $vgpr41
	ds_load_u8 v39, v43
	ds_load_u8 v40, v44
	v_cmp_le_i32_e64 s5, v17, v43
	v_cmp_gt_i32_e64 s7, v18, v44
	s_wait_dscnt 0x1
	v_bfe_i32 v39, v39, 0, 8
	s_wait_dscnt 0x0
	v_bfe_i32 v40, v40, 0, 8
	s_delay_alu instid0(VALU_DEP_1)
	v_cmp_lt_i16_e64 s6, v40, v39
	s_or_b32 s5, s5, s6
	s_wait_alu 0xfffe
	s_and_b32 s5, s7, s5
	s_wait_alu 0xfffe
	s_xor_b32 s6, s5, -1
	s_wait_alu 0xfffe
	s_and_saveexec_b32 s7, s6
	s_wait_alu 0xfffe
	s_xor_b32 s6, exec_lo, s7
; %bb.71:                               ;   in Loop: Header=BB47_2 Depth=1
	ds_load_u8 v41, v43 offset:1
; %bb.72:                               ;   in Loop: Header=BB47_2 Depth=1
	s_wait_alu 0xfffe
	s_or_saveexec_b32 s6, s6
	v_mov_b32_e32 v42, v40
	s_wait_alu 0xfffe
	s_xor_b32 exec_lo, exec_lo, s6
	s_cbranch_execz .LBB47_74
; %bb.73:                               ;   in Loop: Header=BB47_2 Depth=1
	ds_load_u8 v42, v44 offset:1
	s_wait_dscnt 0x1
	v_mov_b32_e32 v41, v39
.LBB47_74:                              ;   in Loop: Header=BB47_2 Depth=1
	s_or_b32 exec_lo, exec_lo, s6
	v_add_nc_u32_e32 v45, 1, v43
	v_add_nc_u32_e32 v46, 1, v44
	s_wait_dscnt 0x0
	v_bfe_i32 v49, v41, 0, 8
	s_delay_alu instid0(VALU_DEP_3) | instskip(SKIP_2) | instid1(VALU_DEP_3)
	v_cndmask_b32_e64 v47, v45, v43, s5
	v_bfe_i32 v45, v42, 0, 8
	v_cndmask_b32_e64 v48, v44, v46, s5
	v_cmp_ge_i32_e64 s6, v47, v17
	s_delay_alu instid0(VALU_DEP_3) | instskip(NEXT) | instid1(VALU_DEP_3)
	v_cmp_lt_i16_e64 s7, v45, v49
	v_cmp_lt_i32_e64 s8, v48, v18
                                        ; implicit-def: $vgpr45
	s_or_b32 s6, s6, s7
	s_wait_alu 0xfffe
	s_and_b32 s6, s8, s6
	s_wait_alu 0xfffe
	s_xor_b32 s7, s6, -1
	s_wait_alu 0xfffe
	s_and_saveexec_b32 s8, s7
	s_wait_alu 0xfffe
	s_xor_b32 s7, exec_lo, s8
; %bb.75:                               ;   in Loop: Header=BB47_2 Depth=1
	ds_load_u8 v45, v47 offset:1
; %bb.76:                               ;   in Loop: Header=BB47_2 Depth=1
	s_wait_alu 0xfffe
	s_or_saveexec_b32 s7, s7
	v_mov_b32_e32 v46, v42
	s_wait_alu 0xfffe
	s_xor_b32 exec_lo, exec_lo, s7
	s_cbranch_execz .LBB47_78
; %bb.77:                               ;   in Loop: Header=BB47_2 Depth=1
	ds_load_u8 v46, v48 offset:1
	s_wait_dscnt 0x1
	v_mov_b32_e32 v45, v41
.LBB47_78:                              ;   in Loop: Header=BB47_2 Depth=1
	s_or_b32 exec_lo, exec_lo, s7
	v_add_nc_u32_e32 v49, 1, v47
	v_add_nc_u32_e32 v50, 1, v48
	s_wait_dscnt 0x0
	v_bfe_i32 v52, v45, 0, 8
	s_delay_alu instid0(VALU_DEP_3) | instskip(SKIP_2) | instid1(VALU_DEP_3)
	v_cndmask_b32_e64 v51, v49, v47, s6
	v_bfe_i32 v49, v46, 0, 8
	v_cndmask_b32_e64 v50, v48, v50, s6
	v_cmp_ge_i32_e64 s7, v51, v17
	s_delay_alu instid0(VALU_DEP_3) | instskip(NEXT) | instid1(VALU_DEP_3)
	v_cmp_lt_i16_e64 s8, v49, v52
	v_cmp_lt_i32_e64 s9, v50, v18
                                        ; implicit-def: $vgpr49
	s_or_b32 s7, s7, s8
	s_wait_alu 0xfffe
	s_and_b32 s7, s9, s7
	s_wait_alu 0xfffe
	s_xor_b32 s8, s7, -1
	s_wait_alu 0xfffe
	s_and_saveexec_b32 s9, s8
	s_wait_alu 0xfffe
	s_xor_b32 s8, exec_lo, s9
; %bb.79:                               ;   in Loop: Header=BB47_2 Depth=1
	ds_load_u8 v49, v51 offset:1
; %bb.80:                               ;   in Loop: Header=BB47_2 Depth=1
	s_wait_alu 0xfffe
	s_or_saveexec_b32 s8, s8
	v_mov_b32_e32 v52, v46
	s_wait_alu 0xfffe
	s_xor_b32 exec_lo, exec_lo, s8
	s_cbranch_execz .LBB47_82
; %bb.81:                               ;   in Loop: Header=BB47_2 Depth=1
	ds_load_u8 v52, v50 offset:1
	s_wait_dscnt 0x1
	v_mov_b32_e32 v49, v45
.LBB47_82:                              ;   in Loop: Header=BB47_2 Depth=1
	s_or_b32 exec_lo, exec_lo, s8
	v_add_nc_u32_e32 v53, 1, v51
	v_add_nc_u32_e32 v54, 1, v50
	v_cndmask_b32_e64 v55, v51, v50, s7
	s_wait_dscnt 0x0
	v_bfe_i32 v56, v49, 0, 8
	v_bfe_i32 v57, v52, 0, 8
	v_cndmask_b32_e64 v51, v53, v51, s7
	v_cndmask_b32_e64 v47, v47, v48, s6
	;; [unrolled: 1-line block ×4, first 2 shown]
	v_cmp_lt_i16_e64 s8, v57, v56
	v_cmp_ge_i32_e64 s9, v51, v17
	s_wait_loadcnt 0x0
	v_cmp_lt_i32_e64 s10, v48, v18
	s_barrier_signal -1
	s_barrier_wait -1
	s_or_b32 s8, s9, s8
	global_inv scope:SCOPE_SE
	s_wait_alu 0xfffe
	s_and_b32 s8, s10, s8
	ds_store_b8 v1, v35
	ds_store_b8 v1, v37 offset:1
	ds_store_b8 v1, v38 offset:2
	;; [unrolled: 1-line block ×3, first 2 shown]
	s_wait_alu 0xfffe
	v_cndmask_b32_e64 v48, v51, v48, s8
	s_wait_loadcnt_dscnt 0x0
	s_barrier_signal -1
	s_barrier_wait -1
	global_inv scope:SCOPE_SE
	ds_load_u8 v35, v43
	ds_load_u8 v36, v48
	;; [unrolled: 1-line block ×4, first 2 shown]
	v_cndmask_b32_e64 v39, v39, v40, s5
	v_cndmask_b32_e64 v41, v41, v42, s6
	;; [unrolled: 1-line block ×4, first 2 shown]
	s_wait_loadcnt_dscnt 0x0
	s_barrier_signal -1
	s_barrier_wait -1
	global_inv scope:SCOPE_SE
	ds_store_b8 v1, v39
	ds_store_b8 v1, v41 offset:1
	ds_store_b8 v1, v43 offset:2
	;; [unrolled: 1-line block ×3, first 2 shown]
	v_mov_b32_e32 v39, v7
	s_wait_loadcnt_dscnt 0x0
	s_barrier_signal -1
	s_barrier_wait -1
	global_inv scope:SCOPE_SE
	s_and_saveexec_b32 s6, vcc_lo
	s_cbranch_execz .LBB47_86
; %bb.83:                               ;   in Loop: Header=BB47_2 Depth=1
	v_dual_mov_b32 v39, v7 :: v_dual_mov_b32 v40, v8
	s_mov_b32 s7, 0
.LBB47_84:                              ;   Parent Loop BB47_2 Depth=1
                                        ; =>  This Inner Loop Header: Depth=2
	s_delay_alu instid0(VALU_DEP_1) | instskip(NEXT) | instid1(VALU_DEP_1)
	v_sub_nc_u32_e32 v41, v40, v39
	v_lshrrev_b32_e32 v41, 1, v41
	s_delay_alu instid0(VALU_DEP_1) | instskip(NEXT) | instid1(VALU_DEP_1)
	v_add_nc_u32_e32 v41, v41, v39
	v_xad_u32 v42, v41, -1, v34
	v_add_nc_u32_e32 v44, 1, v41
	ds_load_i8 v43, v41
	ds_load_i8 v42, v42
	s_wait_dscnt 0x0
	v_cmp_lt_i16_e64 s5, v42, v43
	s_wait_alu 0xf1ff
	s_delay_alu instid0(VALU_DEP_1) | instskip(SKIP_1) | instid1(VALU_DEP_1)
	v_cndmask_b32_e64 v40, v40, v41, s5
	v_cndmask_b32_e64 v39, v44, v39, s5
	v_cmp_ge_i32_e64 s5, v39, v40
	s_wait_alu 0xfffe
	s_or_b32 s7, s5, s7
	s_wait_alu 0xfffe
	s_and_not1_b32 exec_lo, exec_lo, s7
	s_cbranch_execnz .LBB47_84
; %bb.85:                               ;   in Loop: Header=BB47_2 Depth=1
	s_or_b32 exec_lo, exec_lo, s7
.LBB47_86:                              ;   in Loop: Header=BB47_2 Depth=1
	s_wait_alu 0xfffe
	s_or_b32 exec_lo, exec_lo, s6
	v_sub_nc_u32_e32 v44, v34, v39
	v_cmp_le_i32_e64 s5, 0x80, v39
                                        ; implicit-def: $vgpr42
	ds_load_u8 v40, v39
	ds_load_u8 v41, v44
	v_cmp_gt_i32_e64 s7, 0x100, v44
	s_wait_dscnt 0x1
	v_bfe_i32 v40, v40, 0, 8
	s_wait_dscnt 0x0
	v_bfe_i32 v41, v41, 0, 8
	s_delay_alu instid0(VALU_DEP_1)
	v_cmp_lt_i16_e64 s6, v41, v40
	s_or_b32 s5, s5, s6
	s_wait_alu 0xfffe
	s_and_b32 s5, s7, s5
	s_wait_alu 0xfffe
	s_xor_b32 s6, s5, -1
	s_wait_alu 0xfffe
	s_and_saveexec_b32 s7, s6
	s_wait_alu 0xfffe
	s_xor_b32 s6, exec_lo, s7
; %bb.87:                               ;   in Loop: Header=BB47_2 Depth=1
	ds_load_u8 v42, v39 offset:1
; %bb.88:                               ;   in Loop: Header=BB47_2 Depth=1
	s_wait_alu 0xfffe
	s_or_saveexec_b32 s6, s6
	v_mov_b32_e32 v43, v41
	s_wait_alu 0xfffe
	s_xor_b32 exec_lo, exec_lo, s6
	s_cbranch_execz .LBB47_90
; %bb.89:                               ;   in Loop: Header=BB47_2 Depth=1
	ds_load_u8 v43, v44 offset:1
	s_wait_dscnt 0x1
	v_mov_b32_e32 v42, v40
.LBB47_90:                              ;   in Loop: Header=BB47_2 Depth=1
	s_or_b32 exec_lo, exec_lo, s6
	v_add_nc_u32_e32 v45, 1, v39
	v_add_nc_u32_e32 v46, 1, v44
	s_wait_dscnt 0x0
	v_bfe_i32 v49, v42, 0, 8
	s_delay_alu instid0(VALU_DEP_3) | instskip(SKIP_2) | instid1(VALU_DEP_3)
	v_cndmask_b32_e64 v47, v45, v39, s5
	v_bfe_i32 v45, v43, 0, 8
	v_cndmask_b32_e64 v48, v44, v46, s5
	v_cmp_le_i32_e64 s6, 0x80, v47
	s_delay_alu instid0(VALU_DEP_3) | instskip(NEXT) | instid1(VALU_DEP_3)
	v_cmp_lt_i16_e64 s7, v45, v49
	v_cmp_gt_i32_e64 s8, 0x100, v48
                                        ; implicit-def: $vgpr45
	s_or_b32 s6, s6, s7
	s_wait_alu 0xfffe
	s_and_b32 s6, s8, s6
	s_wait_alu 0xfffe
	s_xor_b32 s7, s6, -1
	s_wait_alu 0xfffe
	s_and_saveexec_b32 s8, s7
	s_wait_alu 0xfffe
	s_xor_b32 s7, exec_lo, s8
; %bb.91:                               ;   in Loop: Header=BB47_2 Depth=1
	ds_load_u8 v45, v47 offset:1
; %bb.92:                               ;   in Loop: Header=BB47_2 Depth=1
	s_wait_alu 0xfffe
	s_or_saveexec_b32 s7, s7
	v_mov_b32_e32 v46, v43
	s_wait_alu 0xfffe
	s_xor_b32 exec_lo, exec_lo, s7
	s_cbranch_execz .LBB47_94
; %bb.93:                               ;   in Loop: Header=BB47_2 Depth=1
	ds_load_u8 v46, v48 offset:1
	s_wait_dscnt 0x1
	v_mov_b32_e32 v45, v42
.LBB47_94:                              ;   in Loop: Header=BB47_2 Depth=1
	s_or_b32 exec_lo, exec_lo, s7
	v_add_nc_u32_e32 v49, 1, v47
	v_add_nc_u32_e32 v50, 1, v48
	s_wait_dscnt 0x0
	v_bfe_i32 v51, v45, 0, 8
	v_bfe_i32 v52, v46, 0, 8
	v_cndmask_b32_e64 v54, v49, v47, s6
	v_cndmask_b32_e64 v49, v48, v50, s6
                                        ; implicit-def: $vgpr50
	s_delay_alu instid0(VALU_DEP_3) | instskip(NEXT) | instid1(VALU_DEP_3)
	v_cmp_lt_i16_e64 s8, v52, v51
                                        ; implicit-def: $vgpr51
	v_cmp_le_i32_e64 s7, 0x80, v54
	s_delay_alu instid0(VALU_DEP_3)
	v_cmp_gt_i32_e64 s9, 0x100, v49
	s_or_b32 s7, s7, s8
	s_wait_alu 0xfffe
	s_and_b32 s7, s9, s7
	s_wait_alu 0xfffe
	s_xor_b32 s8, s7, -1
	s_wait_alu 0xfffe
	s_and_saveexec_b32 s9, s8
	s_wait_alu 0xfffe
	s_xor_b32 s8, exec_lo, s9
; %bb.95:                               ;   in Loop: Header=BB47_2 Depth=1
	ds_load_u8 v51, v54 offset:1
	v_add_nc_u32_e32 v50, 1, v54
; %bb.96:                               ;   in Loop: Header=BB47_2 Depth=1
	s_wait_alu 0xfffe
	s_or_saveexec_b32 s8, s8
	v_dual_mov_b32 v52, v54 :: v_dual_mov_b32 v53, v46
	s_wait_alu 0xfffe
	s_xor_b32 exec_lo, exec_lo, s8
	s_cbranch_execz .LBB47_1
; %bb.97:                               ;   in Loop: Header=BB47_2 Depth=1
	ds_load_u8 v53, v49 offset:1
	s_wait_dscnt 0x1
	v_dual_mov_b32 v52, v49 :: v_dual_add_nc_u32 v51, 1, v49
	s_delay_alu instid0(VALU_DEP_1)
	v_dual_mov_b32 v50, v54 :: v_dual_mov_b32 v49, v51
	v_mov_b32_e32 v51, v45
	s_branch .LBB47_1
.LBB47_98:
	s_add_nc_u64 s[0:1], s[18:19], s[20:21]
	s_wait_dscnt 0x3
	v_add_nc_u16 v2, v41, v38
	s_wait_alu 0xfffe
	v_add_co_u32 v0, s0, s0, v0
	s_wait_alu 0xf1ff
	v_add_co_ci_u32_e64 v1, null, s1, 0, s0
	s_wait_dscnt 0x0
	v_add_nc_u16 v3, v40, v37
	v_add_nc_u16 v4, v42, v35
	;; [unrolled: 1-line block ×3, first 2 shown]
	s_clause 0x3
	global_store_b8 v[0:1], v2, off
	global_store_b8 v[0:1], v3, off offset:64
	global_store_b8 v[0:1], v4, off offset:128
	;; [unrolled: 1-line block ×3, first 2 shown]
	s_endpgm
	.section	.rodata,"a",@progbits
	.p2align	6, 0x0
	.amdhsa_kernel _Z17sort_pairs_kernelIaLj64ELj4EN10test_utils4lessELj10EEvPKT_PS2_T2_
		.amdhsa_group_segment_fixed_size 257
		.amdhsa_private_segment_fixed_size 0
		.amdhsa_kernarg_size 20
		.amdhsa_user_sgpr_count 2
		.amdhsa_user_sgpr_dispatch_ptr 0
		.amdhsa_user_sgpr_queue_ptr 0
		.amdhsa_user_sgpr_kernarg_segment_ptr 1
		.amdhsa_user_sgpr_dispatch_id 0
		.amdhsa_user_sgpr_private_segment_size 0
		.amdhsa_wavefront_size32 1
		.amdhsa_uses_dynamic_stack 0
		.amdhsa_enable_private_segment 0
		.amdhsa_system_sgpr_workgroup_id_x 1
		.amdhsa_system_sgpr_workgroup_id_y 0
		.amdhsa_system_sgpr_workgroup_id_z 0
		.amdhsa_system_sgpr_workgroup_info 0
		.amdhsa_system_vgpr_workitem_id 0
		.amdhsa_next_free_vgpr 58
		.amdhsa_next_free_sgpr 22
		.amdhsa_reserve_vcc 1
		.amdhsa_float_round_mode_32 0
		.amdhsa_float_round_mode_16_64 0
		.amdhsa_float_denorm_mode_32 3
		.amdhsa_float_denorm_mode_16_64 3
		.amdhsa_fp16_overflow 0
		.amdhsa_workgroup_processor_mode 1
		.amdhsa_memory_ordered 1
		.amdhsa_forward_progress 1
		.amdhsa_inst_pref_size 58
		.amdhsa_round_robin_scheduling 0
		.amdhsa_exception_fp_ieee_invalid_op 0
		.amdhsa_exception_fp_denorm_src 0
		.amdhsa_exception_fp_ieee_div_zero 0
		.amdhsa_exception_fp_ieee_overflow 0
		.amdhsa_exception_fp_ieee_underflow 0
		.amdhsa_exception_fp_ieee_inexact 0
		.amdhsa_exception_int_div_zero 0
	.end_amdhsa_kernel
	.section	.text._Z17sort_pairs_kernelIaLj64ELj4EN10test_utils4lessELj10EEvPKT_PS2_T2_,"axG",@progbits,_Z17sort_pairs_kernelIaLj64ELj4EN10test_utils4lessELj10EEvPKT_PS2_T2_,comdat
.Lfunc_end47:
	.size	_Z17sort_pairs_kernelIaLj64ELj4EN10test_utils4lessELj10EEvPKT_PS2_T2_, .Lfunc_end47-_Z17sort_pairs_kernelIaLj64ELj4EN10test_utils4lessELj10EEvPKT_PS2_T2_
                                        ; -- End function
	.set _Z17sort_pairs_kernelIaLj64ELj4EN10test_utils4lessELj10EEvPKT_PS2_T2_.num_vgpr, 58
	.set _Z17sort_pairs_kernelIaLj64ELj4EN10test_utils4lessELj10EEvPKT_PS2_T2_.num_agpr, 0
	.set _Z17sort_pairs_kernelIaLj64ELj4EN10test_utils4lessELj10EEvPKT_PS2_T2_.numbered_sgpr, 22
	.set _Z17sort_pairs_kernelIaLj64ELj4EN10test_utils4lessELj10EEvPKT_PS2_T2_.num_named_barrier, 0
	.set _Z17sort_pairs_kernelIaLj64ELj4EN10test_utils4lessELj10EEvPKT_PS2_T2_.private_seg_size, 0
	.set _Z17sort_pairs_kernelIaLj64ELj4EN10test_utils4lessELj10EEvPKT_PS2_T2_.uses_vcc, 1
	.set _Z17sort_pairs_kernelIaLj64ELj4EN10test_utils4lessELj10EEvPKT_PS2_T2_.uses_flat_scratch, 0
	.set _Z17sort_pairs_kernelIaLj64ELj4EN10test_utils4lessELj10EEvPKT_PS2_T2_.has_dyn_sized_stack, 0
	.set _Z17sort_pairs_kernelIaLj64ELj4EN10test_utils4lessELj10EEvPKT_PS2_T2_.has_recursion, 0
	.set _Z17sort_pairs_kernelIaLj64ELj4EN10test_utils4lessELj10EEvPKT_PS2_T2_.has_indirect_call, 0
	.section	.AMDGPU.csdata,"",@progbits
; Kernel info:
; codeLenInByte = 7352
; TotalNumSgprs: 24
; NumVgprs: 58
; ScratchSize: 0
; MemoryBound: 0
; FloatMode: 240
; IeeeMode: 1
; LDSByteSize: 257 bytes/workgroup (compile time only)
; SGPRBlocks: 0
; VGPRBlocks: 7
; NumSGPRsForWavesPerEU: 24
; NumVGPRsForWavesPerEU: 58
; Occupancy: 16
; WaveLimiterHint : 0
; COMPUTE_PGM_RSRC2:SCRATCH_EN: 0
; COMPUTE_PGM_RSRC2:USER_SGPR: 2
; COMPUTE_PGM_RSRC2:TRAP_HANDLER: 0
; COMPUTE_PGM_RSRC2:TGID_X_EN: 1
; COMPUTE_PGM_RSRC2:TGID_Y_EN: 0
; COMPUTE_PGM_RSRC2:TGID_Z_EN: 0
; COMPUTE_PGM_RSRC2:TIDIG_COMP_CNT: 0
	.section	.text._Z16sort_keys_kernelIaLj64ELj8EN10test_utils4lessELj10EEvPKT_PS2_T2_,"axG",@progbits,_Z16sort_keys_kernelIaLj64ELj8EN10test_utils4lessELj10EEvPKT_PS2_T2_,comdat
	.protected	_Z16sort_keys_kernelIaLj64ELj8EN10test_utils4lessELj10EEvPKT_PS2_T2_ ; -- Begin function _Z16sort_keys_kernelIaLj64ELj8EN10test_utils4lessELj10EEvPKT_PS2_T2_
	.globl	_Z16sort_keys_kernelIaLj64ELj8EN10test_utils4lessELj10EEvPKT_PS2_T2_
	.p2align	8
	.type	_Z16sort_keys_kernelIaLj64ELj8EN10test_utils4lessELj10EEvPKT_PS2_T2_,@function
_Z16sort_keys_kernelIaLj64ELj8EN10test_utils4lessELj10EEvPKT_PS2_T2_: ; @_Z16sort_keys_kernelIaLj64ELj8EN10test_utils4lessELj10EEvPKT_PS2_T2_
; %bb.0:
	s_load_b128 s[12:15], s[0:1], 0x0
	s_lshl_b32 s16, ttmp9, 9
	s_mov_b32 s17, 0
	v_lshlrev_b32_e32 v1, 3, v0
	s_mov_b32 s18, s17
	s_delay_alu instid0(VALU_DEP_1)
	v_and_b32_e32 v2, 0x1f0, v1
	v_and_b32_e32 v3, 0x1e0, v1
	;; [unrolled: 1-line block ×5, first 2 shown]
	v_or_b32_e32 v10, 8, v2
	v_add_nc_u32_e32 v11, 16, v2
	v_or_b32_e32 v12, 16, v3
	v_add_nc_u32_e32 v13, 32, v3
	v_and_b32_e32 v5, 0x180, v1
	v_or_b32_e32 v14, 32, v4
	v_sub_nc_u32_e32 v43, v11, v10
	s_wait_kmcnt 0x0
	s_add_nc_u64 s[0:1], s[12:13], s[16:17]
	v_add_nc_u32_e32 v15, 64, v4
	s_clause 0x7
	global_load_u8 v35, v0, s[0:1] offset:64
	global_load_u8 v36, v0, s[0:1] offset:384
	;; [unrolled: 1-line block ×4, first 2 shown]
	global_load_u8 v39, v0, s[0:1]
	global_load_u8 v40, v0, s[0:1] offset:192
	global_load_u8 v41, v0, s[0:1] offset:320
	;; [unrolled: 1-line block ×3, first 2 shown]
	v_sub_nc_u32_e32 v25, v10, v2
	v_sub_nc_u32_e32 v44, v13, v12
	;; [unrolled: 1-line block ×3, first 2 shown]
	v_cmp_ge_i32_e64 s0, v30, v43
	v_and_b32_e32 v32, 56, v1
	v_and_b32_e32 v6, 0x100, v1
	v_or_b32_e32 v16, 64, v5
	v_add_nc_u32_e32 v17, 0x80, v5
	v_add_nc_u32_e32 v20, v10, v30
	v_sub_nc_u32_e32 v26, v12, v3
	v_sub_nc_u32_e32 v45, v15, v14
	v_min_i32_e32 v25, v30, v25
	v_sub_nc_u32_e32 v49, v31, v44
	v_cndmask_b32_e64 v30, 0, v48, s0
	v_cmp_ge_i32_e64 s0, v31, v44
	v_and_b32_e32 v33, 0x78, v1
	v_or_b32_e32 v18, 0x80, v6
	v_add_nc_u32_e32 v19, 0x100, v6
	v_add_nc_u32_e32 v21, v12, v31
	v_sub_nc_u32_e32 v27, v14, v4
	v_sub_nc_u32_e32 v46, v17, v16
	v_min_i32_e32 v26, v31, v26
	v_sub_nc_u32_e32 v50, v32, v45
	s_wait_alu 0xf1ff
	v_cndmask_b32_e64 v31, 0, v49, s0
	v_cmp_ge_i32_e64 s0, v32, v45
	v_and_b32_e32 v34, 0xf8, v1
	v_add_nc_u32_e32 v22, v14, v32
	v_sub_nc_u32_e32 v28, v16, v5
	v_sub_nc_u32_e32 v47, v19, v18
	v_min_i32_e32 v27, v32, v27
	v_sub_nc_u32_e32 v51, v33, v46
	s_wait_alu 0xf1ff
	v_cndmask_b32_e64 v32, 0, v50, s0
	v_cmp_ge_i32_e64 s0, v33, v46
	v_add_nc_u32_e32 v23, v16, v33
	v_sub_nc_u32_e32 v29, v18, v6
	v_min_i32_e32 v28, v33, v28
	v_sub_nc_u32_e32 v52, v34, v47
	s_wait_alu 0xf1ff
	v_cndmask_b32_e64 v33, 0, v51, s0
	v_cmp_ge_i32_e64 s0, v34, v47
	v_add_nc_u32_e32 v24, v18, v34
	v_min_i32_e32 v29, v34, v29
	v_subrev_nc_u32_e64 v7, 0x100, v1 clamp
	v_min_i32_e32 v8, 0x100, v1
	s_wait_alu 0xf1ff
	v_cndmask_b32_e64 v34, 0, v52, s0
	v_add_nc_u32_e32 v9, 0x100, v1
	v_cmp_lt_i32_e64 s0, v30, v25
	v_cmp_lt_i32_e64 s1, v31, v26
	;; [unrolled: 1-line block ×5, first 2 shown]
	v_cmp_lt_i32_e32 vcc_lo, v7, v8
	s_wait_loadcnt 0x3
	v_perm_b32 v35, v39, v35, 0xc0c0004
	s_wait_loadcnt 0x2
	v_perm_b32 v38, v38, v40, 0xc0c0004
	;; [unrolled: 2-line block ×4, first 2 shown]
	v_lshl_or_b32 v44, v38, 16, v35
	s_delay_alu instid0(VALU_DEP_2)
	v_lshl_or_b32 v35, v36, 16, v37
	s_branch .LBB48_2
.LBB48_1:                               ;   in Loop: Header=BB48_2 Depth=1
	s_or_b32 exec_lo, exec_lo, s12
	s_wait_dscnt 0x0
	v_bfe_i32 v53, v50, 0, 8
	v_bfe_i32 v54, v52, 0, 8
	v_cndmask_b32_e64 v36, v35, v36, s5
	v_cndmask_b32_e64 v37, v37, v38, s6
	v_cmp_le_i32_e64 s5, 0x100, v51
	v_cndmask_b32_e64 v38, v39, v40, s7
	v_cmp_lt_i16_e64 s6, v54, v53
	v_cmp_gt_i32_e64 s7, 0x200, v49
	v_cndmask_b32_e64 v39, v41, v42, s8
	v_cndmask_b32_e64 v40, v43, v44, s9
	;; [unrolled: 1-line block ×3, first 2 shown]
	s_or_b32 s5, s5, s6
	v_cndmask_b32_e64 v42, v47, v48, s11
	s_wait_alu 0xfffe
	s_and_b32 s5, s7, s5
	v_lshlrev_b16 v35, 8, v37
	s_wait_alu 0xfffe
	v_cndmask_b32_e64 v43, v50, v52, s5
	v_and_b32_e32 v44, 0xff, v36
	v_lshlrev_b16 v45, 8, v39
	v_and_b32_e32 v46, 0xff, v38
	v_lshlrev_b16 v47, 8, v41
	v_and_b32_e32 v48, 0xff, v40
	v_and_b32_e32 v49, 0xff, v42
	v_lshlrev_b16 v50, 8, v43
	v_or_b32_e32 v35, v44, v35
	v_or_b32_e32 v44, v46, v45
	;; [unrolled: 1-line block ×3, first 2 shown]
	s_add_co_i32 s18, s18, 1
	v_or_b32_e32 v46, v49, v50
	v_and_b32_e32 v35, 0xffff, v35
	v_lshlrev_b32_e32 v44, 16, v44
	v_and_b32_e32 v45, 0xffff, v45
	s_cmp_eq_u32 s18, 10
	v_lshlrev_b32_e32 v46, 16, v46
	s_delay_alu instid0(VALU_DEP_3) | instskip(NEXT) | instid1(VALU_DEP_2)
	v_or_b32_e32 v44, v35, v44
	v_or_b32_e32 v35, v45, v46
	s_cbranch_scc1 .LBB48_194
.LBB48_2:                               ; =>This Loop Header: Depth=1
                                        ;     Child Loop BB48_4 Depth 2
                                        ;     Child Loop BB48_36 Depth 2
	;; [unrolled: 1-line block ×6, first 2 shown]
	s_delay_alu instid0(VALU_DEP_2)
	v_lshrrev_b32_e32 v36, 8, v44
	v_bfe_i32 v37, v44, 0, 8
	v_perm_b32 v38, v44, v44, 0x7060405
	v_lshrrev_b32_e32 v45, 8, v35
	v_perm_b32 v48, v35, v35, 0x7060405
	v_bfe_i32 v36, v36, 0, 8
	s_barrier_signal -1
	s_delay_alu instid0(VALU_DEP_3) | instskip(SKIP_1) | instid1(VALU_DEP_2)
	v_bfe_i32 v45, v45, 0, 8
	s_barrier_wait -1
	v_cmp_lt_i16_e64 s5, v36, v37
	global_inv scope:SCOPE_SE
	s_wait_alu 0xf1ff
	v_cndmask_b32_e64 v38, v44, v38, s5
	v_max_i16 v44, v36, v37
	v_min_i16 v36, v36, v37
	s_delay_alu instid0(VALU_DEP_3) | instskip(SKIP_1) | instid1(VALU_DEP_3)
	v_lshrrev_b32_e32 v39, 16, v38
	v_lshrrev_b32_e32 v41, 24, v38
	v_lshlrev_b16 v49, 8, v36
	s_delay_alu instid0(VALU_DEP_3) | instskip(NEXT) | instid1(VALU_DEP_3)
	v_perm_b32 v40, 0, v39, 0xc0c0001
	v_bfe_i32 v41, v41, 0, 8
	v_bfe_i32 v39, v39, 0, 8
	s_delay_alu instid0(VALU_DEP_3) | instskip(NEXT) | instid1(VALU_DEP_2)
	v_lshlrev_b32_e32 v40, 16, v40
	v_cmp_lt_i16_e64 s5, v41, v39
	v_min_i16 v42, v41, v39
	v_max_i16 v39, v41, v39
	s_delay_alu instid0(VALU_DEP_4) | instskip(NEXT) | instid1(VALU_DEP_3)
	v_and_or_b32 v40, 0xffff, v38, v40
	v_min_i16 v47, v42, v44
	v_cmp_lt_i16_e64 s6, v42, v36
	s_wait_alu 0xf1ff
	s_delay_alu instid0(VALU_DEP_3)
	v_cndmask_b32_e64 v38, v38, v40, s5
	v_lshlrev_b16 v40, 8, v42
	v_cmp_lt_i16_e64 s5, v42, v44
	v_and_b32_e32 v41, 0xff, v47
	v_cndmask_b32_e64 v54, v47, v36, s6
	v_and_b32_e32 v43, 0xff, v38
	v_cndmask_b32_e64 v36, v36, v47, s6
	s_delay_alu instid0(VALU_DEP_4) | instskip(NEXT) | instid1(VALU_DEP_3)
	v_or_b32_e32 v41, v41, v49
	v_or_b32_e32 v40, v43, v40
	v_perm_b32 v43, v44, v38, 0xc0c0304
	v_max_i16 v44, v42, v44
	s_delay_alu instid0(VALU_DEP_4) | instskip(NEXT) | instid1(VALU_DEP_4)
	v_and_b32_e32 v41, 0xffff, v41
	v_and_b32_e32 v40, 0xffff, v40
	s_delay_alu instid0(VALU_DEP_1) | instskip(SKIP_2) | instid1(VALU_DEP_2)
	v_lshl_or_b32 v40, v43, 16, v40
	v_bfe_i32 v43, v35, 0, 8
	s_wait_alu 0xf1ff
	v_cndmask_b32_e64 v38, v38, v40, s5
	s_delay_alu instid0(VALU_DEP_2) | instskip(SKIP_2) | instid1(VALU_DEP_4)
	v_min_i16 v40, v45, v43
	v_cmp_lt_i16_e64 s5, v45, v43
	v_max_i16 v43, v45, v43
	v_lshrrev_b32_e32 v46, 16, v38
	s_delay_alu instid0(VALU_DEP_4)
	v_lshlrev_b16 v37, 8, v40
	s_wait_alu 0xf1ff
	v_cndmask_b32_e64 v35, v35, v48, s5
	v_cmp_lt_i16_e64 s5, v40, v39
	v_lshlrev_b16 v48, 8, v44
	v_and_b32_e32 v46, 0xff, v46
	s_delay_alu instid0(VALU_DEP_4) | instskip(NEXT) | instid1(VALU_DEP_2)
	v_lshrrev_b32_e32 v49, 16, v35
	v_or_b32_e32 v37, v46, v37
	v_min_i16 v46, v40, v39
	s_delay_alu instid0(VALU_DEP_3) | instskip(NEXT) | instid1(VALU_DEP_3)
	v_bfe_i32 v49, v49, 0, 8
	v_lshlrev_b32_e32 v37, 16, v37
	s_delay_alu instid0(VALU_DEP_3) | instskip(NEXT) | instid1(VALU_DEP_2)
	v_and_b32_e32 v45, 0xff, v46
	v_and_or_b32 v37, 0xffff, v38, v37
	s_delay_alu instid0(VALU_DEP_2) | instskip(SKIP_2) | instid1(VALU_DEP_3)
	v_or_b32_e32 v45, v45, v48
	v_perm_b32 v48, v35, v35, 0x6070504
	s_wait_alu 0xf1ff
	v_cndmask_b32_e64 v37, v38, v37, s5
	v_lshrrev_b32_e32 v38, 24, v35
	v_lshlrev_b32_e32 v45, 16, v45
	s_delay_alu instid0(VALU_DEP_3) | instskip(NEXT) | instid1(VALU_DEP_3)
	v_and_or_b32 v41, 0xffff0000, v37, v41
	v_bfe_i32 v38, v38, 0, 8
	s_delay_alu instid0(VALU_DEP_2) | instskip(NEXT) | instid1(VALU_DEP_2)
	v_cndmask_b32_e64 v37, v37, v41, s6
	v_cmp_lt_i16_e64 s7, v38, v49
	v_and_b32_e32 v41, 0xff, v43
	s_delay_alu instid0(VALU_DEP_3) | instskip(SKIP_1) | instid1(VALU_DEP_3)
	v_and_or_b32 v42, 0xffff, v37, v45
	s_wait_alu 0xf1ff
	v_cndmask_b32_e64 v35, v35, v48, s7
	v_cmp_lt_i16_e64 s7, v46, v44
	v_min_i16 v48, v46, v44
	v_max_i16 v45, v38, v49
	v_min_i16 v38, v38, v49
	v_max_i16 v44, v46, v44
	s_wait_alu 0xf1ff
	v_cndmask_b32_e64 v37, v37, v42, s7
	v_lshlrev_b16 v49, 8, v48
	v_perm_b32 v42, v39, v35, 0x3020104
	v_max_i16 v52, v38, v43
	v_and_b32_e32 v53, 0xff, v45
	v_and_b32_e32 v50, 0xff, v37
	v_perm_b32 v46, v54, v37, 0xc0c0304
	v_cndmask_b32_e64 v35, v35, v42, s5
	v_lshlrev_b16 v56, 8, v52
	v_cmp_lt_i16_e64 s5, v48, v54
	v_or_b32_e32 v49, v50, v49
	v_max_i16 v39, v40, v39
	v_min_i16 v51, v38, v43
	v_lshlrev_b16 v40, 8, v38
	v_min_i16 v47, v48, v54
	v_and_b32_e32 v49, 0xffff, v49
	v_lshlrev_b16 v55, 8, v39
	v_min_i16 v58, v51, v39
	v_and_b32_e32 v50, 0xff, v51
	v_max_i16 v48, v48, v54
	v_lshl_or_b32 v46, v46, 16, v49
	v_or_b32_e32 v49, v53, v56
	v_lshrrev_b32_e32 v53, 16, v35
	v_and_b32_e32 v56, 0xff, v35
	v_lshlrev_b16 v42, 8, v58
	s_wait_alu 0xf1ff
	v_cndmask_b32_e64 v37, v37, v46, s5
	v_or_b32_e32 v50, v50, v55
	v_and_b32_e32 v53, 0xffffff00, v53
	v_or_b32_e32 v40, v56, v40
	v_cmp_lt_i16_e64 s5, v38, v43
	v_lshrrev_b32_e32 v59, 16, v37
	v_min_i16 v60, v58, v44
	v_or_b32_e32 v41, v41, v53
	v_and_b32_e32 v40, 0xffff, v40
	v_lshlrev_b16 v53, 8, v36
	v_and_b32_e32 v56, 0xff, v59
	v_and_b32_e32 v50, 0xffff, v50
	v_lshlrev_b32_e32 v41, 16, v41
	v_and_b32_e32 v54, 0xff, v60
	v_cmp_lt_i16_e64 s6, v51, v39
	v_or_b32_e32 v42, v56, v42
	v_and_b32_e32 v56, 0xff, v47
	v_or_b32_e32 v40, v40, v41
	v_max_i16 v57, v51, v39
	v_cmp_lt_i16_e64 s7, v60, v48
	v_lshlrev_b32_e32 v42, 16, v42
	v_or_b32_e32 v41, v56, v53
	s_wait_alu 0xf1ff
	v_cndmask_b32_e64 v35, v35, v40, s5
	v_cmp_lt_i16_e64 s5, v58, v44
	v_lshlrev_b16 v53, 8, v48
	v_and_or_b32 v42, 0xffff, v37, v42
	v_and_b32_e32 v38, 0xffff, v41
	v_lshlrev_b32_e32 v41, 16, v49
	v_and_b32_e32 v46, 0xff, v57
	v_or_b32_e32 v40, v54, v53
	s_wait_alu 0xf1ff
	v_cndmask_b32_e64 v37, v37, v42, s5
	v_and_or_b32 v42, 0xffff0000, v35, v50
	v_max_i16 v55, v58, v44
	v_lshlrev_b32_e32 v40, 16, v40
	s_delay_alu instid0(VALU_DEP_4) | instskip(NEXT) | instid1(VALU_DEP_4)
	v_and_or_b32 v38, 0xffff0000, v37, v38
	v_cndmask_b32_e64 v35, v35, v42, s6
	v_cmp_lt_i16_e64 s6, v47, v36
	v_min_i16 v42, v60, v48
	v_lshlrev_b16 v49, 8, v55
	s_delay_alu instid0(VALU_DEP_4)
	v_and_or_b32 v39, 0xffff, v35, v41
	s_wait_alu 0xf1ff
	v_cndmask_b32_e64 v37, v37, v38, s6
	v_cmp_gt_i16_e64 s6, v43, v45
	v_min_i16 v38, v47, v36
	v_max_i16 v36, v47, v36
	v_max_i16 v41, v60, v48
	v_and_or_b32 v40, 0xffff, v37, v40
	s_wait_alu 0xf1ff
	v_cndmask_b32_e64 v35, v35, v39, s6
	v_lshlrev_b16 v39, 8, v42
	v_cndmask_b32_e64 v50, v52, v45, s6
	v_cndmask_b32_e64 v45, v45, v52, s6
	;; [unrolled: 1-line block ×3, first 2 shown]
	v_perm_b32 v43, v44, v35, 0x3020104
	v_max_i16 v40, v42, v36
	v_min_i16 v56, v50, v57
	v_min_i16 v44, v42, v36
	v_and_b32_e32 v47, 0xff, v37
	v_cndmask_b32_e64 v35, v35, v43, s5
	v_perm_b32 v52, v36, v37, 0xc0c0304
	v_cmp_lt_i16_e64 s5, v42, v36
	v_max_i16 v53, v50, v57
	v_or_b32_e32 v39, v47, v39
	v_lshrrev_b32_e32 v51, 16, v35
	v_lshlrev_b16 v47, 8, v50
	v_and_b32_e32 v54, 0xff, v35
	v_lshlrev_b16 v48, 8, v38
	v_and_b32_e32 v39, 0xffff, v39
	v_and_b32_e32 v51, 0xffffff00, v51
	;; [unrolled: 1-line block ×3, first 2 shown]
	v_or_b32_e32 v47, v54, v47
	v_cmp_lt_i16_e64 s6, v45, v53
	v_lshl_or_b32 v39, v52, 16, v39
	v_or_b32_e32 v46, v46, v51
	v_and_b32_e32 v52, 0xff, v45
	v_or_b32_e32 v43, v43, v48
	s_wait_alu 0xf1ff
	v_cndmask_b32_e64 v36, v37, v39, s5
	v_and_b32_e32 v37, 0xff, v56
	v_and_b32_e32 v39, 0xffff, v47
	v_lshlrev_b32_e32 v46, 16, v46
	v_min_i16 v47, v56, v55
	v_lshrrev_b32_e32 v51, 16, v36
	v_or_b32_e32 v37, v37, v49
	v_cmp_lt_i16_e64 s5, v50, v57
	v_or_b32_e32 v39, v39, v46
	v_lshlrev_b16 v49, 8, v53
	v_lshlrev_b16 v46, 8, v47
	v_and_b32_e32 v51, 0xff, v51
	v_and_b32_e32 v37, 0xffff, v37
	s_wait_alu 0xf1ff
	v_cndmask_b32_e64 v35, v35, v39, s5
	v_or_b32_e32 v49, v52, v49
	v_cmp_lt_i16_e64 s5, v56, v55
	v_or_b32_e32 v46, v51, v46
	v_min_i16 v48, v47, v41
	v_and_or_b32 v37, 0xffff0000, v35, v37
	v_lshlrev_b32_e32 v49, 16, v49
	v_lshlrev_b16 v39, 8, v40
	v_lshlrev_b32_e32 v46, 16, v46
	v_max_i16 v50, v56, v55
	s_wait_alu 0xf1ff
	v_cndmask_b32_e64 v35, v35, v37, s5
	v_and_b32_e32 v37, 0xffff, v43
	v_cmp_lt_i16_e64 s5, v47, v41
	v_and_or_b32 v43, 0xffff, v36, v46
	v_and_b32_e32 v46, 0xff, v48
	v_and_or_b32 v49, 0xffff, v35, v49
	s_wait_alu 0xf1ff
	s_delay_alu instid0(VALU_DEP_3) | instskip(NEXT) | instid1(VALU_DEP_3)
	v_cndmask_b32_e64 v36, v36, v43, s5
	v_or_b32_e32 v39, v46, v39
	s_delay_alu instid0(VALU_DEP_3)
	v_cndmask_b32_e64 v35, v35, v49, s6
	v_cmp_lt_i16_e64 s6, v42, v38
	v_max_i16 v43, v45, v53
	v_and_or_b32 v37, 0xffff0000, v36, v37
	v_lshlrev_b32_e32 v39, 16, v39
	v_perm_b32 v46, v41, v35, 0x3020104
	v_min_i16 v45, v45, v53
	v_max_i16 v41, v47, v41
	s_wait_alu 0xf1ff
	v_cndmask_b32_e64 v36, v36, v37, s6
	v_and_b32_e32 v37, 0xff, v50
	v_cndmask_b32_e64 v35, v35, v46, s5
	v_cmp_lt_i16_e64 s5, v48, v40
	v_lshlrev_b16 v42, 8, v45
	v_and_or_b32 v39, 0xffff, v36, v39
	v_min_i16 v47, v48, v40
	v_lshrrev_b32_e32 v49, 16, v35
	v_and_b32_e32 v51, 0xff, v35
	v_cndmask_b32_e64 v38, v44, v38, s6
	s_wait_alu 0xf1ff
	v_cndmask_b32_e64 v36, v36, v39, s5
	v_min_i16 v39, v45, v50
	v_and_b32_e32 v49, 0xffffff00, v49
	v_lshlrev_b16 v52, 8, v47
	v_or_b32_e32 v42, v51, v42
	v_and_b32_e32 v53, 0xff, v36
	v_and_b32_e32 v54, 0xff, v39
	v_or_b32_e32 v37, v37, v49
	v_lshlrev_b16 v49, 8, v41
	v_and_b32_e32 v42, 0xffff, v42
	v_or_b32_e32 v44, v53, v52
	v_max_i16 v46, v45, v50
	v_lshlrev_b32_e32 v37, 16, v37
	v_perm_b32 v51, v38, v36, 0xc0c0304
	v_or_b32_e32 v49, v54, v49
	v_and_b32_e32 v44, 0xffff, v44
	v_cmp_lt_i16_e64 s5, v45, v50
	v_or_b32_e32 v37, v42, v37
	v_and_b32_e32 v52, 0xff, v43
	v_lshlrev_b16 v42, 8, v46
	v_lshl_or_b32 v44, v51, 16, v44
	v_and_b32_e32 v49, 0xffff, v49
	s_wait_alu 0xf1ff
	v_cndmask_b32_e64 v35, v35, v37, s5
	v_cmp_lt_i16_e64 s5, v47, v38
	v_or_b32_e32 v38, v52, v42
	v_min_i16 v37, v39, v41
	v_max_i16 v40, v48, v40
	v_and_or_b32 v42, 0xffff0000, v35, v49
	s_wait_alu 0xf1ff
	v_cndmask_b32_e64 v36, v36, v44, s5
	v_cmp_lt_i16_e64 s5, v39, v41
	v_lshlrev_b32_e32 v38, 16, v38
	v_lshlrev_b16 v45, 8, v37
	v_cmp_lt_i16_e64 s6, v37, v40
	v_lshrrev_b32_e32 v44, 16, v36
	s_wait_alu 0xf1ff
	v_cndmask_b32_e64 v35, v35, v42, s5
	v_cmp_gt_i16_e64 s5, v50, v43
	v_max_i16 v37, v39, v41
	v_and_b32_e32 v42, 0xff, v44
	s_delay_alu instid0(VALU_DEP_4) | instskip(NEXT) | instid1(VALU_DEP_2)
	v_and_or_b32 v38, 0xffff, v35, v38
	v_or_b32_e32 v42, v42, v45
	s_wait_alu 0xf1ff
	s_delay_alu instid0(VALU_DEP_2) | instskip(NEXT) | instid1(VALU_DEP_2)
	v_cndmask_b32_e64 v35, v35, v38, s5
	v_lshlrev_b32_e32 v38, 16, v42
	s_delay_alu instid0(VALU_DEP_2) | instskip(SKIP_1) | instid1(VALU_DEP_3)
	v_perm_b32 v42, v40, v35, 0x3020104
	v_and_b32_e32 v40, 0xff, v37
	v_and_or_b32 v38, 0xffff, v36, v38
	s_delay_alu instid0(VALU_DEP_3) | instskip(NEXT) | instid1(VALU_DEP_2)
	v_cndmask_b32_e64 v35, v35, v42, s6
	v_cndmask_b32_e64 v36, v36, v38, s6
	;; [unrolled: 1-line block ×3, first 2 shown]
	s_delay_alu instid0(VALU_DEP_3) | instskip(SKIP_1) | instid1(VALU_DEP_3)
	v_lshrrev_b32_e32 v39, 16, v35
	v_and_b32_e32 v42, 0xff, v35
	v_lshlrev_b16 v41, 8, v38
	s_delay_alu instid0(VALU_DEP_3) | instskip(SKIP_1) | instid1(VALU_DEP_3)
	v_and_b32_e32 v39, 0xffffff00, v39
	v_cmp_lt_i16_e64 s5, v38, v37
	v_or_b32_e32 v41, v42, v41
	s_delay_alu instid0(VALU_DEP_3) | instskip(NEXT) | instid1(VALU_DEP_2)
	v_or_b32_e32 v39, v40, v39
	v_and_b32_e32 v40, 0xffff, v41
	s_delay_alu instid0(VALU_DEP_2) | instskip(NEXT) | instid1(VALU_DEP_1)
	v_lshlrev_b32_e32 v39, 16, v39
	v_or_b32_e32 v39, v40, v39
	s_wait_alu 0xf1ff
	s_delay_alu instid0(VALU_DEP_1)
	v_cndmask_b32_e64 v37, v35, v39, s5
	v_mov_b32_e32 v35, v30
	ds_store_b64 v1, v[36:37]
	s_wait_loadcnt_dscnt 0x0
	s_barrier_signal -1
	s_barrier_wait -1
	global_inv scope:SCOPE_SE
	s_and_saveexec_b32 s6, s0
	s_cbranch_execz .LBB48_6
; %bb.3:                                ;   in Loop: Header=BB48_2 Depth=1
	v_dual_mov_b32 v35, v30 :: v_dual_mov_b32 v36, v25
	s_mov_b32 s7, 0
.LBB48_4:                               ;   Parent Loop BB48_2 Depth=1
                                        ; =>  This Inner Loop Header: Depth=2
	s_delay_alu instid0(VALU_DEP_1) | instskip(NEXT) | instid1(VALU_DEP_1)
	v_sub_nc_u32_e32 v37, v36, v35
	v_lshrrev_b32_e32 v37, 1, v37
	s_delay_alu instid0(VALU_DEP_1) | instskip(NEXT) | instid1(VALU_DEP_1)
	v_add_nc_u32_e32 v37, v37, v35
	v_add_nc_u32_e32 v38, v2, v37
	v_xad_u32 v39, v37, -1, v20
	v_add_nc_u32_e32 v40, 1, v37
	ds_load_i8 v38, v38
	ds_load_i8 v39, v39
	s_wait_dscnt 0x0
	v_cmp_lt_i16_e64 s5, v39, v38
	s_wait_alu 0xf1ff
	s_delay_alu instid0(VALU_DEP_1) | instskip(SKIP_1) | instid1(VALU_DEP_1)
	v_cndmask_b32_e64 v36, v36, v37, s5
	v_cndmask_b32_e64 v35, v40, v35, s5
	v_cmp_ge_i32_e64 s5, v35, v36
	s_wait_alu 0xfffe
	s_or_b32 s7, s5, s7
	s_wait_alu 0xfffe
	s_and_not1_b32 exec_lo, exec_lo, s7
	s_cbranch_execnz .LBB48_4
; %bb.5:                                ;   in Loop: Header=BB48_2 Depth=1
	s_or_b32 exec_lo, exec_lo, s7
.LBB48_6:                               ;   in Loop: Header=BB48_2 Depth=1
	s_wait_alu 0xfffe
	s_or_b32 exec_lo, exec_lo, s6
	v_add_nc_u32_e32 v40, v35, v2
	v_sub_nc_u32_e32 v39, v20, v35
                                        ; implicit-def: $vgpr37
	ds_load_u8 v35, v40
	ds_load_u8 v36, v39
	v_cmp_le_i32_e64 s5, v10, v40
	v_cmp_gt_i32_e64 s7, v11, v39
	s_wait_dscnt 0x1
	v_bfe_i32 v35, v35, 0, 8
	s_wait_dscnt 0x0
	v_bfe_i32 v36, v36, 0, 8
	s_delay_alu instid0(VALU_DEP_1)
	v_cmp_lt_i16_e64 s6, v36, v35
	s_or_b32 s5, s5, s6
	s_wait_alu 0xfffe
	s_and_b32 s5, s7, s5
	s_wait_alu 0xfffe
	s_xor_b32 s6, s5, -1
	s_wait_alu 0xfffe
	s_and_saveexec_b32 s7, s6
	s_wait_alu 0xfffe
	s_xor_b32 s6, exec_lo, s7
; %bb.7:                                ;   in Loop: Header=BB48_2 Depth=1
	ds_load_u8 v37, v40 offset:1
; %bb.8:                                ;   in Loop: Header=BB48_2 Depth=1
	s_wait_alu 0xfffe
	s_or_saveexec_b32 s6, s6
	v_mov_b32_e32 v38, v36
	s_wait_alu 0xfffe
	s_xor_b32 exec_lo, exec_lo, s6
	s_cbranch_execz .LBB48_10
; %bb.9:                                ;   in Loop: Header=BB48_2 Depth=1
	ds_load_u8 v38, v39 offset:1
	s_wait_dscnt 0x1
	v_mov_b32_e32 v37, v35
.LBB48_10:                              ;   in Loop: Header=BB48_2 Depth=1
	s_or_b32 exec_lo, exec_lo, s6
	v_add_nc_u32_e32 v41, 1, v40
	v_add_nc_u32_e32 v43, 1, v39
	s_wait_dscnt 0x0
	v_bfe_i32 v44, v37, 0, 8
	s_delay_alu instid0(VALU_DEP_3) | instskip(SKIP_2) | instid1(VALU_DEP_3)
	v_cndmask_b32_e64 v42, v41, v40, s5
	v_bfe_i32 v40, v38, 0, 8
	v_cndmask_b32_e64 v41, v39, v43, s5
                                        ; implicit-def: $vgpr39
	v_cmp_ge_i32_e64 s6, v42, v10
	s_delay_alu instid0(VALU_DEP_3) | instskip(NEXT) | instid1(VALU_DEP_3)
	v_cmp_lt_i16_e64 s7, v40, v44
	v_cmp_lt_i32_e64 s8, v41, v11
	s_or_b32 s6, s6, s7
	s_wait_alu 0xfffe
	s_and_b32 s6, s8, s6
	s_wait_alu 0xfffe
	s_xor_b32 s7, s6, -1
	s_wait_alu 0xfffe
	s_and_saveexec_b32 s8, s7
	s_wait_alu 0xfffe
	s_xor_b32 s7, exec_lo, s8
; %bb.11:                               ;   in Loop: Header=BB48_2 Depth=1
	ds_load_u8 v39, v42 offset:1
; %bb.12:                               ;   in Loop: Header=BB48_2 Depth=1
	s_wait_alu 0xfffe
	s_or_saveexec_b32 s7, s7
	v_mov_b32_e32 v40, v38
	s_wait_alu 0xfffe
	s_xor_b32 exec_lo, exec_lo, s7
	s_cbranch_execz .LBB48_14
; %bb.13:                               ;   in Loop: Header=BB48_2 Depth=1
	ds_load_u8 v40, v41 offset:1
	s_wait_dscnt 0x1
	v_mov_b32_e32 v39, v37
.LBB48_14:                              ;   in Loop: Header=BB48_2 Depth=1
	s_or_b32 exec_lo, exec_lo, s7
	v_add_nc_u32_e32 v43, 1, v42
	v_add_nc_u32_e32 v45, 1, v41
	s_wait_dscnt 0x0
	v_bfe_i32 v46, v39, 0, 8
	s_delay_alu instid0(VALU_DEP_3) | instskip(SKIP_2) | instid1(VALU_DEP_3)
	v_cndmask_b32_e64 v44, v43, v42, s6
	v_bfe_i32 v42, v40, 0, 8
	v_cndmask_b32_e64 v43, v41, v45, s6
                                        ; implicit-def: $vgpr41
	v_cmp_ge_i32_e64 s7, v44, v10
	s_delay_alu instid0(VALU_DEP_3) | instskip(NEXT) | instid1(VALU_DEP_3)
	v_cmp_lt_i16_e64 s8, v42, v46
	v_cmp_lt_i32_e64 s9, v43, v11
	s_or_b32 s7, s7, s8
	s_wait_alu 0xfffe
	s_and_b32 s7, s9, s7
	s_wait_alu 0xfffe
	s_xor_b32 s8, s7, -1
	s_wait_alu 0xfffe
	s_and_saveexec_b32 s9, s8
	s_wait_alu 0xfffe
	s_xor_b32 s8, exec_lo, s9
; %bb.15:                               ;   in Loop: Header=BB48_2 Depth=1
	ds_load_u8 v41, v44 offset:1
; %bb.16:                               ;   in Loop: Header=BB48_2 Depth=1
	s_wait_alu 0xfffe
	s_or_saveexec_b32 s8, s8
	v_mov_b32_e32 v42, v40
	s_wait_alu 0xfffe
	s_xor_b32 exec_lo, exec_lo, s8
	s_cbranch_execz .LBB48_18
; %bb.17:                               ;   in Loop: Header=BB48_2 Depth=1
	ds_load_u8 v42, v43 offset:1
	s_wait_dscnt 0x1
	v_mov_b32_e32 v41, v39
.LBB48_18:                              ;   in Loop: Header=BB48_2 Depth=1
	s_or_b32 exec_lo, exec_lo, s8
	v_add_nc_u32_e32 v45, 1, v44
	v_add_nc_u32_e32 v47, 1, v43
	s_wait_dscnt 0x0
	v_bfe_i32 v48, v41, 0, 8
	s_delay_alu instid0(VALU_DEP_3) | instskip(SKIP_2) | instid1(VALU_DEP_3)
	v_cndmask_b32_e64 v46, v45, v44, s7
	v_bfe_i32 v44, v42, 0, 8
	v_cndmask_b32_e64 v45, v43, v47, s7
                                        ; implicit-def: $vgpr43
	v_cmp_ge_i32_e64 s8, v46, v10
	s_delay_alu instid0(VALU_DEP_3) | instskip(NEXT) | instid1(VALU_DEP_3)
	v_cmp_lt_i16_e64 s9, v44, v48
	v_cmp_lt_i32_e64 s10, v45, v11
	s_or_b32 s8, s8, s9
	s_wait_alu 0xfffe
	s_and_b32 s8, s10, s8
	s_wait_alu 0xfffe
	s_xor_b32 s9, s8, -1
	s_wait_alu 0xfffe
	s_and_saveexec_b32 s10, s9
	s_wait_alu 0xfffe
	s_xor_b32 s9, exec_lo, s10
; %bb.19:                               ;   in Loop: Header=BB48_2 Depth=1
	ds_load_u8 v43, v46 offset:1
; %bb.20:                               ;   in Loop: Header=BB48_2 Depth=1
	s_wait_alu 0xfffe
	s_or_saveexec_b32 s9, s9
	v_mov_b32_e32 v44, v42
	s_wait_alu 0xfffe
	s_xor_b32 exec_lo, exec_lo, s9
	s_cbranch_execz .LBB48_22
; %bb.21:                               ;   in Loop: Header=BB48_2 Depth=1
	ds_load_u8 v44, v45 offset:1
	s_wait_dscnt 0x1
	v_mov_b32_e32 v43, v41
.LBB48_22:                              ;   in Loop: Header=BB48_2 Depth=1
	s_or_b32 exec_lo, exec_lo, s9
	v_add_nc_u32_e32 v47, 1, v46
	v_add_nc_u32_e32 v49, 1, v45
	s_wait_dscnt 0x0
	v_bfe_i32 v50, v43, 0, 8
	s_delay_alu instid0(VALU_DEP_3) | instskip(SKIP_2) | instid1(VALU_DEP_3)
	v_cndmask_b32_e64 v48, v47, v46, s8
	v_bfe_i32 v46, v44, 0, 8
	v_cndmask_b32_e64 v47, v45, v49, s8
                                        ; implicit-def: $vgpr45
	v_cmp_ge_i32_e64 s9, v48, v10
	s_delay_alu instid0(VALU_DEP_3) | instskip(NEXT) | instid1(VALU_DEP_3)
	v_cmp_lt_i16_e64 s10, v46, v50
	v_cmp_lt_i32_e64 s11, v47, v11
	s_or_b32 s9, s9, s10
	s_wait_alu 0xfffe
	s_and_b32 s9, s11, s9
	s_wait_alu 0xfffe
	s_xor_b32 s10, s9, -1
	s_wait_alu 0xfffe
	s_and_saveexec_b32 s11, s10
	s_wait_alu 0xfffe
	s_xor_b32 s10, exec_lo, s11
; %bb.23:                               ;   in Loop: Header=BB48_2 Depth=1
	ds_load_u8 v45, v48 offset:1
; %bb.24:                               ;   in Loop: Header=BB48_2 Depth=1
	s_wait_alu 0xfffe
	s_or_saveexec_b32 s10, s10
	v_mov_b32_e32 v46, v44
	s_wait_alu 0xfffe
	s_xor_b32 exec_lo, exec_lo, s10
	s_cbranch_execz .LBB48_26
; %bb.25:                               ;   in Loop: Header=BB48_2 Depth=1
	ds_load_u8 v46, v47 offset:1
	s_wait_dscnt 0x1
	v_mov_b32_e32 v45, v43
.LBB48_26:                              ;   in Loop: Header=BB48_2 Depth=1
	s_or_b32 exec_lo, exec_lo, s10
	v_add_nc_u32_e32 v49, 1, v48
	v_add_nc_u32_e32 v51, 1, v47
	s_wait_dscnt 0x0
	v_bfe_i32 v52, v45, 0, 8
	s_delay_alu instid0(VALU_DEP_3) | instskip(SKIP_2) | instid1(VALU_DEP_3)
	v_cndmask_b32_e64 v50, v49, v48, s9
	v_bfe_i32 v48, v46, 0, 8
	v_cndmask_b32_e64 v49, v47, v51, s9
                                        ; implicit-def: $vgpr47
	v_cmp_ge_i32_e64 s10, v50, v10
	s_delay_alu instid0(VALU_DEP_3) | instskip(NEXT) | instid1(VALU_DEP_3)
	v_cmp_lt_i16_e64 s11, v48, v52
	v_cmp_lt_i32_e64 s12, v49, v11
	s_or_b32 s10, s10, s11
	s_wait_alu 0xfffe
	s_and_b32 s10, s12, s10
	s_wait_alu 0xfffe
	s_xor_b32 s11, s10, -1
	s_wait_alu 0xfffe
	s_and_saveexec_b32 s12, s11
	s_delay_alu instid0(SALU_CYCLE_1)
	s_xor_b32 s11, exec_lo, s12
; %bb.27:                               ;   in Loop: Header=BB48_2 Depth=1
	ds_load_u8 v47, v50 offset:1
; %bb.28:                               ;   in Loop: Header=BB48_2 Depth=1
	s_wait_alu 0xfffe
	s_or_saveexec_b32 s11, s11
	v_mov_b32_e32 v48, v46
	s_wait_alu 0xfffe
	s_xor_b32 exec_lo, exec_lo, s11
	s_cbranch_execz .LBB48_30
; %bb.29:                               ;   in Loop: Header=BB48_2 Depth=1
	ds_load_u8 v48, v49 offset:1
	s_wait_dscnt 0x1
	v_mov_b32_e32 v47, v45
.LBB48_30:                              ;   in Loop: Header=BB48_2 Depth=1
	s_or_b32 exec_lo, exec_lo, s11
	v_add_nc_u32_e32 v51, 1, v50
	v_add_nc_u32_e32 v52, 1, v49
	s_wait_dscnt 0x0
	v_bfe_i32 v53, v47, 0, 8
	v_bfe_i32 v54, v48, 0, 8
	v_cndmask_b32_e64 v51, v51, v50, s10
	v_cndmask_b32_e64 v50, v49, v52, s10
                                        ; implicit-def: $vgpr49
	s_delay_alu instid0(VALU_DEP_3) | instskip(NEXT) | instid1(VALU_DEP_3)
	v_cmp_lt_i16_e64 s12, v54, v53
	v_cmp_ge_i32_e64 s11, v51, v10
	s_delay_alu instid0(VALU_DEP_3)
	v_cmp_lt_i32_e64 s13, v50, v11
	s_or_b32 s11, s11, s12
	s_wait_alu 0xfffe
	s_and_b32 s11, s13, s11
	s_wait_alu 0xfffe
	s_xor_b32 s12, s11, -1
	s_delay_alu instid0(SALU_CYCLE_1) | instskip(NEXT) | instid1(SALU_CYCLE_1)
	s_and_saveexec_b32 s13, s12
	s_xor_b32 s12, exec_lo, s13
; %bb.31:                               ;   in Loop: Header=BB48_2 Depth=1
	ds_load_u8 v49, v51 offset:1
; %bb.32:                               ;   in Loop: Header=BB48_2 Depth=1
	s_or_saveexec_b32 s12, s12
	v_mov_b32_e32 v52, v48
	s_xor_b32 exec_lo, exec_lo, s12
	s_cbranch_execz .LBB48_34
; %bb.33:                               ;   in Loop: Header=BB48_2 Depth=1
	ds_load_u8 v52, v50 offset:1
	s_wait_dscnt 0x1
	v_mov_b32_e32 v49, v47
.LBB48_34:                              ;   in Loop: Header=BB48_2 Depth=1
	s_or_b32 exec_lo, exec_lo, s12
	v_cndmask_b32_e64 v41, v41, v42, s8
	v_cndmask_b32_e64 v37, v37, v38, s6
	;; [unrolled: 1-line block ×4, first 2 shown]
	v_add_nc_u32_e32 v53, 1, v51
	v_lshlrev_b16 v39, 8, v41
	v_lshlrev_b16 v37, 8, v37
	v_and_b32_e32 v35, 0xff, v35
	v_and_b32_e32 v36, 0xff, v36
	v_cndmask_b32_e64 v47, v47, v48, s11
	v_add_nc_u32_e32 v48, 1, v50
	s_wait_dscnt 0x0
	v_bfe_i32 v54, v49, 0, 8
	v_or_b32_e32 v35, v35, v37
	v_or_b32_e32 v36, v36, v39
	v_bfe_i32 v55, v52, 0, 8
	v_cndmask_b32_e64 v51, v53, v51, s11
	v_cndmask_b32_e64 v45, v45, v46, s10
	v_and_b32_e32 v35, 0xffff, v35
	v_lshlrev_b32_e32 v36, 16, v36
	v_cndmask_b32_e64 v43, v43, v44, s9
	v_cmp_lt_i16_e64 s9, v55, v54
	v_cmp_ge_i32_e64 s10, v51, v10
	v_lshlrev_b16 v40, 8, v45
	v_or_b32_e32 v36, v35, v36
	v_mov_b32_e32 v35, v31
	v_cndmask_b32_e64 v46, v50, v48, s11
	s_or_b32 s5, s10, s9
	v_and_b32_e32 v41, 0xff, v43
	v_and_b32_e32 v42, 0xff, v47
	s_wait_loadcnt 0x0
	v_cmp_lt_i32_e64 s8, v46, v11
	s_barrier_signal -1
	v_or_b32_e32 v37, v41, v40
	s_barrier_wait -1
	global_inv scope:SCOPE_SE
	s_wait_alu 0xfffe
	s_and_b32 s5, s8, s5
	s_wait_alu 0xfffe
	v_cndmask_b32_e64 v38, v49, v52, s5
	v_and_b32_e32 v37, 0xffff, v37
	s_delay_alu instid0(VALU_DEP_2) | instskip(NEXT) | instid1(VALU_DEP_1)
	v_lshlrev_b16 v38, 8, v38
	v_or_b32_e32 v38, v42, v38
	s_delay_alu instid0(VALU_DEP_1) | instskip(NEXT) | instid1(VALU_DEP_1)
	v_lshlrev_b32_e32 v38, 16, v38
	v_or_b32_e32 v37, v37, v38
	ds_store_b64 v1, v[36:37]
	s_wait_loadcnt_dscnt 0x0
	s_barrier_signal -1
	s_barrier_wait -1
	global_inv scope:SCOPE_SE
	s_and_saveexec_b32 s6, s1
	s_cbranch_execz .LBB48_38
; %bb.35:                               ;   in Loop: Header=BB48_2 Depth=1
	v_dual_mov_b32 v35, v31 :: v_dual_mov_b32 v36, v26
	s_mov_b32 s7, 0
.LBB48_36:                              ;   Parent Loop BB48_2 Depth=1
                                        ; =>  This Inner Loop Header: Depth=2
	s_delay_alu instid0(VALU_DEP_1) | instskip(NEXT) | instid1(VALU_DEP_1)
	v_sub_nc_u32_e32 v37, v36, v35
	v_lshrrev_b32_e32 v37, 1, v37
	s_delay_alu instid0(VALU_DEP_1) | instskip(NEXT) | instid1(VALU_DEP_1)
	v_add_nc_u32_e32 v37, v37, v35
	v_add_nc_u32_e32 v38, v3, v37
	v_xad_u32 v39, v37, -1, v21
	v_add_nc_u32_e32 v40, 1, v37
	ds_load_i8 v38, v38
	ds_load_i8 v39, v39
	s_wait_dscnt 0x0
	v_cmp_lt_i16_e64 s5, v39, v38
	s_wait_alu 0xf1ff
	s_delay_alu instid0(VALU_DEP_1) | instskip(SKIP_1) | instid1(VALU_DEP_1)
	v_cndmask_b32_e64 v36, v36, v37, s5
	v_cndmask_b32_e64 v35, v40, v35, s5
	v_cmp_ge_i32_e64 s5, v35, v36
	s_wait_alu 0xfffe
	s_or_b32 s7, s5, s7
	s_wait_alu 0xfffe
	s_and_not1_b32 exec_lo, exec_lo, s7
	s_cbranch_execnz .LBB48_36
; %bb.37:                               ;   in Loop: Header=BB48_2 Depth=1
	s_or_b32 exec_lo, exec_lo, s7
.LBB48_38:                              ;   in Loop: Header=BB48_2 Depth=1
	s_wait_alu 0xfffe
	s_or_b32 exec_lo, exec_lo, s6
	v_add_nc_u32_e32 v40, v35, v3
	v_sub_nc_u32_e32 v39, v21, v35
                                        ; implicit-def: $vgpr37
	ds_load_u8 v35, v40
	ds_load_u8 v36, v39
	v_cmp_le_i32_e64 s5, v12, v40
	v_cmp_gt_i32_e64 s7, v13, v39
	s_wait_dscnt 0x1
	v_bfe_i32 v35, v35, 0, 8
	s_wait_dscnt 0x0
	v_bfe_i32 v36, v36, 0, 8
	s_delay_alu instid0(VALU_DEP_1)
	v_cmp_lt_i16_e64 s6, v36, v35
	s_or_b32 s5, s5, s6
	s_wait_alu 0xfffe
	s_and_b32 s5, s7, s5
	s_wait_alu 0xfffe
	s_xor_b32 s6, s5, -1
	s_wait_alu 0xfffe
	s_and_saveexec_b32 s7, s6
	s_wait_alu 0xfffe
	s_xor_b32 s6, exec_lo, s7
; %bb.39:                               ;   in Loop: Header=BB48_2 Depth=1
	ds_load_u8 v37, v40 offset:1
; %bb.40:                               ;   in Loop: Header=BB48_2 Depth=1
	s_wait_alu 0xfffe
	s_or_saveexec_b32 s6, s6
	v_mov_b32_e32 v38, v36
	s_wait_alu 0xfffe
	s_xor_b32 exec_lo, exec_lo, s6
	s_cbranch_execz .LBB48_42
; %bb.41:                               ;   in Loop: Header=BB48_2 Depth=1
	ds_load_u8 v38, v39 offset:1
	s_wait_dscnt 0x1
	v_mov_b32_e32 v37, v35
.LBB48_42:                              ;   in Loop: Header=BB48_2 Depth=1
	s_or_b32 exec_lo, exec_lo, s6
	v_add_nc_u32_e32 v41, 1, v40
	v_add_nc_u32_e32 v43, 1, v39
	s_wait_dscnt 0x0
	v_bfe_i32 v44, v37, 0, 8
	s_delay_alu instid0(VALU_DEP_3) | instskip(SKIP_2) | instid1(VALU_DEP_3)
	v_cndmask_b32_e64 v42, v41, v40, s5
	v_bfe_i32 v40, v38, 0, 8
	v_cndmask_b32_e64 v41, v39, v43, s5
                                        ; implicit-def: $vgpr39
	v_cmp_ge_i32_e64 s6, v42, v12
	s_delay_alu instid0(VALU_DEP_3) | instskip(NEXT) | instid1(VALU_DEP_3)
	v_cmp_lt_i16_e64 s7, v40, v44
	v_cmp_lt_i32_e64 s8, v41, v13
	s_or_b32 s6, s6, s7
	s_wait_alu 0xfffe
	s_and_b32 s6, s8, s6
	s_wait_alu 0xfffe
	s_xor_b32 s7, s6, -1
	s_wait_alu 0xfffe
	s_and_saveexec_b32 s8, s7
	s_wait_alu 0xfffe
	s_xor_b32 s7, exec_lo, s8
; %bb.43:                               ;   in Loop: Header=BB48_2 Depth=1
	ds_load_u8 v39, v42 offset:1
; %bb.44:                               ;   in Loop: Header=BB48_2 Depth=1
	s_wait_alu 0xfffe
	s_or_saveexec_b32 s7, s7
	v_mov_b32_e32 v40, v38
	s_wait_alu 0xfffe
	s_xor_b32 exec_lo, exec_lo, s7
	s_cbranch_execz .LBB48_46
; %bb.45:                               ;   in Loop: Header=BB48_2 Depth=1
	ds_load_u8 v40, v41 offset:1
	s_wait_dscnt 0x1
	v_mov_b32_e32 v39, v37
.LBB48_46:                              ;   in Loop: Header=BB48_2 Depth=1
	s_or_b32 exec_lo, exec_lo, s7
	v_add_nc_u32_e32 v43, 1, v42
	v_add_nc_u32_e32 v45, 1, v41
	s_wait_dscnt 0x0
	v_bfe_i32 v46, v39, 0, 8
	s_delay_alu instid0(VALU_DEP_3) | instskip(SKIP_2) | instid1(VALU_DEP_3)
	v_cndmask_b32_e64 v44, v43, v42, s6
	v_bfe_i32 v42, v40, 0, 8
	v_cndmask_b32_e64 v43, v41, v45, s6
                                        ; implicit-def: $vgpr41
	v_cmp_ge_i32_e64 s7, v44, v12
	s_delay_alu instid0(VALU_DEP_3) | instskip(NEXT) | instid1(VALU_DEP_3)
	v_cmp_lt_i16_e64 s8, v42, v46
	v_cmp_lt_i32_e64 s9, v43, v13
	s_or_b32 s7, s7, s8
	s_wait_alu 0xfffe
	s_and_b32 s7, s9, s7
	s_wait_alu 0xfffe
	s_xor_b32 s8, s7, -1
	s_wait_alu 0xfffe
	s_and_saveexec_b32 s9, s8
	s_wait_alu 0xfffe
	s_xor_b32 s8, exec_lo, s9
; %bb.47:                               ;   in Loop: Header=BB48_2 Depth=1
	ds_load_u8 v41, v44 offset:1
; %bb.48:                               ;   in Loop: Header=BB48_2 Depth=1
	s_wait_alu 0xfffe
	s_or_saveexec_b32 s8, s8
	v_mov_b32_e32 v42, v40
	s_wait_alu 0xfffe
	s_xor_b32 exec_lo, exec_lo, s8
	s_cbranch_execz .LBB48_50
; %bb.49:                               ;   in Loop: Header=BB48_2 Depth=1
	ds_load_u8 v42, v43 offset:1
	s_wait_dscnt 0x1
	v_mov_b32_e32 v41, v39
.LBB48_50:                              ;   in Loop: Header=BB48_2 Depth=1
	s_or_b32 exec_lo, exec_lo, s8
	v_add_nc_u32_e32 v45, 1, v44
	v_add_nc_u32_e32 v47, 1, v43
	s_wait_dscnt 0x0
	v_bfe_i32 v48, v41, 0, 8
	s_delay_alu instid0(VALU_DEP_3) | instskip(SKIP_2) | instid1(VALU_DEP_3)
	v_cndmask_b32_e64 v46, v45, v44, s7
	v_bfe_i32 v44, v42, 0, 8
	v_cndmask_b32_e64 v45, v43, v47, s7
                                        ; implicit-def: $vgpr43
	v_cmp_ge_i32_e64 s8, v46, v12
	s_delay_alu instid0(VALU_DEP_3) | instskip(NEXT) | instid1(VALU_DEP_3)
	v_cmp_lt_i16_e64 s9, v44, v48
	v_cmp_lt_i32_e64 s10, v45, v13
	s_or_b32 s8, s8, s9
	s_wait_alu 0xfffe
	s_and_b32 s8, s10, s8
	s_wait_alu 0xfffe
	s_xor_b32 s9, s8, -1
	s_wait_alu 0xfffe
	s_and_saveexec_b32 s10, s9
	s_wait_alu 0xfffe
	s_xor_b32 s9, exec_lo, s10
; %bb.51:                               ;   in Loop: Header=BB48_2 Depth=1
	ds_load_u8 v43, v46 offset:1
; %bb.52:                               ;   in Loop: Header=BB48_2 Depth=1
	s_wait_alu 0xfffe
	s_or_saveexec_b32 s9, s9
	v_mov_b32_e32 v44, v42
	s_wait_alu 0xfffe
	s_xor_b32 exec_lo, exec_lo, s9
	s_cbranch_execz .LBB48_54
; %bb.53:                               ;   in Loop: Header=BB48_2 Depth=1
	ds_load_u8 v44, v45 offset:1
	s_wait_dscnt 0x1
	v_mov_b32_e32 v43, v41
.LBB48_54:                              ;   in Loop: Header=BB48_2 Depth=1
	s_or_b32 exec_lo, exec_lo, s9
	v_add_nc_u32_e32 v47, 1, v46
	v_add_nc_u32_e32 v49, 1, v45
	s_wait_dscnt 0x0
	v_bfe_i32 v50, v43, 0, 8
	s_delay_alu instid0(VALU_DEP_3) | instskip(SKIP_2) | instid1(VALU_DEP_3)
	v_cndmask_b32_e64 v48, v47, v46, s8
	v_bfe_i32 v46, v44, 0, 8
	v_cndmask_b32_e64 v47, v45, v49, s8
                                        ; implicit-def: $vgpr45
	v_cmp_ge_i32_e64 s9, v48, v12
	s_delay_alu instid0(VALU_DEP_3) | instskip(NEXT) | instid1(VALU_DEP_3)
	v_cmp_lt_i16_e64 s10, v46, v50
	v_cmp_lt_i32_e64 s11, v47, v13
	s_or_b32 s9, s9, s10
	s_wait_alu 0xfffe
	s_and_b32 s9, s11, s9
	s_wait_alu 0xfffe
	s_xor_b32 s10, s9, -1
	s_wait_alu 0xfffe
	s_and_saveexec_b32 s11, s10
	s_wait_alu 0xfffe
	s_xor_b32 s10, exec_lo, s11
; %bb.55:                               ;   in Loop: Header=BB48_2 Depth=1
	ds_load_u8 v45, v48 offset:1
; %bb.56:                               ;   in Loop: Header=BB48_2 Depth=1
	s_wait_alu 0xfffe
	s_or_saveexec_b32 s10, s10
	v_mov_b32_e32 v46, v44
	s_wait_alu 0xfffe
	s_xor_b32 exec_lo, exec_lo, s10
	s_cbranch_execz .LBB48_58
; %bb.57:                               ;   in Loop: Header=BB48_2 Depth=1
	ds_load_u8 v46, v47 offset:1
	s_wait_dscnt 0x1
	v_mov_b32_e32 v45, v43
.LBB48_58:                              ;   in Loop: Header=BB48_2 Depth=1
	s_or_b32 exec_lo, exec_lo, s10
	v_add_nc_u32_e32 v49, 1, v48
	v_add_nc_u32_e32 v51, 1, v47
	s_wait_dscnt 0x0
	v_bfe_i32 v52, v45, 0, 8
	s_delay_alu instid0(VALU_DEP_3) | instskip(SKIP_2) | instid1(VALU_DEP_3)
	v_cndmask_b32_e64 v50, v49, v48, s9
	v_bfe_i32 v48, v46, 0, 8
	v_cndmask_b32_e64 v49, v47, v51, s9
                                        ; implicit-def: $vgpr47
	v_cmp_ge_i32_e64 s10, v50, v12
	s_delay_alu instid0(VALU_DEP_3) | instskip(NEXT) | instid1(VALU_DEP_3)
	v_cmp_lt_i16_e64 s11, v48, v52
	v_cmp_lt_i32_e64 s12, v49, v13
	s_or_b32 s10, s10, s11
	s_wait_alu 0xfffe
	s_and_b32 s10, s12, s10
	s_wait_alu 0xfffe
	s_xor_b32 s11, s10, -1
	s_wait_alu 0xfffe
	s_and_saveexec_b32 s12, s11
	s_delay_alu instid0(SALU_CYCLE_1)
	s_xor_b32 s11, exec_lo, s12
; %bb.59:                               ;   in Loop: Header=BB48_2 Depth=1
	ds_load_u8 v47, v50 offset:1
; %bb.60:                               ;   in Loop: Header=BB48_2 Depth=1
	s_wait_alu 0xfffe
	s_or_saveexec_b32 s11, s11
	v_mov_b32_e32 v48, v46
	s_wait_alu 0xfffe
	s_xor_b32 exec_lo, exec_lo, s11
	s_cbranch_execz .LBB48_62
; %bb.61:                               ;   in Loop: Header=BB48_2 Depth=1
	ds_load_u8 v48, v49 offset:1
	s_wait_dscnt 0x1
	v_mov_b32_e32 v47, v45
.LBB48_62:                              ;   in Loop: Header=BB48_2 Depth=1
	s_or_b32 exec_lo, exec_lo, s11
	v_add_nc_u32_e32 v51, 1, v50
	v_add_nc_u32_e32 v52, 1, v49
	s_wait_dscnt 0x0
	v_bfe_i32 v53, v47, 0, 8
	v_bfe_i32 v54, v48, 0, 8
	v_cndmask_b32_e64 v51, v51, v50, s10
	v_cndmask_b32_e64 v50, v49, v52, s10
                                        ; implicit-def: $vgpr49
	s_delay_alu instid0(VALU_DEP_3) | instskip(NEXT) | instid1(VALU_DEP_3)
	v_cmp_lt_i16_e64 s12, v54, v53
	v_cmp_ge_i32_e64 s11, v51, v12
	s_delay_alu instid0(VALU_DEP_3)
	v_cmp_lt_i32_e64 s13, v50, v13
	s_or_b32 s11, s11, s12
	s_wait_alu 0xfffe
	s_and_b32 s11, s13, s11
	s_wait_alu 0xfffe
	s_xor_b32 s12, s11, -1
	s_delay_alu instid0(SALU_CYCLE_1) | instskip(NEXT) | instid1(SALU_CYCLE_1)
	s_and_saveexec_b32 s13, s12
	s_xor_b32 s12, exec_lo, s13
; %bb.63:                               ;   in Loop: Header=BB48_2 Depth=1
	ds_load_u8 v49, v51 offset:1
; %bb.64:                               ;   in Loop: Header=BB48_2 Depth=1
	s_or_saveexec_b32 s12, s12
	v_mov_b32_e32 v52, v48
	s_xor_b32 exec_lo, exec_lo, s12
	s_cbranch_execz .LBB48_66
; %bb.65:                               ;   in Loop: Header=BB48_2 Depth=1
	ds_load_u8 v52, v50 offset:1
	s_wait_dscnt 0x1
	v_mov_b32_e32 v49, v47
.LBB48_66:                              ;   in Loop: Header=BB48_2 Depth=1
	s_or_b32 exec_lo, exec_lo, s12
	v_cndmask_b32_e64 v41, v41, v42, s8
	v_cndmask_b32_e64 v37, v37, v38, s6
	;; [unrolled: 1-line block ×4, first 2 shown]
	v_add_nc_u32_e32 v53, 1, v51
	v_lshlrev_b16 v39, 8, v41
	v_lshlrev_b16 v37, 8, v37
	v_and_b32_e32 v35, 0xff, v35
	v_and_b32_e32 v36, 0xff, v36
	v_cndmask_b32_e64 v47, v47, v48, s11
	v_add_nc_u32_e32 v48, 1, v50
	s_wait_dscnt 0x0
	v_bfe_i32 v54, v49, 0, 8
	v_or_b32_e32 v35, v35, v37
	v_or_b32_e32 v36, v36, v39
	v_bfe_i32 v55, v52, 0, 8
	v_cndmask_b32_e64 v51, v53, v51, s11
	v_cndmask_b32_e64 v45, v45, v46, s10
	v_and_b32_e32 v35, 0xffff, v35
	v_lshlrev_b32_e32 v36, 16, v36
	v_cndmask_b32_e64 v43, v43, v44, s9
	v_cmp_lt_i16_e64 s9, v55, v54
	v_cmp_ge_i32_e64 s10, v51, v12
	v_lshlrev_b16 v40, 8, v45
	v_or_b32_e32 v36, v35, v36
	v_mov_b32_e32 v35, v32
	v_cndmask_b32_e64 v46, v50, v48, s11
	s_or_b32 s5, s10, s9
	v_and_b32_e32 v41, 0xff, v43
	v_and_b32_e32 v42, 0xff, v47
	s_wait_loadcnt 0x0
	v_cmp_lt_i32_e64 s8, v46, v13
	s_barrier_signal -1
	v_or_b32_e32 v37, v41, v40
	s_barrier_wait -1
	global_inv scope:SCOPE_SE
	s_wait_alu 0xfffe
	s_and_b32 s5, s8, s5
	s_wait_alu 0xfffe
	v_cndmask_b32_e64 v38, v49, v52, s5
	v_and_b32_e32 v37, 0xffff, v37
	s_delay_alu instid0(VALU_DEP_2) | instskip(NEXT) | instid1(VALU_DEP_1)
	v_lshlrev_b16 v38, 8, v38
	v_or_b32_e32 v38, v42, v38
	s_delay_alu instid0(VALU_DEP_1) | instskip(NEXT) | instid1(VALU_DEP_1)
	v_lshlrev_b32_e32 v38, 16, v38
	v_or_b32_e32 v37, v37, v38
	ds_store_b64 v1, v[36:37]
	s_wait_loadcnt_dscnt 0x0
	s_barrier_signal -1
	s_barrier_wait -1
	global_inv scope:SCOPE_SE
	s_and_saveexec_b32 s6, s2
	s_cbranch_execz .LBB48_70
; %bb.67:                               ;   in Loop: Header=BB48_2 Depth=1
	v_dual_mov_b32 v35, v32 :: v_dual_mov_b32 v36, v27
	s_mov_b32 s7, 0
.LBB48_68:                              ;   Parent Loop BB48_2 Depth=1
                                        ; =>  This Inner Loop Header: Depth=2
	s_delay_alu instid0(VALU_DEP_1) | instskip(NEXT) | instid1(VALU_DEP_1)
	v_sub_nc_u32_e32 v37, v36, v35
	v_lshrrev_b32_e32 v37, 1, v37
	s_delay_alu instid0(VALU_DEP_1) | instskip(NEXT) | instid1(VALU_DEP_1)
	v_add_nc_u32_e32 v37, v37, v35
	v_add_nc_u32_e32 v38, v4, v37
	v_xad_u32 v39, v37, -1, v22
	v_add_nc_u32_e32 v40, 1, v37
	ds_load_i8 v38, v38
	ds_load_i8 v39, v39
	s_wait_dscnt 0x0
	v_cmp_lt_i16_e64 s5, v39, v38
	s_wait_alu 0xf1ff
	s_delay_alu instid0(VALU_DEP_1) | instskip(SKIP_1) | instid1(VALU_DEP_1)
	v_cndmask_b32_e64 v36, v36, v37, s5
	v_cndmask_b32_e64 v35, v40, v35, s5
	v_cmp_ge_i32_e64 s5, v35, v36
	s_wait_alu 0xfffe
	s_or_b32 s7, s5, s7
	s_wait_alu 0xfffe
	s_and_not1_b32 exec_lo, exec_lo, s7
	s_cbranch_execnz .LBB48_68
; %bb.69:                               ;   in Loop: Header=BB48_2 Depth=1
	s_or_b32 exec_lo, exec_lo, s7
.LBB48_70:                              ;   in Loop: Header=BB48_2 Depth=1
	s_wait_alu 0xfffe
	s_or_b32 exec_lo, exec_lo, s6
	v_add_nc_u32_e32 v40, v35, v4
	v_sub_nc_u32_e32 v39, v22, v35
                                        ; implicit-def: $vgpr37
	ds_load_u8 v35, v40
	ds_load_u8 v36, v39
	v_cmp_le_i32_e64 s5, v14, v40
	v_cmp_gt_i32_e64 s7, v15, v39
	s_wait_dscnt 0x1
	v_bfe_i32 v35, v35, 0, 8
	s_wait_dscnt 0x0
	v_bfe_i32 v36, v36, 0, 8
	s_delay_alu instid0(VALU_DEP_1)
	v_cmp_lt_i16_e64 s6, v36, v35
	s_or_b32 s5, s5, s6
	s_wait_alu 0xfffe
	s_and_b32 s5, s7, s5
	s_wait_alu 0xfffe
	s_xor_b32 s6, s5, -1
	s_wait_alu 0xfffe
	s_and_saveexec_b32 s7, s6
	s_wait_alu 0xfffe
	s_xor_b32 s6, exec_lo, s7
; %bb.71:                               ;   in Loop: Header=BB48_2 Depth=1
	ds_load_u8 v37, v40 offset:1
; %bb.72:                               ;   in Loop: Header=BB48_2 Depth=1
	s_wait_alu 0xfffe
	s_or_saveexec_b32 s6, s6
	v_mov_b32_e32 v38, v36
	s_wait_alu 0xfffe
	s_xor_b32 exec_lo, exec_lo, s6
	s_cbranch_execz .LBB48_74
; %bb.73:                               ;   in Loop: Header=BB48_2 Depth=1
	ds_load_u8 v38, v39 offset:1
	s_wait_dscnt 0x1
	v_mov_b32_e32 v37, v35
.LBB48_74:                              ;   in Loop: Header=BB48_2 Depth=1
	s_or_b32 exec_lo, exec_lo, s6
	v_add_nc_u32_e32 v41, 1, v40
	v_add_nc_u32_e32 v43, 1, v39
	s_wait_dscnt 0x0
	v_bfe_i32 v44, v37, 0, 8
	s_delay_alu instid0(VALU_DEP_3) | instskip(SKIP_2) | instid1(VALU_DEP_3)
	v_cndmask_b32_e64 v42, v41, v40, s5
	v_bfe_i32 v40, v38, 0, 8
	v_cndmask_b32_e64 v41, v39, v43, s5
                                        ; implicit-def: $vgpr39
	v_cmp_ge_i32_e64 s6, v42, v14
	s_delay_alu instid0(VALU_DEP_3) | instskip(NEXT) | instid1(VALU_DEP_3)
	v_cmp_lt_i16_e64 s7, v40, v44
	v_cmp_lt_i32_e64 s8, v41, v15
	s_or_b32 s6, s6, s7
	s_wait_alu 0xfffe
	s_and_b32 s6, s8, s6
	s_wait_alu 0xfffe
	s_xor_b32 s7, s6, -1
	s_wait_alu 0xfffe
	s_and_saveexec_b32 s8, s7
	s_wait_alu 0xfffe
	s_xor_b32 s7, exec_lo, s8
; %bb.75:                               ;   in Loop: Header=BB48_2 Depth=1
	ds_load_u8 v39, v42 offset:1
; %bb.76:                               ;   in Loop: Header=BB48_2 Depth=1
	s_wait_alu 0xfffe
	s_or_saveexec_b32 s7, s7
	v_mov_b32_e32 v40, v38
	s_wait_alu 0xfffe
	s_xor_b32 exec_lo, exec_lo, s7
	s_cbranch_execz .LBB48_78
; %bb.77:                               ;   in Loop: Header=BB48_2 Depth=1
	ds_load_u8 v40, v41 offset:1
	s_wait_dscnt 0x1
	v_mov_b32_e32 v39, v37
.LBB48_78:                              ;   in Loop: Header=BB48_2 Depth=1
	s_or_b32 exec_lo, exec_lo, s7
	v_add_nc_u32_e32 v43, 1, v42
	v_add_nc_u32_e32 v45, 1, v41
	s_wait_dscnt 0x0
	v_bfe_i32 v46, v39, 0, 8
	s_delay_alu instid0(VALU_DEP_3) | instskip(SKIP_2) | instid1(VALU_DEP_3)
	v_cndmask_b32_e64 v44, v43, v42, s6
	v_bfe_i32 v42, v40, 0, 8
	v_cndmask_b32_e64 v43, v41, v45, s6
                                        ; implicit-def: $vgpr41
	v_cmp_ge_i32_e64 s7, v44, v14
	s_delay_alu instid0(VALU_DEP_3) | instskip(NEXT) | instid1(VALU_DEP_3)
	v_cmp_lt_i16_e64 s8, v42, v46
	v_cmp_lt_i32_e64 s9, v43, v15
	s_or_b32 s7, s7, s8
	s_wait_alu 0xfffe
	s_and_b32 s7, s9, s7
	s_wait_alu 0xfffe
	s_xor_b32 s8, s7, -1
	s_wait_alu 0xfffe
	s_and_saveexec_b32 s9, s8
	s_wait_alu 0xfffe
	s_xor_b32 s8, exec_lo, s9
; %bb.79:                               ;   in Loop: Header=BB48_2 Depth=1
	ds_load_u8 v41, v44 offset:1
; %bb.80:                               ;   in Loop: Header=BB48_2 Depth=1
	s_wait_alu 0xfffe
	s_or_saveexec_b32 s8, s8
	v_mov_b32_e32 v42, v40
	s_wait_alu 0xfffe
	s_xor_b32 exec_lo, exec_lo, s8
	s_cbranch_execz .LBB48_82
; %bb.81:                               ;   in Loop: Header=BB48_2 Depth=1
	ds_load_u8 v42, v43 offset:1
	s_wait_dscnt 0x1
	v_mov_b32_e32 v41, v39
.LBB48_82:                              ;   in Loop: Header=BB48_2 Depth=1
	s_or_b32 exec_lo, exec_lo, s8
	v_add_nc_u32_e32 v45, 1, v44
	v_add_nc_u32_e32 v47, 1, v43
	s_wait_dscnt 0x0
	v_bfe_i32 v48, v41, 0, 8
	s_delay_alu instid0(VALU_DEP_3) | instskip(SKIP_2) | instid1(VALU_DEP_3)
	v_cndmask_b32_e64 v46, v45, v44, s7
	v_bfe_i32 v44, v42, 0, 8
	v_cndmask_b32_e64 v45, v43, v47, s7
                                        ; implicit-def: $vgpr43
	v_cmp_ge_i32_e64 s8, v46, v14
	s_delay_alu instid0(VALU_DEP_3) | instskip(NEXT) | instid1(VALU_DEP_3)
	v_cmp_lt_i16_e64 s9, v44, v48
	v_cmp_lt_i32_e64 s10, v45, v15
	s_or_b32 s8, s8, s9
	s_wait_alu 0xfffe
	s_and_b32 s8, s10, s8
	s_wait_alu 0xfffe
	s_xor_b32 s9, s8, -1
	s_wait_alu 0xfffe
	s_and_saveexec_b32 s10, s9
	s_wait_alu 0xfffe
	s_xor_b32 s9, exec_lo, s10
; %bb.83:                               ;   in Loop: Header=BB48_2 Depth=1
	ds_load_u8 v43, v46 offset:1
; %bb.84:                               ;   in Loop: Header=BB48_2 Depth=1
	s_wait_alu 0xfffe
	s_or_saveexec_b32 s9, s9
	v_mov_b32_e32 v44, v42
	s_wait_alu 0xfffe
	s_xor_b32 exec_lo, exec_lo, s9
	s_cbranch_execz .LBB48_86
; %bb.85:                               ;   in Loop: Header=BB48_2 Depth=1
	ds_load_u8 v44, v45 offset:1
	s_wait_dscnt 0x1
	v_mov_b32_e32 v43, v41
.LBB48_86:                              ;   in Loop: Header=BB48_2 Depth=1
	s_or_b32 exec_lo, exec_lo, s9
	v_add_nc_u32_e32 v47, 1, v46
	v_add_nc_u32_e32 v49, 1, v45
	s_wait_dscnt 0x0
	v_bfe_i32 v50, v43, 0, 8
	s_delay_alu instid0(VALU_DEP_3) | instskip(SKIP_2) | instid1(VALU_DEP_3)
	v_cndmask_b32_e64 v48, v47, v46, s8
	v_bfe_i32 v46, v44, 0, 8
	v_cndmask_b32_e64 v47, v45, v49, s8
                                        ; implicit-def: $vgpr45
	v_cmp_ge_i32_e64 s9, v48, v14
	s_delay_alu instid0(VALU_DEP_3) | instskip(NEXT) | instid1(VALU_DEP_3)
	v_cmp_lt_i16_e64 s10, v46, v50
	v_cmp_lt_i32_e64 s11, v47, v15
	s_or_b32 s9, s9, s10
	s_wait_alu 0xfffe
	s_and_b32 s9, s11, s9
	s_wait_alu 0xfffe
	s_xor_b32 s10, s9, -1
	s_wait_alu 0xfffe
	s_and_saveexec_b32 s11, s10
	s_wait_alu 0xfffe
	s_xor_b32 s10, exec_lo, s11
; %bb.87:                               ;   in Loop: Header=BB48_2 Depth=1
	ds_load_u8 v45, v48 offset:1
; %bb.88:                               ;   in Loop: Header=BB48_2 Depth=1
	s_wait_alu 0xfffe
	s_or_saveexec_b32 s10, s10
	v_mov_b32_e32 v46, v44
	s_wait_alu 0xfffe
	s_xor_b32 exec_lo, exec_lo, s10
	s_cbranch_execz .LBB48_90
; %bb.89:                               ;   in Loop: Header=BB48_2 Depth=1
	ds_load_u8 v46, v47 offset:1
	s_wait_dscnt 0x1
	v_mov_b32_e32 v45, v43
.LBB48_90:                              ;   in Loop: Header=BB48_2 Depth=1
	s_or_b32 exec_lo, exec_lo, s10
	v_add_nc_u32_e32 v49, 1, v48
	v_add_nc_u32_e32 v51, 1, v47
	s_wait_dscnt 0x0
	v_bfe_i32 v52, v45, 0, 8
	s_delay_alu instid0(VALU_DEP_3) | instskip(SKIP_2) | instid1(VALU_DEP_3)
	v_cndmask_b32_e64 v50, v49, v48, s9
	v_bfe_i32 v48, v46, 0, 8
	v_cndmask_b32_e64 v49, v47, v51, s9
                                        ; implicit-def: $vgpr47
	v_cmp_ge_i32_e64 s10, v50, v14
	s_delay_alu instid0(VALU_DEP_3) | instskip(NEXT) | instid1(VALU_DEP_3)
	v_cmp_lt_i16_e64 s11, v48, v52
	v_cmp_lt_i32_e64 s12, v49, v15
	s_or_b32 s10, s10, s11
	s_wait_alu 0xfffe
	s_and_b32 s10, s12, s10
	s_wait_alu 0xfffe
	s_xor_b32 s11, s10, -1
	s_wait_alu 0xfffe
	s_and_saveexec_b32 s12, s11
	s_delay_alu instid0(SALU_CYCLE_1)
	s_xor_b32 s11, exec_lo, s12
; %bb.91:                               ;   in Loop: Header=BB48_2 Depth=1
	ds_load_u8 v47, v50 offset:1
; %bb.92:                               ;   in Loop: Header=BB48_2 Depth=1
	s_wait_alu 0xfffe
	s_or_saveexec_b32 s11, s11
	v_mov_b32_e32 v48, v46
	s_wait_alu 0xfffe
	s_xor_b32 exec_lo, exec_lo, s11
	s_cbranch_execz .LBB48_94
; %bb.93:                               ;   in Loop: Header=BB48_2 Depth=1
	ds_load_u8 v48, v49 offset:1
	s_wait_dscnt 0x1
	v_mov_b32_e32 v47, v45
.LBB48_94:                              ;   in Loop: Header=BB48_2 Depth=1
	s_or_b32 exec_lo, exec_lo, s11
	v_add_nc_u32_e32 v51, 1, v50
	v_add_nc_u32_e32 v52, 1, v49
	s_wait_dscnt 0x0
	v_bfe_i32 v53, v47, 0, 8
	v_bfe_i32 v54, v48, 0, 8
	v_cndmask_b32_e64 v51, v51, v50, s10
	v_cndmask_b32_e64 v50, v49, v52, s10
                                        ; implicit-def: $vgpr49
	s_delay_alu instid0(VALU_DEP_3) | instskip(NEXT) | instid1(VALU_DEP_3)
	v_cmp_lt_i16_e64 s12, v54, v53
	v_cmp_ge_i32_e64 s11, v51, v14
	s_delay_alu instid0(VALU_DEP_3)
	v_cmp_lt_i32_e64 s13, v50, v15
	s_or_b32 s11, s11, s12
	s_wait_alu 0xfffe
	s_and_b32 s11, s13, s11
	s_wait_alu 0xfffe
	s_xor_b32 s12, s11, -1
	s_delay_alu instid0(SALU_CYCLE_1) | instskip(NEXT) | instid1(SALU_CYCLE_1)
	s_and_saveexec_b32 s13, s12
	s_xor_b32 s12, exec_lo, s13
; %bb.95:                               ;   in Loop: Header=BB48_2 Depth=1
	ds_load_u8 v49, v51 offset:1
; %bb.96:                               ;   in Loop: Header=BB48_2 Depth=1
	s_or_saveexec_b32 s12, s12
	v_mov_b32_e32 v52, v48
	s_xor_b32 exec_lo, exec_lo, s12
	s_cbranch_execz .LBB48_98
; %bb.97:                               ;   in Loop: Header=BB48_2 Depth=1
	ds_load_u8 v52, v50 offset:1
	s_wait_dscnt 0x1
	v_mov_b32_e32 v49, v47
.LBB48_98:                              ;   in Loop: Header=BB48_2 Depth=1
	s_or_b32 exec_lo, exec_lo, s12
	v_cndmask_b32_e64 v41, v41, v42, s8
	v_cndmask_b32_e64 v37, v37, v38, s6
	;; [unrolled: 1-line block ×4, first 2 shown]
	v_add_nc_u32_e32 v53, 1, v51
	v_lshlrev_b16 v39, 8, v41
	v_lshlrev_b16 v37, 8, v37
	v_and_b32_e32 v35, 0xff, v35
	v_and_b32_e32 v36, 0xff, v36
	v_cndmask_b32_e64 v47, v47, v48, s11
	v_add_nc_u32_e32 v48, 1, v50
	s_wait_dscnt 0x0
	v_bfe_i32 v54, v49, 0, 8
	v_or_b32_e32 v35, v35, v37
	v_or_b32_e32 v36, v36, v39
	v_bfe_i32 v55, v52, 0, 8
	v_cndmask_b32_e64 v51, v53, v51, s11
	v_cndmask_b32_e64 v45, v45, v46, s10
	v_and_b32_e32 v35, 0xffff, v35
	v_lshlrev_b32_e32 v36, 16, v36
	v_cndmask_b32_e64 v43, v43, v44, s9
	v_cmp_lt_i16_e64 s9, v55, v54
	v_cmp_ge_i32_e64 s10, v51, v14
	v_lshlrev_b16 v40, 8, v45
	v_or_b32_e32 v36, v35, v36
	v_mov_b32_e32 v35, v33
	v_cndmask_b32_e64 v46, v50, v48, s11
	s_or_b32 s5, s10, s9
	v_and_b32_e32 v41, 0xff, v43
	v_and_b32_e32 v42, 0xff, v47
	s_wait_loadcnt 0x0
	v_cmp_lt_i32_e64 s8, v46, v15
	s_barrier_signal -1
	v_or_b32_e32 v37, v41, v40
	s_barrier_wait -1
	global_inv scope:SCOPE_SE
	s_wait_alu 0xfffe
	s_and_b32 s5, s8, s5
	s_wait_alu 0xfffe
	v_cndmask_b32_e64 v38, v49, v52, s5
	v_and_b32_e32 v37, 0xffff, v37
	s_delay_alu instid0(VALU_DEP_2) | instskip(NEXT) | instid1(VALU_DEP_1)
	v_lshlrev_b16 v38, 8, v38
	v_or_b32_e32 v38, v42, v38
	s_delay_alu instid0(VALU_DEP_1) | instskip(NEXT) | instid1(VALU_DEP_1)
	v_lshlrev_b32_e32 v38, 16, v38
	v_or_b32_e32 v37, v37, v38
	ds_store_b64 v1, v[36:37]
	s_wait_loadcnt_dscnt 0x0
	s_barrier_signal -1
	s_barrier_wait -1
	global_inv scope:SCOPE_SE
	s_and_saveexec_b32 s6, s3
	s_cbranch_execz .LBB48_102
; %bb.99:                               ;   in Loop: Header=BB48_2 Depth=1
	v_dual_mov_b32 v35, v33 :: v_dual_mov_b32 v36, v28
	s_mov_b32 s7, 0
.LBB48_100:                             ;   Parent Loop BB48_2 Depth=1
                                        ; =>  This Inner Loop Header: Depth=2
	s_delay_alu instid0(VALU_DEP_1) | instskip(NEXT) | instid1(VALU_DEP_1)
	v_sub_nc_u32_e32 v37, v36, v35
	v_lshrrev_b32_e32 v37, 1, v37
	s_delay_alu instid0(VALU_DEP_1) | instskip(NEXT) | instid1(VALU_DEP_1)
	v_add_nc_u32_e32 v37, v37, v35
	v_add_nc_u32_e32 v38, v5, v37
	v_xad_u32 v39, v37, -1, v23
	v_add_nc_u32_e32 v40, 1, v37
	ds_load_i8 v38, v38
	ds_load_i8 v39, v39
	s_wait_dscnt 0x0
	v_cmp_lt_i16_e64 s5, v39, v38
	s_wait_alu 0xf1ff
	s_delay_alu instid0(VALU_DEP_1) | instskip(SKIP_1) | instid1(VALU_DEP_1)
	v_cndmask_b32_e64 v36, v36, v37, s5
	v_cndmask_b32_e64 v35, v40, v35, s5
	v_cmp_ge_i32_e64 s5, v35, v36
	s_wait_alu 0xfffe
	s_or_b32 s7, s5, s7
	s_wait_alu 0xfffe
	s_and_not1_b32 exec_lo, exec_lo, s7
	s_cbranch_execnz .LBB48_100
; %bb.101:                              ;   in Loop: Header=BB48_2 Depth=1
	s_or_b32 exec_lo, exec_lo, s7
.LBB48_102:                             ;   in Loop: Header=BB48_2 Depth=1
	s_wait_alu 0xfffe
	s_or_b32 exec_lo, exec_lo, s6
	v_add_nc_u32_e32 v40, v35, v5
	v_sub_nc_u32_e32 v39, v23, v35
                                        ; implicit-def: $vgpr37
	ds_load_u8 v35, v40
	ds_load_u8 v36, v39
	v_cmp_le_i32_e64 s5, v16, v40
	v_cmp_gt_i32_e64 s7, v17, v39
	s_wait_dscnt 0x1
	v_bfe_i32 v35, v35, 0, 8
	s_wait_dscnt 0x0
	v_bfe_i32 v36, v36, 0, 8
	s_delay_alu instid0(VALU_DEP_1)
	v_cmp_lt_i16_e64 s6, v36, v35
	s_or_b32 s5, s5, s6
	s_wait_alu 0xfffe
	s_and_b32 s5, s7, s5
	s_wait_alu 0xfffe
	s_xor_b32 s6, s5, -1
	s_wait_alu 0xfffe
	s_and_saveexec_b32 s7, s6
	s_wait_alu 0xfffe
	s_xor_b32 s6, exec_lo, s7
; %bb.103:                              ;   in Loop: Header=BB48_2 Depth=1
	ds_load_u8 v37, v40 offset:1
; %bb.104:                              ;   in Loop: Header=BB48_2 Depth=1
	s_wait_alu 0xfffe
	s_or_saveexec_b32 s6, s6
	v_mov_b32_e32 v38, v36
	s_wait_alu 0xfffe
	s_xor_b32 exec_lo, exec_lo, s6
	s_cbranch_execz .LBB48_106
; %bb.105:                              ;   in Loop: Header=BB48_2 Depth=1
	ds_load_u8 v38, v39 offset:1
	s_wait_dscnt 0x1
	v_mov_b32_e32 v37, v35
.LBB48_106:                             ;   in Loop: Header=BB48_2 Depth=1
	s_or_b32 exec_lo, exec_lo, s6
	v_add_nc_u32_e32 v41, 1, v40
	v_add_nc_u32_e32 v43, 1, v39
	s_wait_dscnt 0x0
	v_bfe_i32 v44, v37, 0, 8
	s_delay_alu instid0(VALU_DEP_3) | instskip(SKIP_2) | instid1(VALU_DEP_3)
	v_cndmask_b32_e64 v42, v41, v40, s5
	v_bfe_i32 v40, v38, 0, 8
	v_cndmask_b32_e64 v41, v39, v43, s5
                                        ; implicit-def: $vgpr39
	v_cmp_ge_i32_e64 s6, v42, v16
	s_delay_alu instid0(VALU_DEP_3) | instskip(NEXT) | instid1(VALU_DEP_3)
	v_cmp_lt_i16_e64 s7, v40, v44
	v_cmp_lt_i32_e64 s8, v41, v17
	s_or_b32 s6, s6, s7
	s_wait_alu 0xfffe
	s_and_b32 s6, s8, s6
	s_wait_alu 0xfffe
	s_xor_b32 s7, s6, -1
	s_wait_alu 0xfffe
	s_and_saveexec_b32 s8, s7
	s_wait_alu 0xfffe
	s_xor_b32 s7, exec_lo, s8
; %bb.107:                              ;   in Loop: Header=BB48_2 Depth=1
	ds_load_u8 v39, v42 offset:1
; %bb.108:                              ;   in Loop: Header=BB48_2 Depth=1
	s_wait_alu 0xfffe
	s_or_saveexec_b32 s7, s7
	v_mov_b32_e32 v40, v38
	s_wait_alu 0xfffe
	s_xor_b32 exec_lo, exec_lo, s7
	s_cbranch_execz .LBB48_110
; %bb.109:                              ;   in Loop: Header=BB48_2 Depth=1
	ds_load_u8 v40, v41 offset:1
	s_wait_dscnt 0x1
	v_mov_b32_e32 v39, v37
.LBB48_110:                             ;   in Loop: Header=BB48_2 Depth=1
	s_or_b32 exec_lo, exec_lo, s7
	v_add_nc_u32_e32 v43, 1, v42
	v_add_nc_u32_e32 v45, 1, v41
	s_wait_dscnt 0x0
	v_bfe_i32 v46, v39, 0, 8
	s_delay_alu instid0(VALU_DEP_3) | instskip(SKIP_2) | instid1(VALU_DEP_3)
	v_cndmask_b32_e64 v44, v43, v42, s6
	v_bfe_i32 v42, v40, 0, 8
	v_cndmask_b32_e64 v43, v41, v45, s6
                                        ; implicit-def: $vgpr41
	v_cmp_ge_i32_e64 s7, v44, v16
	s_delay_alu instid0(VALU_DEP_3) | instskip(NEXT) | instid1(VALU_DEP_3)
	v_cmp_lt_i16_e64 s8, v42, v46
	v_cmp_lt_i32_e64 s9, v43, v17
	s_or_b32 s7, s7, s8
	s_wait_alu 0xfffe
	s_and_b32 s7, s9, s7
	s_wait_alu 0xfffe
	s_xor_b32 s8, s7, -1
	s_wait_alu 0xfffe
	s_and_saveexec_b32 s9, s8
	s_wait_alu 0xfffe
	s_xor_b32 s8, exec_lo, s9
; %bb.111:                              ;   in Loop: Header=BB48_2 Depth=1
	ds_load_u8 v41, v44 offset:1
; %bb.112:                              ;   in Loop: Header=BB48_2 Depth=1
	s_wait_alu 0xfffe
	s_or_saveexec_b32 s8, s8
	v_mov_b32_e32 v42, v40
	s_wait_alu 0xfffe
	s_xor_b32 exec_lo, exec_lo, s8
	s_cbranch_execz .LBB48_114
; %bb.113:                              ;   in Loop: Header=BB48_2 Depth=1
	ds_load_u8 v42, v43 offset:1
	s_wait_dscnt 0x1
	v_mov_b32_e32 v41, v39
.LBB48_114:                             ;   in Loop: Header=BB48_2 Depth=1
	s_or_b32 exec_lo, exec_lo, s8
	v_add_nc_u32_e32 v45, 1, v44
	v_add_nc_u32_e32 v47, 1, v43
	s_wait_dscnt 0x0
	v_bfe_i32 v48, v41, 0, 8
	s_delay_alu instid0(VALU_DEP_3) | instskip(SKIP_2) | instid1(VALU_DEP_3)
	v_cndmask_b32_e64 v46, v45, v44, s7
	v_bfe_i32 v44, v42, 0, 8
	v_cndmask_b32_e64 v45, v43, v47, s7
                                        ; implicit-def: $vgpr43
	v_cmp_ge_i32_e64 s8, v46, v16
	s_delay_alu instid0(VALU_DEP_3) | instskip(NEXT) | instid1(VALU_DEP_3)
	v_cmp_lt_i16_e64 s9, v44, v48
	v_cmp_lt_i32_e64 s10, v45, v17
	s_or_b32 s8, s8, s9
	s_wait_alu 0xfffe
	s_and_b32 s8, s10, s8
	s_wait_alu 0xfffe
	s_xor_b32 s9, s8, -1
	s_wait_alu 0xfffe
	s_and_saveexec_b32 s10, s9
	s_wait_alu 0xfffe
	s_xor_b32 s9, exec_lo, s10
; %bb.115:                              ;   in Loop: Header=BB48_2 Depth=1
	ds_load_u8 v43, v46 offset:1
; %bb.116:                              ;   in Loop: Header=BB48_2 Depth=1
	s_wait_alu 0xfffe
	s_or_saveexec_b32 s9, s9
	v_mov_b32_e32 v44, v42
	s_wait_alu 0xfffe
	s_xor_b32 exec_lo, exec_lo, s9
	s_cbranch_execz .LBB48_118
; %bb.117:                              ;   in Loop: Header=BB48_2 Depth=1
	ds_load_u8 v44, v45 offset:1
	s_wait_dscnt 0x1
	v_mov_b32_e32 v43, v41
.LBB48_118:                             ;   in Loop: Header=BB48_2 Depth=1
	s_or_b32 exec_lo, exec_lo, s9
	v_add_nc_u32_e32 v47, 1, v46
	v_add_nc_u32_e32 v49, 1, v45
	s_wait_dscnt 0x0
	v_bfe_i32 v50, v43, 0, 8
	s_delay_alu instid0(VALU_DEP_3) | instskip(SKIP_2) | instid1(VALU_DEP_3)
	v_cndmask_b32_e64 v48, v47, v46, s8
	v_bfe_i32 v46, v44, 0, 8
	v_cndmask_b32_e64 v47, v45, v49, s8
                                        ; implicit-def: $vgpr45
	v_cmp_ge_i32_e64 s9, v48, v16
	s_delay_alu instid0(VALU_DEP_3) | instskip(NEXT) | instid1(VALU_DEP_3)
	v_cmp_lt_i16_e64 s10, v46, v50
	v_cmp_lt_i32_e64 s11, v47, v17
	s_or_b32 s9, s9, s10
	s_wait_alu 0xfffe
	s_and_b32 s9, s11, s9
	s_wait_alu 0xfffe
	s_xor_b32 s10, s9, -1
	s_wait_alu 0xfffe
	s_and_saveexec_b32 s11, s10
	s_wait_alu 0xfffe
	s_xor_b32 s10, exec_lo, s11
; %bb.119:                              ;   in Loop: Header=BB48_2 Depth=1
	ds_load_u8 v45, v48 offset:1
; %bb.120:                              ;   in Loop: Header=BB48_2 Depth=1
	s_wait_alu 0xfffe
	s_or_saveexec_b32 s10, s10
	v_mov_b32_e32 v46, v44
	s_wait_alu 0xfffe
	s_xor_b32 exec_lo, exec_lo, s10
	s_cbranch_execz .LBB48_122
; %bb.121:                              ;   in Loop: Header=BB48_2 Depth=1
	ds_load_u8 v46, v47 offset:1
	s_wait_dscnt 0x1
	v_mov_b32_e32 v45, v43
.LBB48_122:                             ;   in Loop: Header=BB48_2 Depth=1
	s_or_b32 exec_lo, exec_lo, s10
	v_add_nc_u32_e32 v49, 1, v48
	v_add_nc_u32_e32 v51, 1, v47
	s_wait_dscnt 0x0
	v_bfe_i32 v52, v45, 0, 8
	s_delay_alu instid0(VALU_DEP_3) | instskip(SKIP_2) | instid1(VALU_DEP_3)
	v_cndmask_b32_e64 v50, v49, v48, s9
	v_bfe_i32 v48, v46, 0, 8
	v_cndmask_b32_e64 v49, v47, v51, s9
                                        ; implicit-def: $vgpr47
	v_cmp_ge_i32_e64 s10, v50, v16
	s_delay_alu instid0(VALU_DEP_3) | instskip(NEXT) | instid1(VALU_DEP_3)
	v_cmp_lt_i16_e64 s11, v48, v52
	v_cmp_lt_i32_e64 s12, v49, v17
	s_or_b32 s10, s10, s11
	s_wait_alu 0xfffe
	s_and_b32 s10, s12, s10
	s_wait_alu 0xfffe
	s_xor_b32 s11, s10, -1
	s_wait_alu 0xfffe
	s_and_saveexec_b32 s12, s11
	s_delay_alu instid0(SALU_CYCLE_1)
	s_xor_b32 s11, exec_lo, s12
; %bb.123:                              ;   in Loop: Header=BB48_2 Depth=1
	ds_load_u8 v47, v50 offset:1
; %bb.124:                              ;   in Loop: Header=BB48_2 Depth=1
	s_wait_alu 0xfffe
	s_or_saveexec_b32 s11, s11
	v_mov_b32_e32 v48, v46
	s_wait_alu 0xfffe
	s_xor_b32 exec_lo, exec_lo, s11
	s_cbranch_execz .LBB48_126
; %bb.125:                              ;   in Loop: Header=BB48_2 Depth=1
	ds_load_u8 v48, v49 offset:1
	s_wait_dscnt 0x1
	v_mov_b32_e32 v47, v45
.LBB48_126:                             ;   in Loop: Header=BB48_2 Depth=1
	s_or_b32 exec_lo, exec_lo, s11
	v_add_nc_u32_e32 v51, 1, v50
	v_add_nc_u32_e32 v52, 1, v49
	s_wait_dscnt 0x0
	v_bfe_i32 v53, v47, 0, 8
	v_bfe_i32 v54, v48, 0, 8
	v_cndmask_b32_e64 v51, v51, v50, s10
	v_cndmask_b32_e64 v50, v49, v52, s10
                                        ; implicit-def: $vgpr49
	s_delay_alu instid0(VALU_DEP_3) | instskip(NEXT) | instid1(VALU_DEP_3)
	v_cmp_lt_i16_e64 s12, v54, v53
	v_cmp_ge_i32_e64 s11, v51, v16
	s_delay_alu instid0(VALU_DEP_3)
	v_cmp_lt_i32_e64 s13, v50, v17
	s_or_b32 s11, s11, s12
	s_wait_alu 0xfffe
	s_and_b32 s11, s13, s11
	s_wait_alu 0xfffe
	s_xor_b32 s12, s11, -1
	s_delay_alu instid0(SALU_CYCLE_1) | instskip(NEXT) | instid1(SALU_CYCLE_1)
	s_and_saveexec_b32 s13, s12
	s_xor_b32 s12, exec_lo, s13
; %bb.127:                              ;   in Loop: Header=BB48_2 Depth=1
	ds_load_u8 v49, v51 offset:1
; %bb.128:                              ;   in Loop: Header=BB48_2 Depth=1
	s_or_saveexec_b32 s12, s12
	v_mov_b32_e32 v52, v48
	s_xor_b32 exec_lo, exec_lo, s12
	s_cbranch_execz .LBB48_130
; %bb.129:                              ;   in Loop: Header=BB48_2 Depth=1
	ds_load_u8 v52, v50 offset:1
	s_wait_dscnt 0x1
	v_mov_b32_e32 v49, v47
.LBB48_130:                             ;   in Loop: Header=BB48_2 Depth=1
	s_or_b32 exec_lo, exec_lo, s12
	v_cndmask_b32_e64 v41, v41, v42, s8
	v_cndmask_b32_e64 v37, v37, v38, s6
	;; [unrolled: 1-line block ×4, first 2 shown]
	v_add_nc_u32_e32 v53, 1, v51
	v_lshlrev_b16 v39, 8, v41
	v_lshlrev_b16 v37, 8, v37
	v_and_b32_e32 v35, 0xff, v35
	v_and_b32_e32 v36, 0xff, v36
	v_cndmask_b32_e64 v47, v47, v48, s11
	v_add_nc_u32_e32 v48, 1, v50
	s_wait_dscnt 0x0
	v_bfe_i32 v54, v49, 0, 8
	v_or_b32_e32 v35, v35, v37
	v_or_b32_e32 v36, v36, v39
	v_bfe_i32 v55, v52, 0, 8
	v_cndmask_b32_e64 v51, v53, v51, s11
	v_cndmask_b32_e64 v45, v45, v46, s10
	v_and_b32_e32 v35, 0xffff, v35
	v_lshlrev_b32_e32 v36, 16, v36
	v_cndmask_b32_e64 v43, v43, v44, s9
	v_cmp_lt_i16_e64 s9, v55, v54
	v_cmp_ge_i32_e64 s10, v51, v16
	v_lshlrev_b16 v40, 8, v45
	v_or_b32_e32 v36, v35, v36
	v_mov_b32_e32 v35, v34
	v_cndmask_b32_e64 v46, v50, v48, s11
	s_or_b32 s5, s10, s9
	v_and_b32_e32 v41, 0xff, v43
	v_and_b32_e32 v42, 0xff, v47
	s_wait_loadcnt 0x0
	v_cmp_lt_i32_e64 s8, v46, v17
	s_barrier_signal -1
	v_or_b32_e32 v37, v41, v40
	s_barrier_wait -1
	global_inv scope:SCOPE_SE
	s_wait_alu 0xfffe
	s_and_b32 s5, s8, s5
	s_wait_alu 0xfffe
	v_cndmask_b32_e64 v38, v49, v52, s5
	v_and_b32_e32 v37, 0xffff, v37
	s_delay_alu instid0(VALU_DEP_2) | instskip(NEXT) | instid1(VALU_DEP_1)
	v_lshlrev_b16 v38, 8, v38
	v_or_b32_e32 v38, v42, v38
	s_delay_alu instid0(VALU_DEP_1) | instskip(NEXT) | instid1(VALU_DEP_1)
	v_lshlrev_b32_e32 v38, 16, v38
	v_or_b32_e32 v37, v37, v38
	ds_store_b64 v1, v[36:37]
	s_wait_loadcnt_dscnt 0x0
	s_barrier_signal -1
	s_barrier_wait -1
	global_inv scope:SCOPE_SE
	s_and_saveexec_b32 s6, s4
	s_cbranch_execz .LBB48_134
; %bb.131:                              ;   in Loop: Header=BB48_2 Depth=1
	v_dual_mov_b32 v35, v34 :: v_dual_mov_b32 v36, v29
	s_mov_b32 s7, 0
.LBB48_132:                             ;   Parent Loop BB48_2 Depth=1
                                        ; =>  This Inner Loop Header: Depth=2
	s_delay_alu instid0(VALU_DEP_1) | instskip(NEXT) | instid1(VALU_DEP_1)
	v_sub_nc_u32_e32 v37, v36, v35
	v_lshrrev_b32_e32 v37, 1, v37
	s_delay_alu instid0(VALU_DEP_1) | instskip(NEXT) | instid1(VALU_DEP_1)
	v_add_nc_u32_e32 v37, v37, v35
	v_add_nc_u32_e32 v38, v6, v37
	v_xad_u32 v39, v37, -1, v24
	v_add_nc_u32_e32 v40, 1, v37
	ds_load_i8 v38, v38
	ds_load_i8 v39, v39
	s_wait_dscnt 0x0
	v_cmp_lt_i16_e64 s5, v39, v38
	s_wait_alu 0xf1ff
	s_delay_alu instid0(VALU_DEP_1) | instskip(SKIP_1) | instid1(VALU_DEP_1)
	v_cndmask_b32_e64 v36, v36, v37, s5
	v_cndmask_b32_e64 v35, v40, v35, s5
	v_cmp_ge_i32_e64 s5, v35, v36
	s_wait_alu 0xfffe
	s_or_b32 s7, s5, s7
	s_wait_alu 0xfffe
	s_and_not1_b32 exec_lo, exec_lo, s7
	s_cbranch_execnz .LBB48_132
; %bb.133:                              ;   in Loop: Header=BB48_2 Depth=1
	s_or_b32 exec_lo, exec_lo, s7
.LBB48_134:                             ;   in Loop: Header=BB48_2 Depth=1
	s_wait_alu 0xfffe
	s_or_b32 exec_lo, exec_lo, s6
	v_add_nc_u32_e32 v40, v35, v6
	v_sub_nc_u32_e32 v39, v24, v35
                                        ; implicit-def: $vgpr37
	ds_load_u8 v35, v40
	ds_load_u8 v36, v39
	v_cmp_le_i32_e64 s5, v18, v40
	v_cmp_gt_i32_e64 s7, v19, v39
	s_wait_dscnt 0x1
	v_bfe_i32 v35, v35, 0, 8
	s_wait_dscnt 0x0
	v_bfe_i32 v36, v36, 0, 8
	s_delay_alu instid0(VALU_DEP_1)
	v_cmp_lt_i16_e64 s6, v36, v35
	s_or_b32 s5, s5, s6
	s_wait_alu 0xfffe
	s_and_b32 s5, s7, s5
	s_wait_alu 0xfffe
	s_xor_b32 s6, s5, -1
	s_wait_alu 0xfffe
	s_and_saveexec_b32 s7, s6
	s_wait_alu 0xfffe
	s_xor_b32 s6, exec_lo, s7
; %bb.135:                              ;   in Loop: Header=BB48_2 Depth=1
	ds_load_u8 v37, v40 offset:1
; %bb.136:                              ;   in Loop: Header=BB48_2 Depth=1
	s_wait_alu 0xfffe
	s_or_saveexec_b32 s6, s6
	v_mov_b32_e32 v38, v36
	s_wait_alu 0xfffe
	s_xor_b32 exec_lo, exec_lo, s6
	s_cbranch_execz .LBB48_138
; %bb.137:                              ;   in Loop: Header=BB48_2 Depth=1
	ds_load_u8 v38, v39 offset:1
	s_wait_dscnt 0x1
	v_mov_b32_e32 v37, v35
.LBB48_138:                             ;   in Loop: Header=BB48_2 Depth=1
	s_or_b32 exec_lo, exec_lo, s6
	v_add_nc_u32_e32 v41, 1, v40
	v_add_nc_u32_e32 v43, 1, v39
	s_wait_dscnt 0x0
	v_bfe_i32 v44, v37, 0, 8
	s_delay_alu instid0(VALU_DEP_3) | instskip(SKIP_2) | instid1(VALU_DEP_3)
	v_cndmask_b32_e64 v42, v41, v40, s5
	v_bfe_i32 v40, v38, 0, 8
	v_cndmask_b32_e64 v41, v39, v43, s5
                                        ; implicit-def: $vgpr39
	v_cmp_ge_i32_e64 s6, v42, v18
	s_delay_alu instid0(VALU_DEP_3) | instskip(NEXT) | instid1(VALU_DEP_3)
	v_cmp_lt_i16_e64 s7, v40, v44
	v_cmp_lt_i32_e64 s8, v41, v19
	s_or_b32 s6, s6, s7
	s_wait_alu 0xfffe
	s_and_b32 s6, s8, s6
	s_wait_alu 0xfffe
	s_xor_b32 s7, s6, -1
	s_wait_alu 0xfffe
	s_and_saveexec_b32 s8, s7
	s_wait_alu 0xfffe
	s_xor_b32 s7, exec_lo, s8
; %bb.139:                              ;   in Loop: Header=BB48_2 Depth=1
	ds_load_u8 v39, v42 offset:1
; %bb.140:                              ;   in Loop: Header=BB48_2 Depth=1
	s_wait_alu 0xfffe
	s_or_saveexec_b32 s7, s7
	v_mov_b32_e32 v40, v38
	s_wait_alu 0xfffe
	s_xor_b32 exec_lo, exec_lo, s7
	s_cbranch_execz .LBB48_142
; %bb.141:                              ;   in Loop: Header=BB48_2 Depth=1
	ds_load_u8 v40, v41 offset:1
	s_wait_dscnt 0x1
	v_mov_b32_e32 v39, v37
.LBB48_142:                             ;   in Loop: Header=BB48_2 Depth=1
	s_or_b32 exec_lo, exec_lo, s7
	v_add_nc_u32_e32 v43, 1, v42
	v_add_nc_u32_e32 v45, 1, v41
	s_wait_dscnt 0x0
	v_bfe_i32 v46, v39, 0, 8
	s_delay_alu instid0(VALU_DEP_3) | instskip(SKIP_2) | instid1(VALU_DEP_3)
	v_cndmask_b32_e64 v44, v43, v42, s6
	v_bfe_i32 v42, v40, 0, 8
	v_cndmask_b32_e64 v43, v41, v45, s6
                                        ; implicit-def: $vgpr41
	v_cmp_ge_i32_e64 s7, v44, v18
	s_delay_alu instid0(VALU_DEP_3) | instskip(NEXT) | instid1(VALU_DEP_3)
	v_cmp_lt_i16_e64 s8, v42, v46
	v_cmp_lt_i32_e64 s9, v43, v19
	s_or_b32 s7, s7, s8
	s_wait_alu 0xfffe
	s_and_b32 s7, s9, s7
	s_wait_alu 0xfffe
	s_xor_b32 s8, s7, -1
	s_wait_alu 0xfffe
	s_and_saveexec_b32 s9, s8
	s_wait_alu 0xfffe
	s_xor_b32 s8, exec_lo, s9
; %bb.143:                              ;   in Loop: Header=BB48_2 Depth=1
	ds_load_u8 v41, v44 offset:1
; %bb.144:                              ;   in Loop: Header=BB48_2 Depth=1
	s_wait_alu 0xfffe
	s_or_saveexec_b32 s8, s8
	v_mov_b32_e32 v42, v40
	s_wait_alu 0xfffe
	s_xor_b32 exec_lo, exec_lo, s8
	s_cbranch_execz .LBB48_146
; %bb.145:                              ;   in Loop: Header=BB48_2 Depth=1
	ds_load_u8 v42, v43 offset:1
	s_wait_dscnt 0x1
	v_mov_b32_e32 v41, v39
.LBB48_146:                             ;   in Loop: Header=BB48_2 Depth=1
	s_or_b32 exec_lo, exec_lo, s8
	v_add_nc_u32_e32 v45, 1, v44
	v_add_nc_u32_e32 v47, 1, v43
	s_wait_dscnt 0x0
	v_bfe_i32 v48, v41, 0, 8
	s_delay_alu instid0(VALU_DEP_3) | instskip(SKIP_2) | instid1(VALU_DEP_3)
	v_cndmask_b32_e64 v46, v45, v44, s7
	v_bfe_i32 v44, v42, 0, 8
	v_cndmask_b32_e64 v45, v43, v47, s7
                                        ; implicit-def: $vgpr43
	v_cmp_ge_i32_e64 s8, v46, v18
	s_delay_alu instid0(VALU_DEP_3) | instskip(NEXT) | instid1(VALU_DEP_3)
	v_cmp_lt_i16_e64 s9, v44, v48
	v_cmp_lt_i32_e64 s10, v45, v19
	s_or_b32 s8, s8, s9
	s_wait_alu 0xfffe
	s_and_b32 s8, s10, s8
	s_wait_alu 0xfffe
	s_xor_b32 s9, s8, -1
	s_wait_alu 0xfffe
	s_and_saveexec_b32 s10, s9
	s_wait_alu 0xfffe
	s_xor_b32 s9, exec_lo, s10
; %bb.147:                              ;   in Loop: Header=BB48_2 Depth=1
	ds_load_u8 v43, v46 offset:1
; %bb.148:                              ;   in Loop: Header=BB48_2 Depth=1
	s_wait_alu 0xfffe
	s_or_saveexec_b32 s9, s9
	v_mov_b32_e32 v44, v42
	s_wait_alu 0xfffe
	s_xor_b32 exec_lo, exec_lo, s9
	s_cbranch_execz .LBB48_150
; %bb.149:                              ;   in Loop: Header=BB48_2 Depth=1
	ds_load_u8 v44, v45 offset:1
	s_wait_dscnt 0x1
	v_mov_b32_e32 v43, v41
.LBB48_150:                             ;   in Loop: Header=BB48_2 Depth=1
	s_or_b32 exec_lo, exec_lo, s9
	v_add_nc_u32_e32 v47, 1, v46
	v_add_nc_u32_e32 v49, 1, v45
	s_wait_dscnt 0x0
	v_bfe_i32 v50, v43, 0, 8
	s_delay_alu instid0(VALU_DEP_3) | instskip(SKIP_2) | instid1(VALU_DEP_3)
	v_cndmask_b32_e64 v48, v47, v46, s8
	v_bfe_i32 v46, v44, 0, 8
	v_cndmask_b32_e64 v47, v45, v49, s8
                                        ; implicit-def: $vgpr45
	v_cmp_ge_i32_e64 s9, v48, v18
	s_delay_alu instid0(VALU_DEP_3) | instskip(NEXT) | instid1(VALU_DEP_3)
	v_cmp_lt_i16_e64 s10, v46, v50
	v_cmp_lt_i32_e64 s11, v47, v19
	s_or_b32 s9, s9, s10
	s_wait_alu 0xfffe
	s_and_b32 s9, s11, s9
	s_wait_alu 0xfffe
	s_xor_b32 s10, s9, -1
	s_wait_alu 0xfffe
	s_and_saveexec_b32 s11, s10
	s_wait_alu 0xfffe
	s_xor_b32 s10, exec_lo, s11
; %bb.151:                              ;   in Loop: Header=BB48_2 Depth=1
	ds_load_u8 v45, v48 offset:1
; %bb.152:                              ;   in Loop: Header=BB48_2 Depth=1
	s_wait_alu 0xfffe
	s_or_saveexec_b32 s10, s10
	v_mov_b32_e32 v46, v44
	s_wait_alu 0xfffe
	s_xor_b32 exec_lo, exec_lo, s10
	s_cbranch_execz .LBB48_154
; %bb.153:                              ;   in Loop: Header=BB48_2 Depth=1
	ds_load_u8 v46, v47 offset:1
	s_wait_dscnt 0x1
	v_mov_b32_e32 v45, v43
.LBB48_154:                             ;   in Loop: Header=BB48_2 Depth=1
	s_or_b32 exec_lo, exec_lo, s10
	v_add_nc_u32_e32 v49, 1, v48
	v_add_nc_u32_e32 v51, 1, v47
	s_wait_dscnt 0x0
	v_bfe_i32 v52, v45, 0, 8
	s_delay_alu instid0(VALU_DEP_3) | instskip(SKIP_2) | instid1(VALU_DEP_3)
	v_cndmask_b32_e64 v50, v49, v48, s9
	v_bfe_i32 v48, v46, 0, 8
	v_cndmask_b32_e64 v49, v47, v51, s9
                                        ; implicit-def: $vgpr47
	v_cmp_ge_i32_e64 s10, v50, v18
	s_delay_alu instid0(VALU_DEP_3) | instskip(NEXT) | instid1(VALU_DEP_3)
	v_cmp_lt_i16_e64 s11, v48, v52
	v_cmp_lt_i32_e64 s12, v49, v19
	s_or_b32 s10, s10, s11
	s_wait_alu 0xfffe
	s_and_b32 s10, s12, s10
	s_wait_alu 0xfffe
	s_xor_b32 s11, s10, -1
	s_wait_alu 0xfffe
	s_and_saveexec_b32 s12, s11
	s_delay_alu instid0(SALU_CYCLE_1)
	s_xor_b32 s11, exec_lo, s12
; %bb.155:                              ;   in Loop: Header=BB48_2 Depth=1
	ds_load_u8 v47, v50 offset:1
; %bb.156:                              ;   in Loop: Header=BB48_2 Depth=1
	s_wait_alu 0xfffe
	s_or_saveexec_b32 s11, s11
	v_mov_b32_e32 v48, v46
	s_wait_alu 0xfffe
	s_xor_b32 exec_lo, exec_lo, s11
	s_cbranch_execz .LBB48_158
; %bb.157:                              ;   in Loop: Header=BB48_2 Depth=1
	ds_load_u8 v48, v49 offset:1
	s_wait_dscnt 0x1
	v_mov_b32_e32 v47, v45
.LBB48_158:                             ;   in Loop: Header=BB48_2 Depth=1
	s_or_b32 exec_lo, exec_lo, s11
	v_add_nc_u32_e32 v51, 1, v50
	v_add_nc_u32_e32 v52, 1, v49
	s_wait_dscnt 0x0
	v_bfe_i32 v53, v47, 0, 8
	v_bfe_i32 v54, v48, 0, 8
	v_cndmask_b32_e64 v51, v51, v50, s10
	v_cndmask_b32_e64 v50, v49, v52, s10
                                        ; implicit-def: $vgpr49
	s_delay_alu instid0(VALU_DEP_3) | instskip(NEXT) | instid1(VALU_DEP_3)
	v_cmp_lt_i16_e64 s12, v54, v53
	v_cmp_ge_i32_e64 s11, v51, v18
	s_delay_alu instid0(VALU_DEP_3)
	v_cmp_lt_i32_e64 s13, v50, v19
	s_or_b32 s11, s11, s12
	s_wait_alu 0xfffe
	s_and_b32 s11, s13, s11
	s_wait_alu 0xfffe
	s_xor_b32 s12, s11, -1
	s_delay_alu instid0(SALU_CYCLE_1) | instskip(NEXT) | instid1(SALU_CYCLE_1)
	s_and_saveexec_b32 s13, s12
	s_xor_b32 s12, exec_lo, s13
; %bb.159:                              ;   in Loop: Header=BB48_2 Depth=1
	ds_load_u8 v49, v51 offset:1
; %bb.160:                              ;   in Loop: Header=BB48_2 Depth=1
	s_or_saveexec_b32 s12, s12
	v_mov_b32_e32 v52, v48
	s_xor_b32 exec_lo, exec_lo, s12
	s_cbranch_execz .LBB48_162
; %bb.161:                              ;   in Loop: Header=BB48_2 Depth=1
	ds_load_u8 v52, v50 offset:1
	s_wait_dscnt 0x1
	v_mov_b32_e32 v49, v47
.LBB48_162:                             ;   in Loop: Header=BB48_2 Depth=1
	s_or_b32 exec_lo, exec_lo, s12
	v_cndmask_b32_e64 v41, v41, v42, s8
	v_cndmask_b32_e64 v35, v35, v36, s5
	;; [unrolled: 1-line block ×3, first 2 shown]
	v_add_nc_u32_e32 v53, 1, v51
	v_cndmask_b32_e64 v47, v47, v48, s11
	v_add_nc_u32_e32 v48, 1, v50
	v_lshlrev_b16 v39, 8, v41
	v_and_b32_e32 v36, 0xff, v36
	s_wait_dscnt 0x0
	v_bfe_i32 v54, v49, 0, 8
	v_bfe_i32 v55, v52, 0, 8
	v_cndmask_b32_e64 v51, v53, v51, s11
	v_cndmask_b32_e64 v45, v45, v46, s10
	v_or_b32_e32 v36, v36, v39
	v_mov_b32_e32 v39, v7
	v_cndmask_b32_e64 v46, v50, v48, s11
	v_cndmask_b32_e64 v43, v43, v44, s9
	v_cmp_lt_i16_e64 s9, v55, v54
	v_cmp_ge_i32_e64 s10, v51, v18
	v_cndmask_b32_e64 v37, v37, v38, s6
	v_cmp_lt_i32_e64 s8, v46, v19
	v_and_b32_e32 v35, 0xff, v35
	v_lshlrev_b16 v40, 8, v45
	s_or_b32 s5, s10, s9
	v_lshlrev_b16 v37, 8, v37
	s_wait_alu 0xfffe
	s_and_b32 s5, s8, s5
	v_and_b32_e32 v41, 0xff, v43
	s_wait_alu 0xfffe
	v_cndmask_b32_e64 v38, v49, v52, s5
	v_and_b32_e32 v42, 0xff, v47
	v_or_b32_e32 v35, v35, v37
	v_lshlrev_b32_e32 v36, 16, v36
	v_or_b32_e32 v37, v41, v40
	v_lshlrev_b16 v38, 8, v38
	s_wait_loadcnt 0x0
	v_and_b32_e32 v35, 0xffff, v35
	s_barrier_signal -1
	v_and_b32_e32 v37, 0xffff, v37
	v_or_b32_e32 v38, v42, v38
	s_barrier_wait -1
	v_or_b32_e32 v35, v35, v36
	global_inv scope:SCOPE_SE
	v_lshlrev_b32_e32 v38, 16, v38
	s_delay_alu instid0(VALU_DEP_1)
	v_or_b32_e32 v36, v37, v38
	ds_store_b64 v1, v[35:36]
	s_wait_loadcnt_dscnt 0x0
	s_barrier_signal -1
	s_barrier_wait -1
	global_inv scope:SCOPE_SE
	s_and_saveexec_b32 s6, vcc_lo
	s_cbranch_execz .LBB48_166
; %bb.163:                              ;   in Loop: Header=BB48_2 Depth=1
	v_mov_b32_e32 v39, v7
	v_mov_b32_e32 v35, v8
	s_mov_b32 s7, 0
.LBB48_164:                             ;   Parent Loop BB48_2 Depth=1
                                        ; =>  This Inner Loop Header: Depth=2
	s_delay_alu instid0(VALU_DEP_1) | instskip(NEXT) | instid1(VALU_DEP_1)
	v_sub_nc_u32_e32 v36, v35, v39
	v_lshrrev_b32_e32 v36, 1, v36
	s_delay_alu instid0(VALU_DEP_1) | instskip(NEXT) | instid1(VALU_DEP_1)
	v_add_nc_u32_e32 v36, v36, v39
	v_xad_u32 v37, v36, -1, v9
	v_add_nc_u32_e32 v40, 1, v36
	ds_load_i8 v38, v36
	ds_load_i8 v37, v37
	s_wait_dscnt 0x0
	v_cmp_lt_i16_e64 s5, v37, v38
	s_wait_alu 0xf1ff
	s_delay_alu instid0(VALU_DEP_1) | instskip(SKIP_1) | instid1(VALU_DEP_1)
	v_cndmask_b32_e64 v35, v35, v36, s5
	v_cndmask_b32_e64 v39, v40, v39, s5
	v_cmp_ge_i32_e64 s5, v39, v35
	s_wait_alu 0xfffe
	s_or_b32 s7, s5, s7
	s_wait_alu 0xfffe
	s_and_not1_b32 exec_lo, exec_lo, s7
	s_cbranch_execnz .LBB48_164
; %bb.165:                              ;   in Loop: Header=BB48_2 Depth=1
	s_or_b32 exec_lo, exec_lo, s7
.LBB48_166:                             ;   in Loop: Header=BB48_2 Depth=1
	s_wait_alu 0xfffe
	s_or_b32 exec_lo, exec_lo, s6
	v_sub_nc_u32_e32 v40, v9, v39
	v_cmp_le_i32_e64 s5, 0x100, v39
                                        ; implicit-def: $vgpr37
	ds_load_u8 v35, v39
	ds_load_u8 v36, v40
	v_cmp_gt_i32_e64 s7, 0x200, v40
	s_wait_dscnt 0x1
	v_bfe_i32 v35, v35, 0, 8
	s_wait_dscnt 0x0
	v_bfe_i32 v36, v36, 0, 8
	s_delay_alu instid0(VALU_DEP_1)
	v_cmp_lt_i16_e64 s6, v36, v35
	s_or_b32 s5, s5, s6
	s_wait_alu 0xfffe
	s_and_b32 s5, s7, s5
	s_wait_alu 0xfffe
	s_xor_b32 s6, s5, -1
	s_wait_alu 0xfffe
	s_and_saveexec_b32 s7, s6
	s_wait_alu 0xfffe
	s_xor_b32 s6, exec_lo, s7
; %bb.167:                              ;   in Loop: Header=BB48_2 Depth=1
	ds_load_u8 v37, v39 offset:1
; %bb.168:                              ;   in Loop: Header=BB48_2 Depth=1
	s_wait_alu 0xfffe
	s_or_saveexec_b32 s6, s6
	v_mov_b32_e32 v38, v36
	s_wait_alu 0xfffe
	s_xor_b32 exec_lo, exec_lo, s6
	s_cbranch_execz .LBB48_170
; %bb.169:                              ;   in Loop: Header=BB48_2 Depth=1
	ds_load_u8 v38, v40 offset:1
	s_wait_dscnt 0x1
	v_mov_b32_e32 v37, v35
.LBB48_170:                             ;   in Loop: Header=BB48_2 Depth=1
	s_or_b32 exec_lo, exec_lo, s6
	v_add_nc_u32_e32 v41, 1, v39
	v_add_nc_u32_e32 v43, 1, v40
	s_wait_dscnt 0x0
	v_bfe_i32 v44, v37, 0, 8
	s_delay_alu instid0(VALU_DEP_3) | instskip(SKIP_2) | instid1(VALU_DEP_3)
	v_cndmask_b32_e64 v42, v41, v39, s5
	v_bfe_i32 v39, v38, 0, 8
	v_cndmask_b32_e64 v41, v40, v43, s5
	v_cmp_le_i32_e64 s6, 0x100, v42
	s_delay_alu instid0(VALU_DEP_3) | instskip(NEXT) | instid1(VALU_DEP_3)
	v_cmp_lt_i16_e64 s7, v39, v44
	v_cmp_gt_i32_e64 s8, 0x200, v41
                                        ; implicit-def: $vgpr39
	s_or_b32 s6, s6, s7
	s_wait_alu 0xfffe
	s_and_b32 s6, s8, s6
	s_wait_alu 0xfffe
	s_xor_b32 s7, s6, -1
	s_wait_alu 0xfffe
	s_and_saveexec_b32 s8, s7
	s_wait_alu 0xfffe
	s_xor_b32 s7, exec_lo, s8
; %bb.171:                              ;   in Loop: Header=BB48_2 Depth=1
	ds_load_u8 v39, v42 offset:1
; %bb.172:                              ;   in Loop: Header=BB48_2 Depth=1
	s_wait_alu 0xfffe
	s_or_saveexec_b32 s7, s7
	v_mov_b32_e32 v40, v38
	s_wait_alu 0xfffe
	s_xor_b32 exec_lo, exec_lo, s7
	s_cbranch_execz .LBB48_174
; %bb.173:                              ;   in Loop: Header=BB48_2 Depth=1
	ds_load_u8 v40, v41 offset:1
	s_wait_dscnt 0x1
	v_mov_b32_e32 v39, v37
.LBB48_174:                             ;   in Loop: Header=BB48_2 Depth=1
	s_or_b32 exec_lo, exec_lo, s7
	v_add_nc_u32_e32 v43, 1, v42
	v_add_nc_u32_e32 v45, 1, v41
	s_wait_dscnt 0x0
	v_bfe_i32 v46, v39, 0, 8
	s_delay_alu instid0(VALU_DEP_3) | instskip(SKIP_2) | instid1(VALU_DEP_3)
	v_cndmask_b32_e64 v44, v43, v42, s6
	v_bfe_i32 v42, v40, 0, 8
	v_cndmask_b32_e64 v43, v41, v45, s6
                                        ; implicit-def: $vgpr41
	v_cmp_le_i32_e64 s7, 0x100, v44
	s_delay_alu instid0(VALU_DEP_3) | instskip(NEXT) | instid1(VALU_DEP_3)
	v_cmp_lt_i16_e64 s8, v42, v46
	v_cmp_gt_i32_e64 s9, 0x200, v43
	s_or_b32 s7, s7, s8
	s_wait_alu 0xfffe
	s_and_b32 s7, s9, s7
	s_wait_alu 0xfffe
	s_xor_b32 s8, s7, -1
	s_wait_alu 0xfffe
	s_and_saveexec_b32 s9, s8
	s_wait_alu 0xfffe
	s_xor_b32 s8, exec_lo, s9
; %bb.175:                              ;   in Loop: Header=BB48_2 Depth=1
	ds_load_u8 v41, v44 offset:1
; %bb.176:                              ;   in Loop: Header=BB48_2 Depth=1
	s_wait_alu 0xfffe
	s_or_saveexec_b32 s8, s8
	v_mov_b32_e32 v42, v40
	s_wait_alu 0xfffe
	s_xor_b32 exec_lo, exec_lo, s8
	s_cbranch_execz .LBB48_178
; %bb.177:                              ;   in Loop: Header=BB48_2 Depth=1
	ds_load_u8 v42, v43 offset:1
	s_wait_dscnt 0x1
	v_mov_b32_e32 v41, v39
.LBB48_178:                             ;   in Loop: Header=BB48_2 Depth=1
	s_or_b32 exec_lo, exec_lo, s8
	v_add_nc_u32_e32 v45, 1, v44
	v_add_nc_u32_e32 v47, 1, v43
	s_wait_dscnt 0x0
	v_bfe_i32 v48, v41, 0, 8
	s_delay_alu instid0(VALU_DEP_3) | instskip(SKIP_2) | instid1(VALU_DEP_3)
	v_cndmask_b32_e64 v46, v45, v44, s7
	v_bfe_i32 v44, v42, 0, 8
	v_cndmask_b32_e64 v45, v43, v47, s7
                                        ; implicit-def: $vgpr43
	v_cmp_le_i32_e64 s8, 0x100, v46
	s_delay_alu instid0(VALU_DEP_3) | instskip(NEXT) | instid1(VALU_DEP_3)
	v_cmp_lt_i16_e64 s9, v44, v48
	v_cmp_gt_i32_e64 s10, 0x200, v45
	s_or_b32 s8, s8, s9
	s_wait_alu 0xfffe
	s_and_b32 s8, s10, s8
	s_wait_alu 0xfffe
	s_xor_b32 s9, s8, -1
	s_wait_alu 0xfffe
	s_and_saveexec_b32 s10, s9
	s_wait_alu 0xfffe
	s_xor_b32 s9, exec_lo, s10
; %bb.179:                              ;   in Loop: Header=BB48_2 Depth=1
	ds_load_u8 v43, v46 offset:1
; %bb.180:                              ;   in Loop: Header=BB48_2 Depth=1
	s_wait_alu 0xfffe
	s_or_saveexec_b32 s9, s9
	v_mov_b32_e32 v44, v42
	s_wait_alu 0xfffe
	s_xor_b32 exec_lo, exec_lo, s9
	s_cbranch_execz .LBB48_182
; %bb.181:                              ;   in Loop: Header=BB48_2 Depth=1
	ds_load_u8 v44, v45 offset:1
	s_wait_dscnt 0x1
	v_mov_b32_e32 v43, v41
.LBB48_182:                             ;   in Loop: Header=BB48_2 Depth=1
	s_or_b32 exec_lo, exec_lo, s9
	v_add_nc_u32_e32 v47, 1, v46
	v_add_nc_u32_e32 v49, 1, v45
	s_wait_dscnt 0x0
	v_bfe_i32 v50, v43, 0, 8
	s_delay_alu instid0(VALU_DEP_3) | instskip(SKIP_2) | instid1(VALU_DEP_3)
	v_cndmask_b32_e64 v48, v47, v46, s8
	v_bfe_i32 v46, v44, 0, 8
	v_cndmask_b32_e64 v47, v45, v49, s8
                                        ; implicit-def: $vgpr45
	v_cmp_le_i32_e64 s9, 0x100, v48
	s_delay_alu instid0(VALU_DEP_3) | instskip(NEXT) | instid1(VALU_DEP_3)
	v_cmp_lt_i16_e64 s10, v46, v50
	v_cmp_gt_i32_e64 s11, 0x200, v47
	s_or_b32 s9, s9, s10
	s_wait_alu 0xfffe
	s_and_b32 s9, s11, s9
	s_wait_alu 0xfffe
	s_xor_b32 s10, s9, -1
	s_wait_alu 0xfffe
	s_and_saveexec_b32 s11, s10
	s_wait_alu 0xfffe
	s_xor_b32 s10, exec_lo, s11
; %bb.183:                              ;   in Loop: Header=BB48_2 Depth=1
	ds_load_u8 v45, v48 offset:1
; %bb.184:                              ;   in Loop: Header=BB48_2 Depth=1
	s_wait_alu 0xfffe
	s_or_saveexec_b32 s10, s10
	v_mov_b32_e32 v46, v44
	s_wait_alu 0xfffe
	s_xor_b32 exec_lo, exec_lo, s10
	s_cbranch_execz .LBB48_186
; %bb.185:                              ;   in Loop: Header=BB48_2 Depth=1
	ds_load_u8 v46, v47 offset:1
	s_wait_dscnt 0x1
	v_mov_b32_e32 v45, v43
.LBB48_186:                             ;   in Loop: Header=BB48_2 Depth=1
	s_or_b32 exec_lo, exec_lo, s10
	v_add_nc_u32_e32 v49, 1, v48
	v_add_nc_u32_e32 v51, 1, v47
	s_wait_dscnt 0x0
	v_bfe_i32 v52, v45, 0, 8
	s_delay_alu instid0(VALU_DEP_3) | instskip(SKIP_2) | instid1(VALU_DEP_3)
	v_cndmask_b32_e64 v50, v49, v48, s9
	v_bfe_i32 v48, v46, 0, 8
	v_cndmask_b32_e64 v49, v47, v51, s9
                                        ; implicit-def: $vgpr47
	v_cmp_le_i32_e64 s10, 0x100, v50
	s_delay_alu instid0(VALU_DEP_3) | instskip(NEXT) | instid1(VALU_DEP_3)
	v_cmp_lt_i16_e64 s11, v48, v52
	v_cmp_gt_i32_e64 s12, 0x200, v49
	s_or_b32 s10, s10, s11
	s_wait_alu 0xfffe
	s_and_b32 s10, s12, s10
	s_wait_alu 0xfffe
	s_xor_b32 s11, s10, -1
	s_wait_alu 0xfffe
	s_and_saveexec_b32 s12, s11
	s_delay_alu instid0(SALU_CYCLE_1)
	s_xor_b32 s11, exec_lo, s12
; %bb.187:                              ;   in Loop: Header=BB48_2 Depth=1
	ds_load_u8 v47, v50 offset:1
; %bb.188:                              ;   in Loop: Header=BB48_2 Depth=1
	s_wait_alu 0xfffe
	s_or_saveexec_b32 s11, s11
	v_mov_b32_e32 v48, v46
	s_wait_alu 0xfffe
	s_xor_b32 exec_lo, exec_lo, s11
	s_cbranch_execz .LBB48_190
; %bb.189:                              ;   in Loop: Header=BB48_2 Depth=1
	ds_load_u8 v48, v49 offset:1
	s_wait_dscnt 0x1
	v_mov_b32_e32 v47, v45
.LBB48_190:                             ;   in Loop: Header=BB48_2 Depth=1
	s_or_b32 exec_lo, exec_lo, s11
	v_add_nc_u32_e32 v51, 1, v50
	v_add_nc_u32_e32 v52, 1, v49
	s_wait_dscnt 0x0
	v_bfe_i32 v54, v47, 0, 8
	s_delay_alu instid0(VALU_DEP_3) | instskip(SKIP_2) | instid1(VALU_DEP_3)
	v_cndmask_b32_e64 v53, v51, v50, s10
	v_bfe_i32 v50, v48, 0, 8
	v_cndmask_b32_e64 v49, v49, v52, s10
                                        ; implicit-def: $vgpr51
	v_cmp_le_i32_e64 s11, 0x100, v53
	s_delay_alu instid0(VALU_DEP_3) | instskip(NEXT) | instid1(VALU_DEP_3)
	v_cmp_lt_i16_e64 s12, v50, v54
	v_cmp_gt_i32_e64 s13, 0x200, v49
                                        ; implicit-def: $vgpr50
	s_or_b32 s11, s11, s12
	s_wait_alu 0xfffe
	s_and_b32 s11, s13, s11
	s_wait_alu 0xfffe
	s_xor_b32 s12, s11, -1
	s_delay_alu instid0(SALU_CYCLE_1) | instskip(NEXT) | instid1(SALU_CYCLE_1)
	s_and_saveexec_b32 s13, s12
	s_xor_b32 s12, exec_lo, s13
; %bb.191:                              ;   in Loop: Header=BB48_2 Depth=1
	ds_load_u8 v50, v53 offset:1
	v_add_nc_u32_e32 v51, 1, v53
                                        ; implicit-def: $vgpr53
; %bb.192:                              ;   in Loop: Header=BB48_2 Depth=1
	s_or_saveexec_b32 s12, s12
	v_mov_b32_e32 v52, v48
	s_xor_b32 exec_lo, exec_lo, s12
	s_cbranch_execz .LBB48_1
; %bb.193:                              ;   in Loop: Header=BB48_2 Depth=1
	ds_load_u8 v52, v49 offset:1
	s_wait_dscnt 0x1
	v_dual_mov_b32 v50, v47 :: v_dual_add_nc_u32 v49, 1, v49
	v_mov_b32_e32 v51, v53
	s_branch .LBB48_1
.LBB48_194:
	s_add_nc_u64 s[0:1], s[14:15], s[16:17]
	s_wait_alu 0xfffe
	v_add_co_u32 v0, s0, s0, v0
	s_wait_alu 0xf1ff
	v_add_co_ci_u32_e64 v1, null, s1, 0, s0
	s_clause 0x7
	global_store_b8 v[0:1], v36, off
	global_store_b8 v[0:1], v37, off offset:64
	global_store_b8 v[0:1], v38, off offset:128
	;; [unrolled: 1-line block ×7, first 2 shown]
	s_endpgm
	.section	.rodata,"a",@progbits
	.p2align	6, 0x0
	.amdhsa_kernel _Z16sort_keys_kernelIaLj64ELj8EN10test_utils4lessELj10EEvPKT_PS2_T2_
		.amdhsa_group_segment_fixed_size 513
		.amdhsa_private_segment_fixed_size 0
		.amdhsa_kernarg_size 20
		.amdhsa_user_sgpr_count 2
		.amdhsa_user_sgpr_dispatch_ptr 0
		.amdhsa_user_sgpr_queue_ptr 0
		.amdhsa_user_sgpr_kernarg_segment_ptr 1
		.amdhsa_user_sgpr_dispatch_id 0
		.amdhsa_user_sgpr_private_segment_size 0
		.amdhsa_wavefront_size32 1
		.amdhsa_uses_dynamic_stack 0
		.amdhsa_enable_private_segment 0
		.amdhsa_system_sgpr_workgroup_id_x 1
		.amdhsa_system_sgpr_workgroup_id_y 0
		.amdhsa_system_sgpr_workgroup_id_z 0
		.amdhsa_system_sgpr_workgroup_info 0
		.amdhsa_system_vgpr_workitem_id 0
		.amdhsa_next_free_vgpr 61
		.amdhsa_next_free_sgpr 19
		.amdhsa_reserve_vcc 1
		.amdhsa_float_round_mode_32 0
		.amdhsa_float_round_mode_16_64 0
		.amdhsa_float_denorm_mode_32 3
		.amdhsa_float_denorm_mode_16_64 3
		.amdhsa_fp16_overflow 0
		.amdhsa_workgroup_processor_mode 1
		.amdhsa_memory_ordered 1
		.amdhsa_forward_progress 1
		.amdhsa_inst_pref_size 100
		.amdhsa_round_robin_scheduling 0
		.amdhsa_exception_fp_ieee_invalid_op 0
		.amdhsa_exception_fp_denorm_src 0
		.amdhsa_exception_fp_ieee_div_zero 0
		.amdhsa_exception_fp_ieee_overflow 0
		.amdhsa_exception_fp_ieee_underflow 0
		.amdhsa_exception_fp_ieee_inexact 0
		.amdhsa_exception_int_div_zero 0
	.end_amdhsa_kernel
	.section	.text._Z16sort_keys_kernelIaLj64ELj8EN10test_utils4lessELj10EEvPKT_PS2_T2_,"axG",@progbits,_Z16sort_keys_kernelIaLj64ELj8EN10test_utils4lessELj10EEvPKT_PS2_T2_,comdat
.Lfunc_end48:
	.size	_Z16sort_keys_kernelIaLj64ELj8EN10test_utils4lessELj10EEvPKT_PS2_T2_, .Lfunc_end48-_Z16sort_keys_kernelIaLj64ELj8EN10test_utils4lessELj10EEvPKT_PS2_T2_
                                        ; -- End function
	.set _Z16sort_keys_kernelIaLj64ELj8EN10test_utils4lessELj10EEvPKT_PS2_T2_.num_vgpr, 61
	.set _Z16sort_keys_kernelIaLj64ELj8EN10test_utils4lessELj10EEvPKT_PS2_T2_.num_agpr, 0
	.set _Z16sort_keys_kernelIaLj64ELj8EN10test_utils4lessELj10EEvPKT_PS2_T2_.numbered_sgpr, 19
	.set _Z16sort_keys_kernelIaLj64ELj8EN10test_utils4lessELj10EEvPKT_PS2_T2_.num_named_barrier, 0
	.set _Z16sort_keys_kernelIaLj64ELj8EN10test_utils4lessELj10EEvPKT_PS2_T2_.private_seg_size, 0
	.set _Z16sort_keys_kernelIaLj64ELj8EN10test_utils4lessELj10EEvPKT_PS2_T2_.uses_vcc, 1
	.set _Z16sort_keys_kernelIaLj64ELj8EN10test_utils4lessELj10EEvPKT_PS2_T2_.uses_flat_scratch, 0
	.set _Z16sort_keys_kernelIaLj64ELj8EN10test_utils4lessELj10EEvPKT_PS2_T2_.has_dyn_sized_stack, 0
	.set _Z16sort_keys_kernelIaLj64ELj8EN10test_utils4lessELj10EEvPKT_PS2_T2_.has_recursion, 0
	.set _Z16sort_keys_kernelIaLj64ELj8EN10test_utils4lessELj10EEvPKT_PS2_T2_.has_indirect_call, 0
	.section	.AMDGPU.csdata,"",@progbits
; Kernel info:
; codeLenInByte = 12796
; TotalNumSgprs: 21
; NumVgprs: 61
; ScratchSize: 0
; MemoryBound: 0
; FloatMode: 240
; IeeeMode: 1
; LDSByteSize: 513 bytes/workgroup (compile time only)
; SGPRBlocks: 0
; VGPRBlocks: 7
; NumSGPRsForWavesPerEU: 21
; NumVGPRsForWavesPerEU: 61
; Occupancy: 16
; WaveLimiterHint : 0
; COMPUTE_PGM_RSRC2:SCRATCH_EN: 0
; COMPUTE_PGM_RSRC2:USER_SGPR: 2
; COMPUTE_PGM_RSRC2:TRAP_HANDLER: 0
; COMPUTE_PGM_RSRC2:TGID_X_EN: 1
; COMPUTE_PGM_RSRC2:TGID_Y_EN: 0
; COMPUTE_PGM_RSRC2:TGID_Z_EN: 0
; COMPUTE_PGM_RSRC2:TIDIG_COMP_CNT: 0
	.section	.text._Z17sort_pairs_kernelIaLj64ELj8EN10test_utils4lessELj10EEvPKT_PS2_T2_,"axG",@progbits,_Z17sort_pairs_kernelIaLj64ELj8EN10test_utils4lessELj10EEvPKT_PS2_T2_,comdat
	.protected	_Z17sort_pairs_kernelIaLj64ELj8EN10test_utils4lessELj10EEvPKT_PS2_T2_ ; -- Begin function _Z17sort_pairs_kernelIaLj64ELj8EN10test_utils4lessELj10EEvPKT_PS2_T2_
	.globl	_Z17sort_pairs_kernelIaLj64ELj8EN10test_utils4lessELj10EEvPKT_PS2_T2_
	.p2align	8
	.type	_Z17sort_pairs_kernelIaLj64ELj8EN10test_utils4lessELj10EEvPKT_PS2_T2_,@function
_Z17sort_pairs_kernelIaLj64ELj8EN10test_utils4lessELj10EEvPKT_PS2_T2_: ; @_Z17sort_pairs_kernelIaLj64ELj8EN10test_utils4lessELj10EEvPKT_PS2_T2_
; %bb.0:
	s_load_b128 s[44:47], s[0:1], 0x0
	s_lshl_b32 s48, ttmp9, 9
	s_mov_b32 s49, 0
	v_lshlrev_b32_e32 v5, 3, v0
	s_mov_b32 s43, s49
	s_delay_alu instid0(VALU_DEP_1)
	v_and_b32_e32 v6, 0x1f0, v5
	v_and_b32_e32 v7, 0x1e0, v5
	;; [unrolled: 1-line block ×5, first 2 shown]
	v_or_b32_e32 v14, 8, v6
	v_add_nc_u32_e32 v15, 16, v6
	v_or_b32_e32 v16, 16, v7
	v_add_nc_u32_e32 v17, 32, v7
	v_and_b32_e32 v9, 0x180, v5
	v_or_b32_e32 v18, 32, v8
	v_sub_nc_u32_e32 v43, v15, v14
	s_wait_kmcnt 0x0
	s_add_nc_u64 s[0:1], s[44:45], s[48:49]
	v_add_nc_u32_e32 v19, 64, v8
	s_clause 0x7
	global_load_u8 v1, v0, s[0:1]
	global_load_u8 v2, v0, s[0:1] offset:128
	global_load_u8 v3, v0, s[0:1] offset:256
	;; [unrolled: 1-line block ×7, first 2 shown]
	v_sub_nc_u32_e32 v29, v14, v6
	v_sub_nc_u32_e32 v44, v17, v16
	;; [unrolled: 1-line block ×3, first 2 shown]
	v_cmp_ge_i32_e64 s0, v34, v43
	v_and_b32_e32 v36, 56, v5
	v_and_b32_e32 v10, 0x100, v5
	v_or_b32_e32 v20, 64, v9
	v_add_nc_u32_e32 v21, 0x80, v9
	v_add_nc_u32_e32 v24, v14, v34
	v_sub_nc_u32_e32 v30, v16, v7
	v_sub_nc_u32_e32 v45, v19, v18
	v_min_i32_e32 v29, v34, v29
	v_sub_nc_u32_e32 v49, v35, v44
	v_cndmask_b32_e64 v34, 0, v48, s0
	v_cmp_ge_i32_e64 s0, v35, v44
	v_and_b32_e32 v37, 0x78, v5
	v_or_b32_e32 v22, 0x80, v10
	v_add_nc_u32_e32 v23, 0x100, v10
	v_add_nc_u32_e32 v25, v16, v35
	v_sub_nc_u32_e32 v31, v18, v8
	v_sub_nc_u32_e32 v46, v21, v20
	v_min_i32_e32 v30, v35, v30
	v_sub_nc_u32_e32 v50, v36, v45
	s_wait_alu 0xf1ff
	v_cndmask_b32_e64 v35, 0, v49, s0
	v_cmp_ge_i32_e64 s0, v36, v45
	v_and_b32_e32 v38, 0xf8, v5
	v_add_nc_u32_e32 v26, v18, v36
	v_sub_nc_u32_e32 v32, v20, v9
	v_sub_nc_u32_e32 v47, v23, v22
	v_min_i32_e32 v31, v36, v31
	v_sub_nc_u32_e32 v51, v37, v46
	s_wait_alu 0xf1ff
	v_cndmask_b32_e64 v36, 0, v50, s0
	v_cmp_ge_i32_e64 s0, v37, v46
	v_add_nc_u32_e32 v27, v20, v37
	v_min_i32_e32 v32, v37, v32
	v_sub_nc_u32_e32 v52, v38, v47
	v_sub_nc_u32_e32 v33, v22, v10
	s_wait_alu 0xf1ff
	v_cndmask_b32_e64 v37, 0, v51, s0
	v_cmp_ge_i32_e64 s0, v38, v47
	v_add_nc_u32_e32 v28, v22, v38
	v_subrev_nc_u32_e64 v11, 0x100, v5 clamp
	v_min_i32_e32 v33, v38, v33
	v_min_i32_e32 v12, 0x100, v5
	s_wait_alu 0xf1ff
	v_cndmask_b32_e64 v38, 0, v52, s0
	v_add_nc_u32_e32 v13, 0x100, v5
	v_cmp_lt_i32_e64 s0, v34, v29
	v_cmp_lt_i32_e64 s1, v35, v30
	;; [unrolled: 1-line block ×5, first 2 shown]
	v_cmp_lt_i32_e32 vcc_lo, v11, v12
	s_wait_loadcnt 0x7
	v_add_nc_u16 v43, v1, 1
	s_wait_loadcnt 0x6
	v_add_nc_u16 v44, v2, 1
	;; [unrolled: 2-line block ×4, first 2 shown]
	s_wait_loadcnt 0x3
	v_perm_b32 v1, v1, v39, 0xc0c0004
	s_wait_loadcnt 0x2
	v_lshlrev_b16 v47, 8, v40
	v_lshlrev_b16 v39, 8, v39
	s_wait_loadcnt 0x1
	v_lshlrev_b16 v48, 8, v41
	s_wait_loadcnt 0x0
	v_lshlrev_b16 v49, 8, v42
	v_and_b32_e32 v43, 0xff, v43
	v_and_b32_e32 v44, 0xff, v44
	;; [unrolled: 1-line block ×4, first 2 shown]
	v_perm_b32 v2, v2, v40, 0xc0c0004
	v_or_b32_e32 v39, v39, v43
	v_or_b32_e32 v40, v47, v44
	;; [unrolled: 1-line block ×4, first 2 shown]
	v_perm_b32 v3, v3, v42, 0xc0c0004
	v_add_nc_u16 v39, 0x100, v39
	v_add_nc_u16 v40, 0x100, v40
	;; [unrolled: 1-line block ×4, first 2 shown]
	v_perm_b32 v4, v4, v41, 0xc0c0004
	v_and_b32_e32 v39, 0xffff, v39
	v_lshlrev_b32_e32 v40, 16, v40
	v_and_b32_e32 v41, 0xffff, v42
	v_lshlrev_b32_e32 v42, 16, v43
	v_lshl_or_b32 v52, v2, 16, v1
	v_lshl_or_b32 v43, v4, 16, v3
	v_or_b32_e32 v1, v39, v40
	s_delay_alu instid0(VALU_DEP_4)
	v_or_b32_e32 v2, v41, v42
	s_branch .LBB49_2
.LBB49_1:                               ;   in Loop: Header=BB49_2 Depth=1
	s_or_b32 exec_lo, exec_lo, s12
	v_cndmask_b32_e64 v51, v51, v53, s7
	v_cndmask_b32_e64 v53, v55, v56, s8
	s_wait_dscnt 0x0
	v_bfe_i32 v55, v73, 0, 8
	v_bfe_i32 v56, v74, 0, 8
	v_cndmask_b32_e64 v65, v45, v46, s5
	v_cndmask_b32_e64 v45, v59, v60, s9
	;; [unrolled: 1-line block ×4, first 2 shown]
	v_cmp_le_i32_e64 s8, 0x100, v72
	v_cmp_lt_i16_e64 s9, v56, v55
	v_cndmask_b32_e64 v43, v43, v44, s5
	v_cmp_gt_i32_e64 s5, 0x200, v69
	v_perm_b32 v40, v40, v41, 0xc0c0004
	v_perm_b32 v39, v42, v39, 0xc0c0004
	;; [unrolled: 1-line block ×4, first 2 shown]
	v_cndmask_b32_e64 v50, v47, v50, s6
	v_cndmask_b32_e64 v48, v48, v49, s6
	s_or_b32 s6, s8, s9
	v_lshl_or_b32 v2, v39, 16, v40
	s_wait_alu 0xfffe
	s_and_b32 s5, s5, s6
	v_lshl_or_b32 v1, v4, 16, v1
	s_wait_alu 0xfffe
	v_cndmask_b32_e64 v41, v72, v69, s5
	v_cndmask_b32_e64 v52, v52, v54, s7
	;; [unrolled: 1-line block ×3, first 2 shown]
	s_wait_loadcnt 0x0
	s_barrier_signal -1
	s_barrier_wait -1
	global_inv scope:SCOPE_SE
	ds_store_b64 v5, v[1:2]
	s_wait_loadcnt_dscnt 0x0
	s_barrier_signal -1
	s_barrier_wait -1
	global_inv scope:SCOPE_SE
	ds_load_u8 v40, v43
	ds_load_u8 v4, v70
	ds_load_u8 v39, v41
	ds_load_u8 v44, v48
	ds_load_u8 v48, v52
	ds_load_u8 v49, v57
	ds_load_u8 v41, v60
	ds_load_u8 v42, v59
	v_cndmask_b32_e64 v46, v63, v64, s10
	v_cndmask_b32_e64 v47, v68, v71, s11
	;; [unrolled: 1-line block ×3, first 2 shown]
	v_lshlrev_b16 v1, 8, v50
	v_and_b32_e32 v2, 0xff, v65
	v_lshlrev_b16 v43, 8, v53
	v_and_b32_e32 v52, 0xff, v51
	;; [unrolled: 2-line block ×3, first 2 shown]
	v_and_b32_e32 v56, 0xff, v47
	v_lshlrev_b16 v57, 8, v3
	v_or_b32_e32 v1, v2, v1
	v_or_b32_e32 v2, v52, v43
	;; [unrolled: 1-line block ×3, first 2 shown]
	s_wait_dscnt 0x5
	v_perm_b32 v58, v4, v39, 0xc0c0004
	v_or_b32_e32 v52, v56, v57
	v_and_b32_e32 v1, 0xffff, v1
	v_lshlrev_b32_e32 v2, 16, v2
	v_and_b32_e32 v43, 0xffff, v43
	s_wait_dscnt 0x4
	v_perm_b32 v55, v40, v44, 0xc0c0004
	v_lshlrev_b32_e32 v54, 16, v52
	s_wait_dscnt 0x2
	v_perm_b32 v56, v48, v49, 0xc0c0004
	s_wait_dscnt 0x0
	v_perm_b32 v57, v41, v42, 0xc0c0004
	v_or_b32_e32 v52, v1, v2
	s_add_co_i32 s43, s43, 1
	v_or_b32_e32 v43, v43, v54
	v_lshl_or_b32 v1, v56, 16, v55
	v_lshl_or_b32 v2, v58, 16, v57
	s_cmp_eq_u32 s43, 10
	s_cbranch_scc1 .LBB49_194
.LBB49_2:                               ; =>This Loop Header: Depth=1
                                        ;     Child Loop BB49_4 Depth 2
                                        ;     Child Loop BB49_36 Depth 2
                                        ;     Child Loop BB49_68 Depth 2
                                        ;     Child Loop BB49_100 Depth 2
                                        ;     Child Loop BB49_132 Depth 2
                                        ;     Child Loop BB49_164 Depth 2
	v_lshrrev_b32_e32 v3, 8, v52
	v_bfe_i32 v4, v52, 0, 8
	v_perm_b32 v39, v52, v52, 0x7060405
	v_lshrrev_b32_e32 v41, 8, v43
	v_bfe_i32 v42, v43, 0, 8
	v_bfe_i32 v3, v3, 0, 8
	v_perm_b32 v44, v43, v43, 0x7060405
	s_delay_alu instid0(VALU_DEP_4) | instskip(SKIP_1) | instid1(VALU_DEP_3)
	v_bfe_i32 v41, v41, 0, 8
	s_barrier_signal -1
	v_cmp_lt_i16_e64 s5, v3, v4
	s_barrier_wait -1
	global_inv scope:SCOPE_SE
	v_cmp_lt_i16_e64 s7, v41, v42
	s_wait_alu 0xf1ff
	v_cndmask_b32_e64 v3, v52, v39, s5
	s_delay_alu instid0(VALU_DEP_1) | instskip(SKIP_1) | instid1(VALU_DEP_2)
	v_lshrrev_b32_e32 v4, 16, v3
	v_lshrrev_b32_e32 v40, 24, v3
	v_perm_b32 v39, 0, v4, 0xc0c0001
	s_delay_alu instid0(VALU_DEP_2) | instskip(SKIP_1) | instid1(VALU_DEP_3)
	v_bfe_i32 v40, v40, 0, 8
	v_bfe_i32 v4, v4, 0, 8
	v_lshlrev_b32_e32 v39, 16, v39
	s_delay_alu instid0(VALU_DEP_2) | instskip(SKIP_1) | instid1(VALU_DEP_3)
	v_cmp_lt_i16_e64 s6, v40, v4
	v_cndmask_b32_e64 v4, v43, v44, s7
	v_and_or_b32 v39, 0xffff, v3, v39
	s_delay_alu instid0(VALU_DEP_2) | instskip(SKIP_2) | instid1(VALU_DEP_3)
	v_lshrrev_b32_e32 v41, 24, v4
	v_lshrrev_b32_e32 v42, 16, v4
	s_wait_alu 0xf1ff
	v_cndmask_b32_e64 v3, v3, v39, s6
	v_perm_b32 v44, v4, v4, 0x6070504
	v_bfe_i32 v41, v41, 0, 8
	v_bfe_i32 v42, v42, 0, 8
	s_delay_alu instid0(VALU_DEP_4) | instskip(SKIP_2) | instid1(VALU_DEP_4)
	v_lshrrev_b32_e32 v39, 16, v3
	v_lshrrev_b32_e32 v40, 8, v3
	v_perm_b32 v43, v3, v3, 0x7050604
	v_cmp_lt_i16_e64 s10, v41, v42
	s_delay_alu instid0(VALU_DEP_4) | instskip(NEXT) | instid1(VALU_DEP_4)
	v_bfe_i32 v39, v39, 0, 8
	v_bfe_i32 v40, v40, 0, 8
	s_wait_alu 0xf1ff
	s_delay_alu instid0(VALU_DEP_3) | instskip(NEXT) | instid1(VALU_DEP_2)
	v_cndmask_b32_e64 v4, v4, v44, s10
	v_cmp_lt_i16_e64 s9, v39, v40
	s_delay_alu instid0(VALU_DEP_2) | instskip(SKIP_2) | instid1(VALU_DEP_3)
	v_lshlrev_b16 v40, 8, v4
	v_bfe_i32 v41, v4, 0, 8
	s_wait_alu 0xf1ff
	v_cndmask_b32_e64 v3, v3, v43, s9
	s_delay_alu instid0(VALU_DEP_1) | instskip(NEXT) | instid1(VALU_DEP_1)
	v_lshrrev_b32_e32 v39, 16, v3
	v_and_b32_e32 v39, 0xff, v39
	s_delay_alu instid0(VALU_DEP_1) | instskip(SKIP_1) | instid1(VALU_DEP_2)
	v_or_b32_e32 v39, v39, v40
	v_lshrrev_b32_e32 v40, 24, v3
	v_lshlrev_b32_e32 v39, 16, v39
	s_delay_alu instid0(VALU_DEP_2) | instskip(NEXT) | instid1(VALU_DEP_2)
	v_bfe_i32 v40, v40, 0, 8
	v_and_or_b32 v39, 0xffff, v3, v39
	s_delay_alu instid0(VALU_DEP_2) | instskip(SKIP_1) | instid1(VALU_DEP_1)
	v_cmp_lt_i16_e64 s8, v41, v40
	s_wait_alu 0xf1ff
	v_cndmask_b32_e64 v39, v3, v39, s8
	v_perm_b32 v3, v3, v4, 0x3020107
	s_delay_alu instid0(VALU_DEP_2) | instskip(SKIP_1) | instid1(VALU_DEP_3)
	v_lshrrev_b32_e32 v40, 8, v39
	v_perm_b32 v41, 0, v39, 0xc0c0001
	v_cndmask_b32_e64 v3, v4, v3, s8
	v_bfe_i32 v4, v39, 0, 8
	s_delay_alu instid0(VALU_DEP_4) | instskip(NEXT) | instid1(VALU_DEP_4)
	v_bfe_i32 v40, v40, 0, 8
	v_and_or_b32 v41, 0xffff0000, v39, v41
	s_delay_alu instid0(VALU_DEP_4) | instskip(NEXT) | instid1(VALU_DEP_3)
	v_lshrrev_b32_e32 v42, 16, v3
	v_cmp_lt_i16_e64 s11, v40, v4
	s_delay_alu instid0(VALU_DEP_2) | instskip(SKIP_2) | instid1(VALU_DEP_3)
	v_bfe_i32 v40, v42, 0, 8
	v_perm_b32 v42, v3, v3, 0x7050604
	s_wait_alu 0xf1ff
	v_cndmask_b32_e64 v4, v39, v41, s11
	v_lshrrev_b32_e32 v39, 8, v3
	s_delay_alu instid0(VALU_DEP_2) | instskip(NEXT) | instid1(VALU_DEP_2)
	v_lshrrev_b32_e32 v41, 16, v4
	v_bfe_i32 v39, v39, 0, 8
	s_delay_alu instid0(VALU_DEP_2) | instskip(NEXT) | instid1(VALU_DEP_2)
	v_perm_b32 v43, 0, v41, 0xc0c0001
	v_cmp_lt_i16_e64 s12, v40, v39
	v_lshrrev_b32_e32 v39, 24, v4
	v_bfe_i32 v41, v41, 0, 8
	s_delay_alu instid0(VALU_DEP_4) | instskip(SKIP_3) | instid1(VALU_DEP_3)
	v_lshlrev_b32_e32 v40, 16, v43
	s_wait_alu 0xf1ff
	v_cndmask_b32_e64 v3, v3, v42, s12
	v_bfe_i32 v39, v39, 0, 8
	v_and_or_b32 v40, 0xffff, v4, v40
	s_delay_alu instid0(VALU_DEP_3) | instskip(SKIP_1) | instid1(VALU_DEP_4)
	v_lshrrev_b32_e32 v42, 8, v3
	v_bfe_i32 v43, v3, 0, 8
	v_cmp_lt_i16_e64 s13, v39, v41
	v_perm_b32 v44, v3, v3, 0x7060405
	s_delay_alu instid0(VALU_DEP_4) | instskip(SKIP_1) | instid1(VALU_DEP_3)
	v_bfe_i32 v42, v42, 0, 8
	s_wait_alu 0xf1ff
	v_cndmask_b32_e64 v4, v4, v40, s13
	s_delay_alu instid0(VALU_DEP_2) | instskip(NEXT) | instid1(VALU_DEP_2)
	v_cmp_lt_i16_e64 s14, v42, v43
	v_lshrrev_b32_e32 v39, 16, v4
	v_lshrrev_b32_e32 v40, 8, v4
	v_perm_b32 v43, v4, v4, 0x7050604
	s_wait_alu 0xf1ff
	v_cndmask_b32_e64 v3, v3, v44, s14
	v_bfe_i32 v39, v39, 0, 8
	v_bfe_i32 v40, v40, 0, 8
	s_delay_alu instid0(VALU_DEP_3) | instskip(SKIP_2) | instid1(VALU_DEP_4)
	v_lshrrev_b32_e32 v41, 24, v3
	v_lshrrev_b32_e32 v42, 16, v3
	v_perm_b32 v44, v3, v3, 0x6070504
	v_cmp_lt_i16_e64 s16, v39, v40
	s_delay_alu instid0(VALU_DEP_4) | instskip(NEXT) | instid1(VALU_DEP_4)
	v_bfe_i32 v41, v41, 0, 8
	v_bfe_i32 v42, v42, 0, 8
	s_wait_alu 0xf1ff
	s_delay_alu instid0(VALU_DEP_3) | instskip(NEXT) | instid1(VALU_DEP_2)
	v_cndmask_b32_e64 v4, v4, v43, s16
	v_cmp_lt_i16_e64 s17, v41, v42
	s_delay_alu instid0(VALU_DEP_2) | instskip(SKIP_1) | instid1(VALU_DEP_2)
	v_lshrrev_b32_e32 v39, 16, v4
	s_wait_alu 0xf1ff
	v_cndmask_b32_e64 v3, v3, v44, s17
	s_delay_alu instid0(VALU_DEP_2) | instskip(NEXT) | instid1(VALU_DEP_2)
	v_and_b32_e32 v39, 0xff, v39
	v_lshlrev_b16 v40, 8, v3
	v_bfe_i32 v41, v3, 0, 8
	s_delay_alu instid0(VALU_DEP_2) | instskip(SKIP_1) | instid1(VALU_DEP_2)
	v_or_b32_e32 v39, v39, v40
	v_lshrrev_b32_e32 v40, 24, v4
	v_lshlrev_b32_e32 v39, 16, v39
	s_delay_alu instid0(VALU_DEP_2) | instskip(NEXT) | instid1(VALU_DEP_2)
	v_bfe_i32 v40, v40, 0, 8
	v_and_or_b32 v39, 0xffff, v4, v39
	s_delay_alu instid0(VALU_DEP_2) | instskip(SKIP_1) | instid1(VALU_DEP_1)
	v_cmp_lt_i16_e64 s15, v41, v40
	s_wait_alu 0xf1ff
	v_cndmask_b32_e64 v39, v4, v39, s15
	v_perm_b32 v4, v4, v3, 0x3020107
	s_delay_alu instid0(VALU_DEP_2) | instskip(SKIP_1) | instid1(VALU_DEP_3)
	v_lshrrev_b32_e32 v40, 8, v39
	v_perm_b32 v41, 0, v39, 0xc0c0001
	v_cndmask_b32_e64 v3, v3, v4, s15
	v_bfe_i32 v4, v39, 0, 8
	s_delay_alu instid0(VALU_DEP_4) | instskip(NEXT) | instid1(VALU_DEP_4)
	v_bfe_i32 v40, v40, 0, 8
	v_and_or_b32 v41, 0xffff0000, v39, v41
	s_delay_alu instid0(VALU_DEP_4) | instskip(NEXT) | instid1(VALU_DEP_3)
	v_lshrrev_b32_e32 v42, 16, v3
	v_cmp_lt_i16_e64 s18, v40, v4
	s_delay_alu instid0(VALU_DEP_2) | instskip(SKIP_2) | instid1(VALU_DEP_3)
	v_bfe_i32 v40, v42, 0, 8
	v_perm_b32 v42, v3, v3, 0x7050604
	s_wait_alu 0xf1ff
	v_cndmask_b32_e64 v4, v39, v41, s18
	v_lshrrev_b32_e32 v39, 8, v3
	s_delay_alu instid0(VALU_DEP_2) | instskip(NEXT) | instid1(VALU_DEP_2)
	v_lshrrev_b32_e32 v41, 16, v4
	v_bfe_i32 v39, v39, 0, 8
	s_delay_alu instid0(VALU_DEP_2) | instskip(NEXT) | instid1(VALU_DEP_2)
	v_perm_b32 v43, 0, v41, 0xc0c0001
	v_cmp_lt_i16_e64 s19, v40, v39
	v_lshrrev_b32_e32 v39, 24, v4
	v_bfe_i32 v41, v41, 0, 8
	s_delay_alu instid0(VALU_DEP_4) | instskip(SKIP_3) | instid1(VALU_DEP_3)
	v_lshlrev_b32_e32 v40, 16, v43
	s_wait_alu 0xf1ff
	v_cndmask_b32_e64 v3, v3, v42, s19
	v_bfe_i32 v39, v39, 0, 8
	v_and_or_b32 v40, 0xffff, v4, v40
	s_delay_alu instid0(VALU_DEP_3) | instskip(SKIP_1) | instid1(VALU_DEP_4)
	v_lshrrev_b32_e32 v42, 8, v3
	v_bfe_i32 v43, v3, 0, 8
	v_cmp_lt_i16_e64 s21, v39, v41
	v_perm_b32 v44, v3, v3, 0x7060405
	s_delay_alu instid0(VALU_DEP_4) | instskip(SKIP_1) | instid1(VALU_DEP_3)
	v_bfe_i32 v42, v42, 0, 8
	s_wait_alu 0xf1ff
	v_cndmask_b32_e64 v4, v4, v40, s21
	s_delay_alu instid0(VALU_DEP_2) | instskip(NEXT) | instid1(VALU_DEP_2)
	v_cmp_lt_i16_e64 s22, v42, v43
	v_lshrrev_b32_e32 v39, 16, v4
	v_lshrrev_b32_e32 v40, 8, v4
	v_perm_b32 v43, v4, v4, 0x7050604
	s_wait_alu 0xf1ff
	v_cndmask_b32_e64 v3, v3, v44, s22
	v_bfe_i32 v39, v39, 0, 8
	v_bfe_i32 v40, v40, 0, 8
	s_delay_alu instid0(VALU_DEP_3) | instskip(SKIP_2) | instid1(VALU_DEP_4)
	v_lshrrev_b32_e32 v41, 24, v3
	v_lshrrev_b32_e32 v42, 16, v3
	v_perm_b32 v44, v3, v3, 0x6070504
	v_cmp_lt_i16_e64 s25, v39, v40
	s_delay_alu instid0(VALU_DEP_4) | instskip(NEXT) | instid1(VALU_DEP_4)
	v_bfe_i32 v41, v41, 0, 8
	v_bfe_i32 v42, v42, 0, 8
	s_wait_alu 0xf1ff
	s_delay_alu instid0(VALU_DEP_3) | instskip(NEXT) | instid1(VALU_DEP_2)
	v_cndmask_b32_e64 v4, v4, v43, s25
	v_cmp_lt_i16_e64 s26, v41, v42
	s_delay_alu instid0(VALU_DEP_2) | instskip(SKIP_1) | instid1(VALU_DEP_2)
	v_lshrrev_b32_e32 v39, 16, v4
	s_wait_alu 0xf1ff
	v_cndmask_b32_e64 v3, v3, v44, s26
	s_delay_alu instid0(VALU_DEP_2) | instskip(NEXT) | instid1(VALU_DEP_2)
	v_and_b32_e32 v39, 0xff, v39
	v_lshlrev_b16 v40, 8, v3
	v_bfe_i32 v41, v3, 0, 8
	s_delay_alu instid0(VALU_DEP_2) | instskip(SKIP_1) | instid1(VALU_DEP_2)
	v_or_b32_e32 v39, v39, v40
	v_lshrrev_b32_e32 v40, 24, v4
	v_lshlrev_b32_e32 v39, 16, v39
	s_delay_alu instid0(VALU_DEP_2) | instskip(NEXT) | instid1(VALU_DEP_2)
	v_bfe_i32 v40, v40, 0, 8
	v_and_or_b32 v39, 0xffff, v4, v39
	s_delay_alu instid0(VALU_DEP_2) | instskip(SKIP_1) | instid1(VALU_DEP_1)
	v_cmp_lt_i16_e64 s24, v41, v40
	s_wait_alu 0xf1ff
	v_cndmask_b32_e64 v39, v4, v39, s24
	v_perm_b32 v4, v4, v3, 0x3020107
	s_delay_alu instid0(VALU_DEP_2) | instskip(SKIP_1) | instid1(VALU_DEP_3)
	v_lshrrev_b32_e32 v40, 8, v39
	v_perm_b32 v41, 0, v39, 0xc0c0001
	v_cndmask_b32_e64 v3, v3, v4, s24
	v_bfe_i32 v4, v39, 0, 8
	s_delay_alu instid0(VALU_DEP_4) | instskip(NEXT) | instid1(VALU_DEP_4)
	v_bfe_i32 v40, v40, 0, 8
	v_and_or_b32 v41, 0xffff0000, v39, v41
	s_delay_alu instid0(VALU_DEP_4) | instskip(NEXT) | instid1(VALU_DEP_3)
	v_lshrrev_b32_e32 v42, 16, v3
	v_cmp_lt_i16_e64 s31, v40, v4
	s_delay_alu instid0(VALU_DEP_2) | instskip(SKIP_2) | instid1(VALU_DEP_3)
	v_bfe_i32 v40, v42, 0, 8
	v_perm_b32 v42, v3, v3, 0x7050604
	s_wait_alu 0xf1ff
	v_cndmask_b32_e64 v4, v39, v41, s31
	v_lshrrev_b32_e32 v39, 8, v3
	s_delay_alu instid0(VALU_DEP_2) | instskip(NEXT) | instid1(VALU_DEP_2)
	v_lshrrev_b32_e32 v41, 16, v4
	v_bfe_i32 v39, v39, 0, 8
	s_delay_alu instid0(VALU_DEP_2) | instskip(NEXT) | instid1(VALU_DEP_2)
	v_perm_b32 v43, 0, v41, 0xc0c0001
	v_cmp_lt_i16_e64 s30, v40, v39
	v_lshrrev_b32_e32 v39, 24, v4
	v_bfe_i32 v41, v41, 0, 8
	s_delay_alu instid0(VALU_DEP_4) | instskip(SKIP_3) | instid1(VALU_DEP_3)
	v_lshlrev_b32_e32 v40, 16, v43
	s_wait_alu 0xf1ff
	v_cndmask_b32_e64 v3, v3, v42, s30
	v_bfe_i32 v39, v39, 0, 8
	v_and_or_b32 v40, 0xffff, v4, v40
	s_delay_alu instid0(VALU_DEP_3) | instskip(SKIP_1) | instid1(VALU_DEP_4)
	v_lshrrev_b32_e32 v42, 8, v3
	v_bfe_i32 v43, v3, 0, 8
	v_cmp_lt_i16_e64 s33, v39, v41
	v_perm_b32 v44, v3, v3, 0x7060405
	s_delay_alu instid0(VALU_DEP_4) | instskip(SKIP_1) | instid1(VALU_DEP_3)
	v_bfe_i32 v42, v42, 0, 8
	s_wait_alu 0xf1ff
	v_cndmask_b32_e64 v4, v4, v40, s33
	s_delay_alu instid0(VALU_DEP_2) | instskip(NEXT) | instid1(VALU_DEP_2)
	v_cmp_lt_i16_e64 s27, v42, v43
	v_lshrrev_b32_e32 v39, 16, v4
	v_lshrrev_b32_e32 v40, 8, v4
	v_perm_b32 v43, v4, v4, 0x7050604
	s_wait_alu 0xf1ff
	v_cndmask_b32_e64 v3, v3, v44, s27
	v_bfe_i32 v39, v39, 0, 8
	v_bfe_i32 v40, v40, 0, 8
	s_delay_alu instid0(VALU_DEP_3) | instskip(SKIP_2) | instid1(VALU_DEP_4)
	v_lshrrev_b32_e32 v41, 24, v3
	v_lshrrev_b32_e32 v42, 16, v3
	v_perm_b32 v44, v3, v3, 0x6070504
	v_cmp_lt_i16_e64 s29, v39, v40
	s_delay_alu instid0(VALU_DEP_4) | instskip(NEXT) | instid1(VALU_DEP_4)
	v_bfe_i32 v41, v41, 0, 8
	v_bfe_i32 v42, v42, 0, 8
	s_wait_alu 0xf1ff
	s_delay_alu instid0(VALU_DEP_3) | instskip(NEXT) | instid1(VALU_DEP_2)
	v_cndmask_b32_e64 v4, v4, v43, s29
	v_cmp_lt_i16_e64 s28, v41, v42
	s_wait_alu 0xf1ff
	s_delay_alu instid0(VALU_DEP_1) | instskip(NEXT) | instid1(VALU_DEP_3)
	v_cndmask_b32_e64 v39, v3, v44, s28
	v_lshrrev_b32_e32 v3, 16, v4
	s_delay_alu instid0(VALU_DEP_2) | instskip(NEXT) | instid1(VALU_DEP_2)
	v_lshlrev_b16 v40, 8, v39
	v_and_b32_e32 v3, 0xff, v3
	v_bfe_i32 v41, v39, 0, 8
	v_perm_b32 v42, v4, v39, 0x3020107
	s_delay_alu instid0(VALU_DEP_3) | instskip(SKIP_1) | instid1(VALU_DEP_2)
	v_or_b32_e32 v3, v3, v40
	v_lshrrev_b32_e32 v40, 24, v4
	v_lshlrev_b32_e32 v3, 16, v3
	s_delay_alu instid0(VALU_DEP_2) | instskip(NEXT) | instid1(VALU_DEP_2)
	v_bfe_i32 v40, v40, 0, 8
	v_and_or_b32 v3, 0xffff, v4, v3
	s_delay_alu instid0(VALU_DEP_2) | instskip(SKIP_1) | instid1(VALU_DEP_1)
	v_cmp_lt_i16_e64 s20, v41, v40
	s_wait_alu 0xf1ff
	v_cndmask_b32_e64 v3, v4, v3, s20
	v_cndmask_b32_e64 v4, v39, v42, s20
	s_delay_alu instid0(VALU_DEP_1) | instskip(SKIP_2) | instid1(VALU_DEP_3)
	v_lshrrev_b32_e32 v39, 16, v4
	v_lshrrev_b32_e32 v40, 8, v4
	v_perm_b32 v41, v4, v4, 0x7050604
	v_bfe_i32 v39, v39, 0, 8
	s_delay_alu instid0(VALU_DEP_3) | instskip(NEXT) | instid1(VALU_DEP_1)
	v_bfe_i32 v40, v40, 0, 8
	v_cmp_lt_i16_e64 s23, v39, v40
	v_mov_b32_e32 v39, v34
	s_wait_alu 0xf1ff
	s_delay_alu instid0(VALU_DEP_2)
	v_cndmask_b32_e64 v4, v4, v41, s23
	ds_store_b64 v5, v[3:4]
	s_wait_loadcnt_dscnt 0x0
	s_barrier_signal -1
	s_barrier_wait -1
	global_inv scope:SCOPE_SE
	s_and_saveexec_b32 s35, s0
	s_cbranch_execz .LBB49_6
; %bb.3:                                ;   in Loop: Header=BB49_2 Depth=1
	v_mov_b32_e32 v39, v34
	v_mov_b32_e32 v3, v29
	s_mov_b32 s36, 0
.LBB49_4:                               ;   Parent Loop BB49_2 Depth=1
                                        ; =>  This Inner Loop Header: Depth=2
	s_delay_alu instid0(VALU_DEP_1) | instskip(NEXT) | instid1(VALU_DEP_1)
	v_sub_nc_u32_e32 v4, v3, v39
	v_lshrrev_b32_e32 v4, 1, v4
	s_delay_alu instid0(VALU_DEP_1) | instskip(NEXT) | instid1(VALU_DEP_1)
	v_add_nc_u32_e32 v4, v4, v39
	v_add_nc_u32_e32 v40, v6, v4
	v_xad_u32 v41, v4, -1, v24
	v_add_nc_u32_e32 v42, 1, v4
	ds_load_i8 v40, v40
	ds_load_i8 v41, v41
	s_wait_dscnt 0x0
	v_cmp_lt_i16_e64 s34, v41, v40
	s_wait_alu 0xf1ff
	s_delay_alu instid0(VALU_DEP_1) | instskip(SKIP_1) | instid1(VALU_DEP_1)
	v_cndmask_b32_e64 v3, v3, v4, s34
	v_cndmask_b32_e64 v39, v42, v39, s34
	v_cmp_ge_i32_e64 s34, v39, v3
	s_wait_alu 0xfffe
	s_or_b32 s36, s34, s36
	s_wait_alu 0xfffe
	s_and_not1_b32 exec_lo, exec_lo, s36
	s_cbranch_execnz .LBB49_4
; %bb.5:                                ;   in Loop: Header=BB49_2 Depth=1
	s_or_b32 exec_lo, exec_lo, s36
.LBB49_6:                               ;   in Loop: Header=BB49_2 Depth=1
	s_wait_alu 0xfffe
	s_or_b32 exec_lo, exec_lo, s35
	v_lshrrev_b64 v[3:4], 24, v[1:2]
	v_add_nc_u32_e32 v4, v39, v6
	v_sub_nc_u32_e32 v39, v24, v39
	v_lshrrev_b32_e32 v50, 8, v2
	v_lshrrev_b32_e32 v51, 16, v2
	;; [unrolled: 1-line block ×3, first 2 shown]
	ds_load_u8 v40, v4
	ds_load_u8 v41, v39
	v_cmp_le_i32_e64 s34, v14, v4
	v_cmp_gt_i32_e64 s36, v15, v39
	v_lshrrev_b32_e32 v53, 16, v1
	v_lshrrev_b32_e32 v55, 8, v1
                                        ; implicit-def: $vgpr42
	s_wait_dscnt 0x1
	v_bfe_i32 v40, v40, 0, 8
	s_wait_dscnt 0x0
	v_bfe_i32 v41, v41, 0, 8
	s_delay_alu instid0(VALU_DEP_1)
	v_cmp_lt_i16_e64 s35, v41, v40
	s_or_b32 s34, s34, s35
	s_wait_alu 0xfffe
	s_and_b32 s34, s36, s34
	s_wait_alu 0xfffe
	s_xor_b32 s35, s34, -1
	s_wait_alu 0xfffe
	s_and_saveexec_b32 s36, s35
	s_wait_alu 0xfffe
	s_xor_b32 s35, exec_lo, s36
; %bb.7:                                ;   in Loop: Header=BB49_2 Depth=1
	ds_load_u8 v42, v4 offset:1
; %bb.8:                                ;   in Loop: Header=BB49_2 Depth=1
	s_wait_alu 0xfffe
	s_or_saveexec_b32 s35, s35
	v_mov_b32_e32 v43, v41
	s_wait_alu 0xfffe
	s_xor_b32 exec_lo, exec_lo, s35
	s_cbranch_execz .LBB49_10
; %bb.9:                                ;   in Loop: Header=BB49_2 Depth=1
	ds_load_u8 v43, v39 offset:1
	s_wait_dscnt 0x1
	v_mov_b32_e32 v42, v40
.LBB49_10:                              ;   in Loop: Header=BB49_2 Depth=1
	s_or_b32 exec_lo, exec_lo, s35
	v_add_nc_u32_e32 v44, 1, v4
	v_add_nc_u32_e32 v45, 1, v39
	s_wait_dscnt 0x0
	v_bfe_i32 v46, v42, 0, 8
	v_bfe_i32 v47, v43, 0, 8
	v_cndmask_b32_e64 v44, v44, v4, s34
	v_cndmask_b32_e64 v45, v39, v45, s34
	s_delay_alu instid0(VALU_DEP_3) | instskip(NEXT) | instid1(VALU_DEP_3)
	v_cmp_lt_i16_e64 s36, v47, v46
                                        ; implicit-def: $vgpr46
	v_cmp_ge_i32_e64 s35, v44, v14
	s_delay_alu instid0(VALU_DEP_3)
	v_cmp_lt_i32_e64 s37, v45, v15
	s_or_b32 s35, s35, s36
	s_wait_alu 0xfffe
	s_and_b32 s35, s37, s35
	s_wait_alu 0xfffe
	s_xor_b32 s36, s35, -1
	s_wait_alu 0xfffe
	s_and_saveexec_b32 s37, s36
	s_wait_alu 0xfffe
	s_xor_b32 s36, exec_lo, s37
; %bb.11:                               ;   in Loop: Header=BB49_2 Depth=1
	ds_load_u8 v46, v44 offset:1
; %bb.12:                               ;   in Loop: Header=BB49_2 Depth=1
	s_wait_alu 0xfffe
	s_or_saveexec_b32 s36, s36
	v_mov_b32_e32 v47, v43
	s_wait_alu 0xfffe
	s_xor_b32 exec_lo, exec_lo, s36
	s_cbranch_execz .LBB49_14
; %bb.13:                               ;   in Loop: Header=BB49_2 Depth=1
	ds_load_u8 v47, v45 offset:1
	s_wait_dscnt 0x1
	v_mov_b32_e32 v46, v42
.LBB49_14:                              ;   in Loop: Header=BB49_2 Depth=1
	s_or_b32 exec_lo, exec_lo, s36
	v_add_nc_u32_e32 v48, 1, v44
	v_add_nc_u32_e32 v49, 1, v45
	s_wait_dscnt 0x0
	v_bfe_i32 v54, v46, 0, 8
	v_bfe_i32 v56, v47, 0, 8
	v_cndmask_b32_e64 v48, v48, v44, s35
	v_cndmask_b32_e64 v49, v45, v49, s35
	s_delay_alu instid0(VALU_DEP_3) | instskip(NEXT) | instid1(VALU_DEP_3)
	v_cmp_lt_i16_e64 s37, v56, v54
                                        ; implicit-def: $vgpr54
	v_cmp_ge_i32_e64 s36, v48, v14
	s_delay_alu instid0(VALU_DEP_3)
	v_cmp_lt_i32_e64 s38, v49, v15
	s_or_b32 s36, s36, s37
	s_wait_alu 0xfffe
	s_and_b32 s36, s38, s36
	s_wait_alu 0xfffe
	s_xor_b32 s37, s36, -1
	s_wait_alu 0xfffe
	s_and_saveexec_b32 s38, s37
	s_wait_alu 0xfffe
	s_xor_b32 s37, exec_lo, s38
; %bb.15:                               ;   in Loop: Header=BB49_2 Depth=1
	ds_load_u8 v54, v48 offset:1
; %bb.16:                               ;   in Loop: Header=BB49_2 Depth=1
	s_wait_alu 0xfffe
	s_or_saveexec_b32 s37, s37
	v_mov_b32_e32 v56, v47
	s_wait_alu 0xfffe
	s_xor_b32 exec_lo, exec_lo, s37
	s_cbranch_execz .LBB49_18
; %bb.17:                               ;   in Loop: Header=BB49_2 Depth=1
	ds_load_u8 v56, v49 offset:1
	s_wait_dscnt 0x1
	v_mov_b32_e32 v54, v46
.LBB49_18:                              ;   in Loop: Header=BB49_2 Depth=1
	s_or_b32 exec_lo, exec_lo, s37
	v_add_nc_u32_e32 v57, 1, v48
	v_add_nc_u32_e32 v58, 1, v49
	s_wait_dscnt 0x0
	v_bfe_i32 v59, v54, 0, 8
	v_bfe_i32 v60, v56, 0, 8
	v_cndmask_b32_e64 v57, v57, v48, s36
	v_cndmask_b32_e64 v58, v49, v58, s36
	s_delay_alu instid0(VALU_DEP_3) | instskip(NEXT) | instid1(VALU_DEP_3)
	v_cmp_lt_i16_e64 s38, v60, v59
                                        ; implicit-def: $vgpr59
	v_cmp_ge_i32_e64 s37, v57, v14
	s_delay_alu instid0(VALU_DEP_3)
	v_cmp_lt_i32_e64 s39, v58, v15
	s_or_b32 s37, s37, s38
	s_wait_alu 0xfffe
	s_and_b32 s37, s39, s37
	s_wait_alu 0xfffe
	s_xor_b32 s38, s37, -1
	s_wait_alu 0xfffe
	s_and_saveexec_b32 s39, s38
	s_wait_alu 0xfffe
	s_xor_b32 s38, exec_lo, s39
; %bb.19:                               ;   in Loop: Header=BB49_2 Depth=1
	ds_load_u8 v59, v57 offset:1
; %bb.20:                               ;   in Loop: Header=BB49_2 Depth=1
	s_wait_alu 0xfffe
	s_or_saveexec_b32 s38, s38
	v_mov_b32_e32 v60, v56
	s_wait_alu 0xfffe
	s_xor_b32 exec_lo, exec_lo, s38
	s_cbranch_execz .LBB49_22
; %bb.21:                               ;   in Loop: Header=BB49_2 Depth=1
	ds_load_u8 v60, v58 offset:1
	s_wait_dscnt 0x1
	v_mov_b32_e32 v59, v54
.LBB49_22:                              ;   in Loop: Header=BB49_2 Depth=1
	s_or_b32 exec_lo, exec_lo, s38
	v_add_nc_u32_e32 v61, 1, v57
	v_add_nc_u32_e32 v62, 1, v58
	s_wait_dscnt 0x0
	v_bfe_i32 v63, v59, 0, 8
	v_bfe_i32 v64, v60, 0, 8
	v_cndmask_b32_e64 v61, v61, v57, s37
	v_cndmask_b32_e64 v62, v58, v62, s37
	s_delay_alu instid0(VALU_DEP_3) | instskip(NEXT) | instid1(VALU_DEP_3)
	v_cmp_lt_i16_e64 s39, v64, v63
                                        ; implicit-def: $vgpr64
	v_cmp_ge_i32_e64 s38, v61, v14
	s_delay_alu instid0(VALU_DEP_3)
	v_cmp_lt_i32_e64 s40, v62, v15
	s_or_b32 s38, s38, s39
	s_wait_alu 0xfffe
	s_and_b32 s38, s40, s38
	s_wait_alu 0xfffe
	s_xor_b32 s39, s38, -1
	s_wait_alu 0xfffe
	s_and_saveexec_b32 s40, s39
	s_wait_alu 0xfffe
	s_xor_b32 s39, exec_lo, s40
; %bb.23:                               ;   in Loop: Header=BB49_2 Depth=1
	ds_load_u8 v64, v61 offset:1
; %bb.24:                               ;   in Loop: Header=BB49_2 Depth=1
	s_wait_alu 0xfffe
	s_or_saveexec_b32 s39, s39
	v_mov_b32_e32 v66, v60
	s_wait_alu 0xfffe
	s_xor_b32 exec_lo, exec_lo, s39
	s_cbranch_execz .LBB49_26
; %bb.25:                               ;   in Loop: Header=BB49_2 Depth=1
	ds_load_u8 v66, v62 offset:1
	s_wait_dscnt 0x1
	v_mov_b32_e32 v64, v59
.LBB49_26:                              ;   in Loop: Header=BB49_2 Depth=1
	s_or_b32 exec_lo, exec_lo, s39
	v_add_nc_u32_e32 v63, 1, v61
	v_add_nc_u32_e32 v65, 1, v62
	s_wait_dscnt 0x0
	v_bfe_i32 v67, v64, 0, 8
                                        ; implicit-def: $vgpr71
	s_delay_alu instid0(VALU_DEP_3) | instskip(SKIP_2) | instid1(VALU_DEP_3)
	v_cndmask_b32_e64 v69, v63, v61, s38
	v_bfe_i32 v63, v66, 0, 8
	v_cndmask_b32_e64 v70, v62, v65, s38
	v_cmp_ge_i32_e64 s39, v69, v14
	s_delay_alu instid0(VALU_DEP_3) | instskip(NEXT) | instid1(VALU_DEP_3)
	v_cmp_lt_i16_e64 s40, v63, v67
	v_cmp_lt_i32_e64 s41, v70, v15
	s_or_b32 s39, s39, s40
	s_wait_alu 0xfffe
	s_and_b32 s40, s41, s39
	s_wait_alu 0xfffe
	s_xor_b32 s39, s40, -1
	s_wait_alu 0xfffe
	s_and_saveexec_b32 s41, s39
	s_wait_alu 0xfffe
	s_xor_b32 s39, exec_lo, s41
; %bb.27:                               ;   in Loop: Header=BB49_2 Depth=1
	ds_load_u8 v71, v69 offset:1
; %bb.28:                               ;   in Loop: Header=BB49_2 Depth=1
	s_wait_alu 0xfffe
	s_or_saveexec_b32 s39, s39
	v_mov_b32_e32 v72, v66
	s_wait_alu 0xfffe
	s_xor_b32 exec_lo, exec_lo, s39
	s_cbranch_execz .LBB49_30
; %bb.29:                               ;   in Loop: Header=BB49_2 Depth=1
	ds_load_u8 v72, v70 offset:1
	s_wait_dscnt 0x1
	v_mov_b32_e32 v71, v64
.LBB49_30:                              ;   in Loop: Header=BB49_2 Depth=1
	s_or_b32 exec_lo, exec_lo, s39
	v_add_nc_u32_e32 v63, 1, v69
	v_add_nc_u32_e32 v65, 1, v70
	s_wait_dscnt 0x0
	v_bfe_i32 v73, v71, 0, 8
	s_delay_alu instid0(VALU_DEP_3) | instskip(SKIP_2) | instid1(VALU_DEP_3)
	v_cndmask_b32_e64 v67, v63, v69, s40
	v_bfe_i32 v63, v72, 0, 8
	v_cndmask_b32_e64 v68, v70, v65, s40
	v_cmp_ge_i32_e64 s39, v67, v14
	s_delay_alu instid0(VALU_DEP_3) | instskip(NEXT) | instid1(VALU_DEP_3)
	v_cmp_lt_i16_e64 s41, v63, v73
	v_cmp_lt_i32_e64 s42, v68, v15
                                        ; implicit-def: $vgpr63
	s_or_b32 s39, s39, s41
	s_wait_alu 0xfffe
	s_and_b32 s39, s42, s39
	s_wait_alu 0xfffe
	s_xor_b32 s41, s39, -1
	s_wait_alu 0xfffe
	s_and_saveexec_b32 s42, s41
	s_delay_alu instid0(SALU_CYCLE_1)
	s_xor_b32 s41, exec_lo, s42
; %bb.31:                               ;   in Loop: Header=BB49_2 Depth=1
	ds_load_u8 v63, v67 offset:1
; %bb.32:                               ;   in Loop: Header=BB49_2 Depth=1
	s_wait_alu 0xfffe
	s_or_saveexec_b32 s41, s41
	v_mov_b32_e32 v65, v72
	s_wait_alu 0xfffe
	s_xor_b32 exec_lo, exec_lo, s41
	s_cbranch_execz .LBB49_34
; %bb.33:                               ;   in Loop: Header=BB49_2 Depth=1
	ds_load_u8 v65, v68 offset:1
	s_wait_dscnt 0x1
	v_mov_b32_e32 v63, v71
.LBB49_34:                              ;   in Loop: Header=BB49_2 Depth=1
	s_or_b32 exec_lo, exec_lo, s41
	v_perm_b32 v73, v55, v1, 0xc0c0004
	v_perm_b32 v1, v1, v55, 0xc0c0004
	;; [unrolled: 1-line block ×5, first 2 shown]
	v_cndmask_b32_e64 v54, v54, v56, s37
	v_cndmask_b32_e64 v1, v1, v73, s5
	v_perm_b32 v53, 0, v3, 0xc0c0001
	v_cndmask_b32_e64 v40, v40, v41, s34
	v_lshl_or_b32 v2, v50, 16, v2
	v_cndmask_b32_e64 v42, v42, v43, s35
	v_lshl_or_b32 v1, v3, 16, v1
	v_lshlrev_b32_e32 v3, 16, v53
	v_cndmask_b32_e64 v43, v44, v45, s35
	v_perm_b32 v50, v2, v2, 0x7060405
	v_add_nc_u32_e32 v52, 1, v67
	v_add_nc_u32_e32 v51, 1, v68
	v_and_or_b32 v3, 0xffff, v1, v3
	v_cndmask_b32_e64 v46, v46, v47, s36
	v_cndmask_b32_e64 v2, v2, v50, s7
	;; [unrolled: 1-line block ×6, first 2 shown]
	v_perm_b32 v50, v2, v2, 0x6070504
	v_cndmask_b32_e64 v64, v64, v66, s40
	v_cmp_ge_i32_e64 s6, v48, v14
	v_perm_b32 v3, v1, v1, 0x7050604
	v_cmp_lt_i32_e64 s7, v45, v15
	v_cndmask_b32_e64 v2, v2, v50, s10
	v_cndmask_b32_e64 v57, v57, v58, s37
	;; [unrolled: 1-line block ×5, first 2 shown]
	v_lshlrev_b16 v50, 8, v2
	s_wait_loadcnt_dscnt 0x0
	s_barrier_signal -1
	v_lshrrev_b32_e32 v3, 16, v1
	s_barrier_wait -1
	global_inv scope:SCOPE_SE
	v_and_b32_e32 v3, 0xff, v3
	s_delay_alu instid0(VALU_DEP_1) | instskip(NEXT) | instid1(VALU_DEP_1)
	v_or_b32_e32 v3, v3, v50
	v_lshlrev_b32_e32 v3, 16, v3
	s_delay_alu instid0(VALU_DEP_1) | instskip(NEXT) | instid1(VALU_DEP_1)
	v_and_or_b32 v3, 0xffff, v1, v3
	v_cndmask_b32_e64 v3, v1, v3, s8
	v_perm_b32 v1, v1, v2, 0x3020107
	s_delay_alu instid0(VALU_DEP_2) | instskip(NEXT) | instid1(VALU_DEP_2)
	v_perm_b32 v50, 0, v3, 0xc0c0001
	v_cndmask_b32_e64 v1, v2, v1, s8
	s_delay_alu instid0(VALU_DEP_2) | instskip(NEXT) | instid1(VALU_DEP_1)
	v_and_or_b32 v50, 0xffff0000, v3, v50
	v_cndmask_b32_e64 v3, v3, v50, s11
	s_delay_alu instid0(VALU_DEP_1) | instskip(NEXT) | instid1(VALU_DEP_1)
	v_lshrrev_b32_e32 v50, 16, v3
	v_perm_b32 v2, 0, v50, 0xc0c0001
	v_perm_b32 v50, v1, v1, 0x7050604
	s_delay_alu instid0(VALU_DEP_2) | instskip(NEXT) | instid1(VALU_DEP_2)
	v_lshlrev_b32_e32 v2, 16, v2
	v_cndmask_b32_e64 v1, v1, v50, s12
	s_delay_alu instid0(VALU_DEP_2) | instskip(NEXT) | instid1(VALU_DEP_2)
	v_and_or_b32 v2, 0xffff, v3, v2
	v_perm_b32 v50, v1, v1, 0x7060405
	s_delay_alu instid0(VALU_DEP_2) | instskip(NEXT) | instid1(VALU_DEP_2)
	v_cndmask_b32_e64 v2, v3, v2, s13
	v_cndmask_b32_e64 v1, v1, v50, s14
	s_delay_alu instid0(VALU_DEP_2) | instskip(NEXT) | instid1(VALU_DEP_2)
	v_perm_b32 v3, v2, v2, 0x7050604
	v_perm_b32 v50, v1, v1, 0x6070504
	s_delay_alu instid0(VALU_DEP_2) | instskip(NEXT) | instid1(VALU_DEP_2)
	v_cndmask_b32_e64 v2, v2, v3, s16
	v_cndmask_b32_e64 v1, v1, v50, s17
	s_delay_alu instid0(VALU_DEP_2) | instskip(NEXT) | instid1(VALU_DEP_2)
	v_lshrrev_b32_e32 v3, 16, v2
	v_lshlrev_b16 v50, 8, v1
	s_delay_alu instid0(VALU_DEP_2) | instskip(NEXT) | instid1(VALU_DEP_1)
	v_and_b32_e32 v3, 0xff, v3
	v_or_b32_e32 v3, v3, v50
	s_delay_alu instid0(VALU_DEP_1) | instskip(NEXT) | instid1(VALU_DEP_1)
	v_lshlrev_b32_e32 v3, 16, v3
	v_and_or_b32 v3, 0xffff, v2, v3
	s_delay_alu instid0(VALU_DEP_1) | instskip(SKIP_1) | instid1(VALU_DEP_2)
	v_cndmask_b32_e64 v3, v2, v3, s15
	v_perm_b32 v2, v2, v1, 0x3020107
	v_perm_b32 v50, 0, v3, 0xc0c0001
	s_delay_alu instid0(VALU_DEP_2) | instskip(NEXT) | instid1(VALU_DEP_2)
	v_cndmask_b32_e64 v1, v1, v2, s15
	v_and_or_b32 v50, 0xffff0000, v3, v50
	s_delay_alu instid0(VALU_DEP_1) | instskip(NEXT) | instid1(VALU_DEP_1)
	v_cndmask_b32_e64 v3, v3, v50, s18
	v_lshrrev_b32_e32 v50, 16, v3
	s_delay_alu instid0(VALU_DEP_1) | instskip(SKIP_1) | instid1(VALU_DEP_2)
	v_perm_b32 v2, 0, v50, 0xc0c0001
	v_perm_b32 v50, v1, v1, 0x7050604
	v_lshlrev_b32_e32 v2, 16, v2
	s_delay_alu instid0(VALU_DEP_2) | instskip(NEXT) | instid1(VALU_DEP_2)
	v_cndmask_b32_e64 v1, v1, v50, s19
	v_and_or_b32 v2, 0xffff, v3, v2
	s_delay_alu instid0(VALU_DEP_2) | instskip(NEXT) | instid1(VALU_DEP_2)
	v_perm_b32 v50, v1, v1, 0x7060405
	v_cndmask_b32_e64 v2, v3, v2, s21
	s_delay_alu instid0(VALU_DEP_2) | instskip(NEXT) | instid1(VALU_DEP_2)
	v_cndmask_b32_e64 v1, v1, v50, s22
	v_perm_b32 v3, v2, v2, 0x7050604
	s_delay_alu instid0(VALU_DEP_2) | instskip(NEXT) | instid1(VALU_DEP_2)
	v_perm_b32 v50, v1, v1, 0x6070504
	v_cndmask_b32_e64 v2, v2, v3, s25
	s_delay_alu instid0(VALU_DEP_2) | instskip(NEXT) | instid1(VALU_DEP_2)
	v_cndmask_b32_e64 v1, v1, v50, s26
	v_lshrrev_b32_e32 v3, 16, v2
	s_delay_alu instid0(VALU_DEP_2) | instskip(NEXT) | instid1(VALU_DEP_2)
	v_lshlrev_b16 v50, 8, v1
	v_and_b32_e32 v3, 0xff, v3
	s_delay_alu instid0(VALU_DEP_1) | instskip(NEXT) | instid1(VALU_DEP_1)
	v_or_b32_e32 v3, v3, v50
	v_lshlrev_b32_e32 v3, 16, v3
	s_delay_alu instid0(VALU_DEP_1) | instskip(NEXT) | instid1(VALU_DEP_1)
	v_and_or_b32 v3, 0xffff, v2, v3
	v_cndmask_b32_e64 v3, v2, v3, s24
	v_perm_b32 v2, v2, v1, 0x3020107
	s_delay_alu instid0(VALU_DEP_2) | instskip(NEXT) | instid1(VALU_DEP_2)
	v_perm_b32 v50, 0, v3, 0xc0c0001
	v_cndmask_b32_e64 v1, v1, v2, s24
	s_delay_alu instid0(VALU_DEP_2) | instskip(NEXT) | instid1(VALU_DEP_2)
	v_and_or_b32 v50, 0xffff0000, v3, v50
	v_perm_b32 v56, v1, v1, 0x7050604
	s_delay_alu instid0(VALU_DEP_2) | instskip(NEXT) | instid1(VALU_DEP_2)
	v_cndmask_b32_e64 v3, v3, v50, s31
	v_cndmask_b32_e64 v1, v1, v56, s30
	;; [unrolled: 1-line block ×3, first 2 shown]
	s_delay_alu instid0(VALU_DEP_3) | instskip(NEXT) | instid1(VALU_DEP_3)
	v_lshrrev_b32_e32 v53, 16, v3
	v_perm_b32 v41, v1, v1, 0x7060405
	s_delay_alu instid0(VALU_DEP_3) | instskip(NEXT) | instid1(VALU_DEP_3)
	v_and_b32_e32 v50, 0xff, v50
	v_perm_b32 v2, 0, v53, 0xc0c0001
	s_delay_alu instid0(VALU_DEP_3) | instskip(SKIP_2) | instid1(VALU_DEP_4)
	v_cndmask_b32_e64 v1, v1, v41, s27
	v_cndmask_b32_e64 v53, v59, v60, s38
	;; [unrolled: 1-line block ×3, first 2 shown]
	v_lshlrev_b32_e32 v2, 16, v2
	s_delay_alu instid0(VALU_DEP_4) | instskip(NEXT) | instid1(VALU_DEP_2)
	v_perm_b32 v44, v1, v1, 0x6070504
	v_and_or_b32 v2, 0xffff, v3, v2
	s_delay_alu instid0(VALU_DEP_2) | instskip(SKIP_1) | instid1(VALU_DEP_3)
	v_cndmask_b32_e64 v1, v1, v44, s28
	v_and_b32_e32 v44, 0xff, v46
	v_cndmask_b32_e64 v2, v3, v2, s33
	v_cndmask_b32_e64 v3, v4, v39, s34
	v_bfe_i32 v4, v63, 0, 8
	v_bfe_i32 v39, v65, 0, 8
	s_delay_alu instid0(VALU_DEP_4) | instskip(NEXT) | instid1(VALU_DEP_2)
	v_perm_b32 v41, v2, v2, 0x7050604
	v_cmp_lt_i16_e64 s5, v39, v4
	v_and_b32_e32 v39, 0xff, v40
	s_delay_alu instid0(VALU_DEP_3)
	v_cndmask_b32_e64 v41, v2, v41, s29
	v_lshlrev_b16 v40, 8, v1
	v_lshlrev_b16 v4, 8, v42
	s_or_b32 s5, s6, s5
	v_lshlrev_b16 v42, 8, v54
	v_lshrrev_b32_e32 v2, 16, v41
	v_perm_b32 v46, v41, v1, 0x3020107
	s_wait_alu 0xfffe
	s_and_b32 s5, s7, s5
	s_wait_alu 0xfffe
	v_cndmask_b32_e64 v49, v63, v65, s5
	v_and_b32_e32 v2, 0xff, v2
	v_cndmask_b32_e64 v1, v1, v46, s20
	v_and_b32_e32 v46, 0xff, v53
	v_or_b32_e32 v53, v39, v4
	v_lshlrev_b16 v4, 8, v49
	v_or_b32_e32 v2, v2, v40
	v_perm_b32 v51, v1, v1, 0x7050604
	v_lshlrev_b16 v40, 8, v64
	v_cndmask_b32_e64 v39, v48, v45, s5
	v_or_b32_e32 v44, v44, v42
	v_lshlrev_b32_e32 v2, 16, v2
	v_or_b32_e32 v45, v50, v4
	v_or_b32_e32 v46, v46, v40
	s_delay_alu instid0(VALU_DEP_4) | instskip(NEXT) | instid1(VALU_DEP_4)
	v_lshlrev_b32_e32 v44, 16, v44
	v_and_or_b32 v52, 0xffff, v41, v2
	v_cndmask_b32_e64 v2, v1, v51, s23
	s_delay_alu instid0(VALU_DEP_4) | instskip(SKIP_1) | instid1(VALU_DEP_4)
	v_and_b32_e32 v46, 0xffff, v46
	v_lshlrev_b32_e32 v45, 16, v45
	v_cndmask_b32_e64 v1, v41, v52, s20
	ds_store_b64 v5, v[1:2]
	s_wait_loadcnt_dscnt 0x0
	s_barrier_signal -1
	s_barrier_wait -1
	global_inv scope:SCOPE_SE
	ds_load_u8 v1, v3
	ds_load_u8 v39, v39
	;; [unrolled: 1-line block ×8, first 2 shown]
	v_and_b32_e32 v43, 0xffff, v53
	s_wait_loadcnt_dscnt 0x0
	s_barrier_signal -1
	s_barrier_wait -1
	global_inv scope:SCOPE_SE
	v_or_b32_e32 v43, v43, v44
	v_or_b32_e32 v44, v46, v45
	ds_store_b64 v5, v[43:44]
	v_mov_b32_e32 v44, v35
	s_wait_loadcnt_dscnt 0x0
	s_barrier_signal -1
	s_barrier_wait -1
	global_inv scope:SCOPE_SE
	s_and_saveexec_b32 s6, s1
	s_cbranch_execz .LBB49_38
; %bb.35:                               ;   in Loop: Header=BB49_2 Depth=1
	v_dual_mov_b32 v44, v35 :: v_dual_mov_b32 v43, v30
	s_mov_b32 s7, 0
.LBB49_36:                              ;   Parent Loop BB49_2 Depth=1
                                        ; =>  This Inner Loop Header: Depth=2
	s_delay_alu instid0(VALU_DEP_1) | instskip(NEXT) | instid1(VALU_DEP_1)
	v_sub_nc_u32_e32 v45, v43, v44
	v_lshrrev_b32_e32 v45, 1, v45
	s_delay_alu instid0(VALU_DEP_1) | instskip(NEXT) | instid1(VALU_DEP_1)
	v_add_nc_u32_e32 v45, v45, v44
	v_add_nc_u32_e32 v46, v7, v45
	v_xad_u32 v47, v45, -1, v25
	v_add_nc_u32_e32 v48, 1, v45
	ds_load_i8 v46, v46
	ds_load_i8 v47, v47
	s_wait_dscnt 0x0
	v_cmp_lt_i16_e64 s5, v47, v46
	s_wait_alu 0xf1ff
	s_delay_alu instid0(VALU_DEP_1) | instskip(SKIP_1) | instid1(VALU_DEP_1)
	v_cndmask_b32_e64 v43, v43, v45, s5
	v_cndmask_b32_e64 v44, v48, v44, s5
	v_cmp_ge_i32_e64 s5, v44, v43
	s_wait_alu 0xfffe
	s_or_b32 s7, s5, s7
	s_wait_alu 0xfffe
	s_and_not1_b32 exec_lo, exec_lo, s7
	s_cbranch_execnz .LBB49_36
; %bb.37:                               ;   in Loop: Header=BB49_2 Depth=1
	s_or_b32 exec_lo, exec_lo, s7
.LBB49_38:                              ;   in Loop: Header=BB49_2 Depth=1
	s_wait_alu 0xfffe
	s_or_b32 exec_lo, exec_lo, s6
	v_add_nc_u32_e32 v43, v44, v7
	v_sub_nc_u32_e32 v44, v25, v44
                                        ; implicit-def: $vgpr47
	ds_load_u8 v45, v43
	ds_load_u8 v46, v44
	v_cmp_le_i32_e64 s5, v16, v43
	v_cmp_gt_i32_e64 s7, v17, v44
	s_wait_dscnt 0x1
	v_bfe_i32 v45, v45, 0, 8
	s_wait_dscnt 0x0
	v_bfe_i32 v46, v46, 0, 8
	s_delay_alu instid0(VALU_DEP_1)
	v_cmp_lt_i16_e64 s6, v46, v45
	s_or_b32 s5, s5, s6
	s_wait_alu 0xfffe
	s_and_b32 s5, s7, s5
	s_wait_alu 0xfffe
	s_xor_b32 s6, s5, -1
	s_wait_alu 0xfffe
	s_and_saveexec_b32 s7, s6
	s_wait_alu 0xfffe
	s_xor_b32 s6, exec_lo, s7
; %bb.39:                               ;   in Loop: Header=BB49_2 Depth=1
	ds_load_u8 v47, v43 offset:1
; %bb.40:                               ;   in Loop: Header=BB49_2 Depth=1
	s_wait_alu 0xfffe
	s_or_saveexec_b32 s6, s6
	v_mov_b32_e32 v48, v46
	s_wait_alu 0xfffe
	s_xor_b32 exec_lo, exec_lo, s6
	s_cbranch_execz .LBB49_42
; %bb.41:                               ;   in Loop: Header=BB49_2 Depth=1
	ds_load_u8 v48, v44 offset:1
	s_wait_dscnt 0x1
	v_mov_b32_e32 v47, v45
.LBB49_42:                              ;   in Loop: Header=BB49_2 Depth=1
	s_or_b32 exec_lo, exec_lo, s6
	v_add_nc_u32_e32 v49, 1, v43
	v_add_nc_u32_e32 v50, 1, v44
	s_wait_dscnt 0x0
	v_bfe_i32 v51, v47, 0, 8
	v_bfe_i32 v52, v48, 0, 8
	v_cndmask_b32_e64 v49, v49, v43, s5
	v_cndmask_b32_e64 v50, v44, v50, s5
	s_delay_alu instid0(VALU_DEP_3) | instskip(NEXT) | instid1(VALU_DEP_3)
	v_cmp_lt_i16_e64 s7, v52, v51
                                        ; implicit-def: $vgpr51
	v_cmp_ge_i32_e64 s6, v49, v16
	s_delay_alu instid0(VALU_DEP_3)
	v_cmp_lt_i32_e64 s8, v50, v17
	s_or_b32 s6, s6, s7
	s_wait_alu 0xfffe
	s_and_b32 s6, s8, s6
	s_wait_alu 0xfffe
	s_xor_b32 s7, s6, -1
	s_wait_alu 0xfffe
	s_and_saveexec_b32 s8, s7
	s_wait_alu 0xfffe
	s_xor_b32 s7, exec_lo, s8
; %bb.43:                               ;   in Loop: Header=BB49_2 Depth=1
	ds_load_u8 v51, v49 offset:1
; %bb.44:                               ;   in Loop: Header=BB49_2 Depth=1
	s_wait_alu 0xfffe
	s_or_saveexec_b32 s7, s7
	v_mov_b32_e32 v52, v48
	s_wait_alu 0xfffe
	s_xor_b32 exec_lo, exec_lo, s7
	s_cbranch_execz .LBB49_46
; %bb.45:                               ;   in Loop: Header=BB49_2 Depth=1
	ds_load_u8 v52, v50 offset:1
	s_wait_dscnt 0x1
	v_mov_b32_e32 v51, v47
.LBB49_46:                              ;   in Loop: Header=BB49_2 Depth=1
	s_or_b32 exec_lo, exec_lo, s7
	v_add_nc_u32_e32 v53, 1, v49
	v_add_nc_u32_e32 v54, 1, v50
	s_wait_dscnt 0x0
	v_bfe_i32 v55, v51, 0, 8
	v_bfe_i32 v56, v52, 0, 8
	v_cndmask_b32_e64 v53, v53, v49, s6
	v_cndmask_b32_e64 v54, v50, v54, s6
	s_delay_alu instid0(VALU_DEP_3) | instskip(NEXT) | instid1(VALU_DEP_3)
	v_cmp_lt_i16_e64 s8, v56, v55
                                        ; implicit-def: $vgpr55
	v_cmp_ge_i32_e64 s7, v53, v16
	s_delay_alu instid0(VALU_DEP_3)
	v_cmp_lt_i32_e64 s9, v54, v17
	s_or_b32 s7, s7, s8
	s_wait_alu 0xfffe
	s_and_b32 s7, s9, s7
	s_wait_alu 0xfffe
	s_xor_b32 s8, s7, -1
	s_wait_alu 0xfffe
	s_and_saveexec_b32 s9, s8
	s_wait_alu 0xfffe
	s_xor_b32 s8, exec_lo, s9
; %bb.47:                               ;   in Loop: Header=BB49_2 Depth=1
	ds_load_u8 v55, v53 offset:1
; %bb.48:                               ;   in Loop: Header=BB49_2 Depth=1
	s_wait_alu 0xfffe
	s_or_saveexec_b32 s8, s8
	v_mov_b32_e32 v56, v52
	s_wait_alu 0xfffe
	s_xor_b32 exec_lo, exec_lo, s8
	s_cbranch_execz .LBB49_50
; %bb.49:                               ;   in Loop: Header=BB49_2 Depth=1
	ds_load_u8 v56, v54 offset:1
	s_wait_dscnt 0x1
	v_mov_b32_e32 v55, v51
.LBB49_50:                              ;   in Loop: Header=BB49_2 Depth=1
	s_or_b32 exec_lo, exec_lo, s8
	v_add_nc_u32_e32 v57, 1, v53
	v_add_nc_u32_e32 v58, 1, v54
	s_wait_dscnt 0x0
	v_bfe_i32 v59, v55, 0, 8
	v_bfe_i32 v60, v56, 0, 8
	v_cndmask_b32_e64 v57, v57, v53, s7
	v_cndmask_b32_e64 v58, v54, v58, s7
	s_delay_alu instid0(VALU_DEP_3) | instskip(NEXT) | instid1(VALU_DEP_3)
	v_cmp_lt_i16_e64 s9, v60, v59
                                        ; implicit-def: $vgpr59
	v_cmp_ge_i32_e64 s8, v57, v16
	s_delay_alu instid0(VALU_DEP_3)
	v_cmp_lt_i32_e64 s10, v58, v17
	s_or_b32 s8, s8, s9
	s_wait_alu 0xfffe
	s_and_b32 s8, s10, s8
	s_wait_alu 0xfffe
	s_xor_b32 s9, s8, -1
	s_wait_alu 0xfffe
	s_and_saveexec_b32 s10, s9
	s_wait_alu 0xfffe
	s_xor_b32 s9, exec_lo, s10
; %bb.51:                               ;   in Loop: Header=BB49_2 Depth=1
	ds_load_u8 v59, v57 offset:1
; %bb.52:                               ;   in Loop: Header=BB49_2 Depth=1
	s_wait_alu 0xfffe
	s_or_saveexec_b32 s9, s9
	v_mov_b32_e32 v60, v56
	s_wait_alu 0xfffe
	s_xor_b32 exec_lo, exec_lo, s9
	s_cbranch_execz .LBB49_54
; %bb.53:                               ;   in Loop: Header=BB49_2 Depth=1
	ds_load_u8 v60, v58 offset:1
	s_wait_dscnt 0x1
	v_mov_b32_e32 v59, v55
.LBB49_54:                              ;   in Loop: Header=BB49_2 Depth=1
	s_or_b32 exec_lo, exec_lo, s9
	v_add_nc_u32_e32 v61, 1, v57
	v_add_nc_u32_e32 v62, 1, v58
	s_wait_dscnt 0x0
	v_bfe_i32 v63, v59, 0, 8
	v_bfe_i32 v64, v60, 0, 8
	v_cndmask_b32_e64 v61, v61, v57, s8
	v_cndmask_b32_e64 v62, v58, v62, s8
	s_delay_alu instid0(VALU_DEP_3) | instskip(NEXT) | instid1(VALU_DEP_3)
	v_cmp_lt_i16_e64 s10, v64, v63
                                        ; implicit-def: $vgpr63
	v_cmp_ge_i32_e64 s9, v61, v16
	s_delay_alu instid0(VALU_DEP_3)
	v_cmp_lt_i32_e64 s11, v62, v17
	s_or_b32 s9, s9, s10
	s_wait_alu 0xfffe
	s_and_b32 s9, s11, s9
	s_wait_alu 0xfffe
	s_xor_b32 s10, s9, -1
	s_wait_alu 0xfffe
	s_and_saveexec_b32 s11, s10
	s_wait_alu 0xfffe
	s_xor_b32 s10, exec_lo, s11
; %bb.55:                               ;   in Loop: Header=BB49_2 Depth=1
	ds_load_u8 v63, v61 offset:1
; %bb.56:                               ;   in Loop: Header=BB49_2 Depth=1
	s_wait_alu 0xfffe
	s_or_saveexec_b32 s10, s10
	v_mov_b32_e32 v64, v60
	s_wait_alu 0xfffe
	s_xor_b32 exec_lo, exec_lo, s10
	s_cbranch_execz .LBB49_58
; %bb.57:                               ;   in Loop: Header=BB49_2 Depth=1
	ds_load_u8 v64, v62 offset:1
	s_wait_dscnt 0x1
	v_mov_b32_e32 v63, v59
.LBB49_58:                              ;   in Loop: Header=BB49_2 Depth=1
	s_or_b32 exec_lo, exec_lo, s10
	v_add_nc_u32_e32 v65, 1, v61
	v_add_nc_u32_e32 v66, 1, v62
	s_wait_dscnt 0x0
	v_bfe_i32 v67, v63, 0, 8
	v_bfe_i32 v68, v64, 0, 8
	v_cndmask_b32_e64 v65, v65, v61, s9
	v_cndmask_b32_e64 v66, v62, v66, s9
	s_delay_alu instid0(VALU_DEP_3) | instskip(NEXT) | instid1(VALU_DEP_3)
	v_cmp_lt_i16_e64 s11, v68, v67
                                        ; implicit-def: $vgpr68
	v_cmp_ge_i32_e64 s10, v65, v16
	s_delay_alu instid0(VALU_DEP_3)
	v_cmp_lt_i32_e64 s12, v66, v17
	s_or_b32 s10, s10, s11
	s_wait_alu 0xfffe
	s_and_b32 s10, s12, s10
	s_wait_alu 0xfffe
	s_xor_b32 s11, s10, -1
	s_wait_alu 0xfffe
	s_and_saveexec_b32 s12, s11
	s_wait_alu 0xfffe
	s_xor_b32 s11, exec_lo, s12
; %bb.59:                               ;   in Loop: Header=BB49_2 Depth=1
	ds_load_u8 v68, v65 offset:1
; %bb.60:                               ;   in Loop: Header=BB49_2 Depth=1
	s_wait_alu 0xfffe
	s_or_saveexec_b32 s11, s11
	v_mov_b32_e32 v70, v64
	s_wait_alu 0xfffe
	s_xor_b32 exec_lo, exec_lo, s11
	s_cbranch_execz .LBB49_62
; %bb.61:                               ;   in Loop: Header=BB49_2 Depth=1
	ds_load_u8 v70, v66 offset:1
	s_wait_dscnt 0x1
	v_mov_b32_e32 v68, v63
.LBB49_62:                              ;   in Loop: Header=BB49_2 Depth=1
	s_or_b32 exec_lo, exec_lo, s11
	v_add_nc_u32_e32 v67, 1, v65
	v_add_nc_u32_e32 v69, 1, v66
	s_wait_dscnt 0x0
	v_bfe_i32 v73, v68, 0, 8
	s_delay_alu instid0(VALU_DEP_3) | instskip(SKIP_2) | instid1(VALU_DEP_3)
	v_cndmask_b32_e64 v71, v67, v65, s10
	v_bfe_i32 v67, v70, 0, 8
	v_cndmask_b32_e64 v72, v66, v69, s10
	v_cmp_ge_i32_e64 s11, v71, v16
	s_delay_alu instid0(VALU_DEP_3) | instskip(NEXT) | instid1(VALU_DEP_3)
	v_cmp_lt_i16_e64 s12, v67, v73
	v_cmp_lt_i32_e64 s13, v72, v17
                                        ; implicit-def: $vgpr67
	s_or_b32 s11, s11, s12
	s_wait_alu 0xfffe
	s_and_b32 s11, s13, s11
	s_wait_alu 0xfffe
	s_xor_b32 s12, s11, -1
	s_wait_alu 0xfffe
	s_and_saveexec_b32 s13, s12
	s_wait_alu 0xfffe
	s_xor_b32 s12, exec_lo, s13
; %bb.63:                               ;   in Loop: Header=BB49_2 Depth=1
	ds_load_u8 v67, v71 offset:1
; %bb.64:                               ;   in Loop: Header=BB49_2 Depth=1
	s_wait_alu 0xfffe
	s_or_saveexec_b32 s12, s12
	v_mov_b32_e32 v69, v70
	s_wait_alu 0xfffe
	s_xor_b32 exec_lo, exec_lo, s12
	s_cbranch_execz .LBB49_66
; %bb.65:                               ;   in Loop: Header=BB49_2 Depth=1
	ds_load_u8 v69, v72 offset:1
	s_wait_dscnt 0x1
	v_mov_b32_e32 v67, v68
.LBB49_66:                              ;   in Loop: Header=BB49_2 Depth=1
	s_or_b32 exec_lo, exec_lo, s12
	v_add_nc_u32_e32 v74, 1, v71
	v_add_nc_u32_e32 v73, 1, v72
	v_cndmask_b32_e64 v68, v68, v70, s11
	v_cndmask_b32_e64 v70, v71, v72, s11
	;; [unrolled: 1-line block ×5, first 2 shown]
	s_wait_dscnt 0x0
	v_bfe_i32 v57, v67, 0, 8
	v_bfe_i32 v58, v69, 0, 8
	v_cndmask_b32_e64 v72, v72, v73, s11
	v_cndmask_b32_e64 v51, v51, v52, s7
	;; [unrolled: 1-line block ×3, first 2 shown]
	v_cmp_ge_i32_e64 s7, v71, v16
	v_cmp_lt_i16_e64 s8, v58, v57
	v_cndmask_b32_e64 v45, v45, v46, s5
	v_cndmask_b32_e64 v43, v43, v44, s5
	v_cmp_lt_i32_e64 s5, v72, v17
	v_perm_b32 v40, v40, v41, 0xc0c0004
	v_perm_b32 v39, v42, v39, 0xc0c0004
	;; [unrolled: 1-line block ×4, first 2 shown]
	v_cndmask_b32_e64 v47, v47, v48, s6
	v_cndmask_b32_e64 v48, v49, v50, s6
	s_or_b32 s6, s7, s8
	v_cndmask_b32_e64 v63, v63, v64, s10
	s_wait_alu 0xfffe
	s_and_b32 s5, s5, s6
	v_cndmask_b32_e64 v59, v59, v60, s9
	s_wait_alu 0xfffe
	v_cndmask_b32_e64 v4, v67, v69, s5
	v_lshl_or_b32 v2, v39, 16, v40
	v_lshl_or_b32 v1, v3, 16, v1
	s_wait_loadcnt 0x0
	s_barrier_signal -1
	s_barrier_wait -1
	global_inv scope:SCOPE_SE
	ds_store_b64 v5, v[1:2]
	v_lshlrev_b16 v1, 8, v47
	v_and_b32_e32 v2, 0xff, v45
	v_lshlrev_b16 v3, 8, v55
	v_and_b32_e32 v39, 0xff, v51
	;; [unrolled: 2-line block ×3, first 2 shown]
	v_and_b32_e32 v44, 0xff, v68
	v_lshlrev_b16 v4, 8, v4
	v_cndmask_b32_e64 v41, v71, v72, s5
	v_cndmask_b32_e64 v64, v65, v66, s10
	;; [unrolled: 1-line block ×3, first 2 shown]
	s_wait_loadcnt_dscnt 0x0
	s_barrier_signal -1
	s_barrier_wait -1
	global_inv scope:SCOPE_SE
	v_or_b32_e32 v45, v2, v1
	v_or_b32_e32 v46, v39, v3
	;; [unrolled: 1-line block ×4, first 2 shown]
	ds_load_u8 v1, v43
	ds_load_u8 v39, v41
	;; [unrolled: 1-line block ×8, first 2 shown]
	v_and_b32_e32 v43, 0xffff, v45
	v_lshlrev_b32_e32 v45, 16, v46
	v_and_b32_e32 v46, 0xffff, v47
	v_lshlrev_b32_e32 v44, 16, v44
	s_wait_loadcnt_dscnt 0x0
	s_barrier_signal -1
	v_or_b32_e32 v43, v43, v45
	s_barrier_wait -1
	v_or_b32_e32 v44, v46, v44
	global_inv scope:SCOPE_SE
	ds_store_b64 v5, v[43:44]
	v_mov_b32_e32 v44, v36
	s_wait_loadcnt_dscnt 0x0
	s_barrier_signal -1
	s_barrier_wait -1
	global_inv scope:SCOPE_SE
	s_and_saveexec_b32 s6, s2
	s_cbranch_execz .LBB49_70
; %bb.67:                               ;   in Loop: Header=BB49_2 Depth=1
	v_dual_mov_b32 v44, v36 :: v_dual_mov_b32 v43, v31
	s_mov_b32 s7, 0
.LBB49_68:                              ;   Parent Loop BB49_2 Depth=1
                                        ; =>  This Inner Loop Header: Depth=2
	s_delay_alu instid0(VALU_DEP_1) | instskip(NEXT) | instid1(VALU_DEP_1)
	v_sub_nc_u32_e32 v45, v43, v44
	v_lshrrev_b32_e32 v45, 1, v45
	s_delay_alu instid0(VALU_DEP_1) | instskip(NEXT) | instid1(VALU_DEP_1)
	v_add_nc_u32_e32 v45, v45, v44
	v_add_nc_u32_e32 v46, v8, v45
	v_xad_u32 v47, v45, -1, v26
	v_add_nc_u32_e32 v48, 1, v45
	ds_load_i8 v46, v46
	ds_load_i8 v47, v47
	s_wait_dscnt 0x0
	v_cmp_lt_i16_e64 s5, v47, v46
	s_wait_alu 0xf1ff
	s_delay_alu instid0(VALU_DEP_1) | instskip(SKIP_1) | instid1(VALU_DEP_1)
	v_cndmask_b32_e64 v43, v43, v45, s5
	v_cndmask_b32_e64 v44, v48, v44, s5
	v_cmp_ge_i32_e64 s5, v44, v43
	s_wait_alu 0xfffe
	s_or_b32 s7, s5, s7
	s_wait_alu 0xfffe
	s_and_not1_b32 exec_lo, exec_lo, s7
	s_cbranch_execnz .LBB49_68
; %bb.69:                               ;   in Loop: Header=BB49_2 Depth=1
	s_or_b32 exec_lo, exec_lo, s7
.LBB49_70:                              ;   in Loop: Header=BB49_2 Depth=1
	s_wait_alu 0xfffe
	s_or_b32 exec_lo, exec_lo, s6
	v_add_nc_u32_e32 v43, v44, v8
	v_sub_nc_u32_e32 v44, v26, v44
                                        ; implicit-def: $vgpr47
	ds_load_u8 v45, v43
	ds_load_u8 v46, v44
	v_cmp_le_i32_e64 s5, v18, v43
	v_cmp_gt_i32_e64 s7, v19, v44
	s_wait_dscnt 0x1
	v_bfe_i32 v45, v45, 0, 8
	s_wait_dscnt 0x0
	v_bfe_i32 v46, v46, 0, 8
	s_delay_alu instid0(VALU_DEP_1)
	v_cmp_lt_i16_e64 s6, v46, v45
	s_or_b32 s5, s5, s6
	s_wait_alu 0xfffe
	s_and_b32 s5, s7, s5
	s_wait_alu 0xfffe
	s_xor_b32 s6, s5, -1
	s_wait_alu 0xfffe
	s_and_saveexec_b32 s7, s6
	s_wait_alu 0xfffe
	s_xor_b32 s6, exec_lo, s7
; %bb.71:                               ;   in Loop: Header=BB49_2 Depth=1
	ds_load_u8 v47, v43 offset:1
; %bb.72:                               ;   in Loop: Header=BB49_2 Depth=1
	s_wait_alu 0xfffe
	s_or_saveexec_b32 s6, s6
	v_mov_b32_e32 v48, v46
	s_wait_alu 0xfffe
	s_xor_b32 exec_lo, exec_lo, s6
	s_cbranch_execz .LBB49_74
; %bb.73:                               ;   in Loop: Header=BB49_2 Depth=1
	ds_load_u8 v48, v44 offset:1
	s_wait_dscnt 0x1
	v_mov_b32_e32 v47, v45
.LBB49_74:                              ;   in Loop: Header=BB49_2 Depth=1
	s_or_b32 exec_lo, exec_lo, s6
	v_add_nc_u32_e32 v49, 1, v43
	v_add_nc_u32_e32 v50, 1, v44
	s_wait_dscnt 0x0
	v_bfe_i32 v51, v47, 0, 8
	v_bfe_i32 v52, v48, 0, 8
	v_cndmask_b32_e64 v49, v49, v43, s5
	v_cndmask_b32_e64 v50, v44, v50, s5
	s_delay_alu instid0(VALU_DEP_3) | instskip(NEXT) | instid1(VALU_DEP_3)
	v_cmp_lt_i16_e64 s7, v52, v51
                                        ; implicit-def: $vgpr51
	v_cmp_ge_i32_e64 s6, v49, v18
	s_delay_alu instid0(VALU_DEP_3)
	v_cmp_lt_i32_e64 s8, v50, v19
	s_or_b32 s6, s6, s7
	s_wait_alu 0xfffe
	s_and_b32 s6, s8, s6
	s_wait_alu 0xfffe
	s_xor_b32 s7, s6, -1
	s_wait_alu 0xfffe
	s_and_saveexec_b32 s8, s7
	s_wait_alu 0xfffe
	s_xor_b32 s7, exec_lo, s8
; %bb.75:                               ;   in Loop: Header=BB49_2 Depth=1
	ds_load_u8 v51, v49 offset:1
; %bb.76:                               ;   in Loop: Header=BB49_2 Depth=1
	s_wait_alu 0xfffe
	s_or_saveexec_b32 s7, s7
	v_mov_b32_e32 v52, v48
	s_wait_alu 0xfffe
	s_xor_b32 exec_lo, exec_lo, s7
	s_cbranch_execz .LBB49_78
; %bb.77:                               ;   in Loop: Header=BB49_2 Depth=1
	ds_load_u8 v52, v50 offset:1
	s_wait_dscnt 0x1
	v_mov_b32_e32 v51, v47
.LBB49_78:                              ;   in Loop: Header=BB49_2 Depth=1
	s_or_b32 exec_lo, exec_lo, s7
	v_add_nc_u32_e32 v53, 1, v49
	v_add_nc_u32_e32 v54, 1, v50
	s_wait_dscnt 0x0
	v_bfe_i32 v55, v51, 0, 8
	v_bfe_i32 v56, v52, 0, 8
	v_cndmask_b32_e64 v53, v53, v49, s6
	v_cndmask_b32_e64 v54, v50, v54, s6
	s_delay_alu instid0(VALU_DEP_3) | instskip(NEXT) | instid1(VALU_DEP_3)
	v_cmp_lt_i16_e64 s8, v56, v55
                                        ; implicit-def: $vgpr55
	v_cmp_ge_i32_e64 s7, v53, v18
	s_delay_alu instid0(VALU_DEP_3)
	v_cmp_lt_i32_e64 s9, v54, v19
	s_or_b32 s7, s7, s8
	s_wait_alu 0xfffe
	s_and_b32 s7, s9, s7
	s_wait_alu 0xfffe
	s_xor_b32 s8, s7, -1
	s_wait_alu 0xfffe
	s_and_saveexec_b32 s9, s8
	s_wait_alu 0xfffe
	s_xor_b32 s8, exec_lo, s9
; %bb.79:                               ;   in Loop: Header=BB49_2 Depth=1
	ds_load_u8 v55, v53 offset:1
; %bb.80:                               ;   in Loop: Header=BB49_2 Depth=1
	s_wait_alu 0xfffe
	s_or_saveexec_b32 s8, s8
	v_mov_b32_e32 v56, v52
	s_wait_alu 0xfffe
	s_xor_b32 exec_lo, exec_lo, s8
	s_cbranch_execz .LBB49_82
; %bb.81:                               ;   in Loop: Header=BB49_2 Depth=1
	ds_load_u8 v56, v54 offset:1
	s_wait_dscnt 0x1
	v_mov_b32_e32 v55, v51
.LBB49_82:                              ;   in Loop: Header=BB49_2 Depth=1
	s_or_b32 exec_lo, exec_lo, s8
	v_add_nc_u32_e32 v57, 1, v53
	v_add_nc_u32_e32 v58, 1, v54
	s_wait_dscnt 0x0
	v_bfe_i32 v59, v55, 0, 8
	v_bfe_i32 v60, v56, 0, 8
	v_cndmask_b32_e64 v57, v57, v53, s7
	v_cndmask_b32_e64 v58, v54, v58, s7
	s_delay_alu instid0(VALU_DEP_3) | instskip(NEXT) | instid1(VALU_DEP_3)
	v_cmp_lt_i16_e64 s9, v60, v59
                                        ; implicit-def: $vgpr59
	v_cmp_ge_i32_e64 s8, v57, v18
	s_delay_alu instid0(VALU_DEP_3)
	v_cmp_lt_i32_e64 s10, v58, v19
	s_or_b32 s8, s8, s9
	s_wait_alu 0xfffe
	s_and_b32 s8, s10, s8
	s_wait_alu 0xfffe
	s_xor_b32 s9, s8, -1
	s_wait_alu 0xfffe
	s_and_saveexec_b32 s10, s9
	s_wait_alu 0xfffe
	s_xor_b32 s9, exec_lo, s10
; %bb.83:                               ;   in Loop: Header=BB49_2 Depth=1
	ds_load_u8 v59, v57 offset:1
; %bb.84:                               ;   in Loop: Header=BB49_2 Depth=1
	s_wait_alu 0xfffe
	s_or_saveexec_b32 s9, s9
	v_mov_b32_e32 v60, v56
	s_wait_alu 0xfffe
	s_xor_b32 exec_lo, exec_lo, s9
	s_cbranch_execz .LBB49_86
; %bb.85:                               ;   in Loop: Header=BB49_2 Depth=1
	ds_load_u8 v60, v58 offset:1
	s_wait_dscnt 0x1
	v_mov_b32_e32 v59, v55
.LBB49_86:                              ;   in Loop: Header=BB49_2 Depth=1
	s_or_b32 exec_lo, exec_lo, s9
	v_add_nc_u32_e32 v61, 1, v57
	v_add_nc_u32_e32 v62, 1, v58
	s_wait_dscnt 0x0
	v_bfe_i32 v63, v59, 0, 8
	v_bfe_i32 v64, v60, 0, 8
	v_cndmask_b32_e64 v61, v61, v57, s8
	v_cndmask_b32_e64 v62, v58, v62, s8
	s_delay_alu instid0(VALU_DEP_3) | instskip(NEXT) | instid1(VALU_DEP_3)
	v_cmp_lt_i16_e64 s10, v64, v63
                                        ; implicit-def: $vgpr63
	v_cmp_ge_i32_e64 s9, v61, v18
	s_delay_alu instid0(VALU_DEP_3)
	v_cmp_lt_i32_e64 s11, v62, v19
	s_or_b32 s9, s9, s10
	s_wait_alu 0xfffe
	s_and_b32 s9, s11, s9
	s_wait_alu 0xfffe
	s_xor_b32 s10, s9, -1
	s_wait_alu 0xfffe
	s_and_saveexec_b32 s11, s10
	s_wait_alu 0xfffe
	s_xor_b32 s10, exec_lo, s11
; %bb.87:                               ;   in Loop: Header=BB49_2 Depth=1
	ds_load_u8 v63, v61 offset:1
; %bb.88:                               ;   in Loop: Header=BB49_2 Depth=1
	s_wait_alu 0xfffe
	s_or_saveexec_b32 s10, s10
	v_mov_b32_e32 v64, v60
	s_wait_alu 0xfffe
	s_xor_b32 exec_lo, exec_lo, s10
	s_cbranch_execz .LBB49_90
; %bb.89:                               ;   in Loop: Header=BB49_2 Depth=1
	ds_load_u8 v64, v62 offset:1
	s_wait_dscnt 0x1
	v_mov_b32_e32 v63, v59
.LBB49_90:                              ;   in Loop: Header=BB49_2 Depth=1
	s_or_b32 exec_lo, exec_lo, s10
	v_add_nc_u32_e32 v65, 1, v61
	v_add_nc_u32_e32 v66, 1, v62
	s_wait_dscnt 0x0
	v_bfe_i32 v67, v63, 0, 8
	v_bfe_i32 v68, v64, 0, 8
	v_cndmask_b32_e64 v65, v65, v61, s9
	v_cndmask_b32_e64 v66, v62, v66, s9
	s_delay_alu instid0(VALU_DEP_3) | instskip(NEXT) | instid1(VALU_DEP_3)
	v_cmp_lt_i16_e64 s11, v68, v67
                                        ; implicit-def: $vgpr68
	v_cmp_ge_i32_e64 s10, v65, v18
	s_delay_alu instid0(VALU_DEP_3)
	v_cmp_lt_i32_e64 s12, v66, v19
	s_or_b32 s10, s10, s11
	s_wait_alu 0xfffe
	s_and_b32 s10, s12, s10
	s_wait_alu 0xfffe
	s_xor_b32 s11, s10, -1
	s_wait_alu 0xfffe
	s_and_saveexec_b32 s12, s11
	s_wait_alu 0xfffe
	s_xor_b32 s11, exec_lo, s12
; %bb.91:                               ;   in Loop: Header=BB49_2 Depth=1
	ds_load_u8 v68, v65 offset:1
; %bb.92:                               ;   in Loop: Header=BB49_2 Depth=1
	s_wait_alu 0xfffe
	s_or_saveexec_b32 s11, s11
	v_mov_b32_e32 v70, v64
	s_wait_alu 0xfffe
	s_xor_b32 exec_lo, exec_lo, s11
	s_cbranch_execz .LBB49_94
; %bb.93:                               ;   in Loop: Header=BB49_2 Depth=1
	ds_load_u8 v70, v66 offset:1
	s_wait_dscnt 0x1
	v_mov_b32_e32 v68, v63
.LBB49_94:                              ;   in Loop: Header=BB49_2 Depth=1
	s_or_b32 exec_lo, exec_lo, s11
	v_add_nc_u32_e32 v67, 1, v65
	v_add_nc_u32_e32 v69, 1, v66
	s_wait_dscnt 0x0
	v_bfe_i32 v73, v68, 0, 8
	s_delay_alu instid0(VALU_DEP_3) | instskip(SKIP_2) | instid1(VALU_DEP_3)
	v_cndmask_b32_e64 v71, v67, v65, s10
	v_bfe_i32 v67, v70, 0, 8
	v_cndmask_b32_e64 v72, v66, v69, s10
	v_cmp_ge_i32_e64 s11, v71, v18
	s_delay_alu instid0(VALU_DEP_3) | instskip(NEXT) | instid1(VALU_DEP_3)
	v_cmp_lt_i16_e64 s12, v67, v73
	v_cmp_lt_i32_e64 s13, v72, v19
                                        ; implicit-def: $vgpr67
	s_or_b32 s11, s11, s12
	s_wait_alu 0xfffe
	s_and_b32 s11, s13, s11
	s_wait_alu 0xfffe
	s_xor_b32 s12, s11, -1
	s_wait_alu 0xfffe
	s_and_saveexec_b32 s13, s12
	s_wait_alu 0xfffe
	s_xor_b32 s12, exec_lo, s13
; %bb.95:                               ;   in Loop: Header=BB49_2 Depth=1
	ds_load_u8 v67, v71 offset:1
; %bb.96:                               ;   in Loop: Header=BB49_2 Depth=1
	s_wait_alu 0xfffe
	s_or_saveexec_b32 s12, s12
	v_mov_b32_e32 v69, v70
	s_wait_alu 0xfffe
	s_xor_b32 exec_lo, exec_lo, s12
	s_cbranch_execz .LBB49_98
; %bb.97:                               ;   in Loop: Header=BB49_2 Depth=1
	ds_load_u8 v69, v72 offset:1
	s_wait_dscnt 0x1
	v_mov_b32_e32 v67, v68
.LBB49_98:                              ;   in Loop: Header=BB49_2 Depth=1
	s_or_b32 exec_lo, exec_lo, s12
	v_add_nc_u32_e32 v74, 1, v71
	v_add_nc_u32_e32 v73, 1, v72
	v_cndmask_b32_e64 v68, v68, v70, s11
	v_cndmask_b32_e64 v70, v71, v72, s11
	;; [unrolled: 1-line block ×5, first 2 shown]
	s_wait_dscnt 0x0
	v_bfe_i32 v57, v67, 0, 8
	v_bfe_i32 v58, v69, 0, 8
	v_cndmask_b32_e64 v72, v72, v73, s11
	v_cndmask_b32_e64 v51, v51, v52, s7
	;; [unrolled: 1-line block ×3, first 2 shown]
	v_cmp_ge_i32_e64 s7, v71, v18
	v_cmp_lt_i16_e64 s8, v58, v57
	v_cndmask_b32_e64 v45, v45, v46, s5
	v_cndmask_b32_e64 v43, v43, v44, s5
	v_cmp_lt_i32_e64 s5, v72, v19
	v_perm_b32 v40, v40, v41, 0xc0c0004
	v_perm_b32 v39, v42, v39, 0xc0c0004
	;; [unrolled: 1-line block ×4, first 2 shown]
	v_cndmask_b32_e64 v47, v47, v48, s6
	v_cndmask_b32_e64 v48, v49, v50, s6
	s_or_b32 s6, s7, s8
	v_cndmask_b32_e64 v63, v63, v64, s10
	s_wait_alu 0xfffe
	s_and_b32 s5, s5, s6
	v_cndmask_b32_e64 v59, v59, v60, s9
	s_wait_alu 0xfffe
	v_cndmask_b32_e64 v4, v67, v69, s5
	v_lshl_or_b32 v2, v39, 16, v40
	v_lshl_or_b32 v1, v3, 16, v1
	s_wait_loadcnt 0x0
	s_barrier_signal -1
	s_barrier_wait -1
	global_inv scope:SCOPE_SE
	ds_store_b64 v5, v[1:2]
	v_lshlrev_b16 v1, 8, v47
	v_and_b32_e32 v2, 0xff, v45
	v_lshlrev_b16 v3, 8, v55
	v_and_b32_e32 v39, 0xff, v51
	;; [unrolled: 2-line block ×3, first 2 shown]
	v_and_b32_e32 v44, 0xff, v68
	v_lshlrev_b16 v4, 8, v4
	v_cndmask_b32_e64 v41, v71, v72, s5
	v_cndmask_b32_e64 v64, v65, v66, s10
	;; [unrolled: 1-line block ×3, first 2 shown]
	s_wait_loadcnt_dscnt 0x0
	s_barrier_signal -1
	s_barrier_wait -1
	global_inv scope:SCOPE_SE
	v_or_b32_e32 v45, v2, v1
	v_or_b32_e32 v46, v39, v3
	;; [unrolled: 1-line block ×4, first 2 shown]
	ds_load_u8 v1, v43
	ds_load_u8 v39, v41
	;; [unrolled: 1-line block ×8, first 2 shown]
	v_and_b32_e32 v43, 0xffff, v45
	v_lshlrev_b32_e32 v45, 16, v46
	v_and_b32_e32 v46, 0xffff, v47
	v_lshlrev_b32_e32 v44, 16, v44
	s_wait_loadcnt_dscnt 0x0
	s_barrier_signal -1
	v_or_b32_e32 v43, v43, v45
	s_barrier_wait -1
	v_or_b32_e32 v44, v46, v44
	global_inv scope:SCOPE_SE
	ds_store_b64 v5, v[43:44]
	v_mov_b32_e32 v44, v37
	s_wait_loadcnt_dscnt 0x0
	s_barrier_signal -1
	s_barrier_wait -1
	global_inv scope:SCOPE_SE
	s_and_saveexec_b32 s6, s3
	s_cbranch_execz .LBB49_102
; %bb.99:                               ;   in Loop: Header=BB49_2 Depth=1
	v_dual_mov_b32 v44, v37 :: v_dual_mov_b32 v43, v32
	s_mov_b32 s7, 0
.LBB49_100:                             ;   Parent Loop BB49_2 Depth=1
                                        ; =>  This Inner Loop Header: Depth=2
	s_delay_alu instid0(VALU_DEP_1) | instskip(NEXT) | instid1(VALU_DEP_1)
	v_sub_nc_u32_e32 v45, v43, v44
	v_lshrrev_b32_e32 v45, 1, v45
	s_delay_alu instid0(VALU_DEP_1) | instskip(NEXT) | instid1(VALU_DEP_1)
	v_add_nc_u32_e32 v45, v45, v44
	v_add_nc_u32_e32 v46, v9, v45
	v_xad_u32 v47, v45, -1, v27
	v_add_nc_u32_e32 v48, 1, v45
	ds_load_i8 v46, v46
	ds_load_i8 v47, v47
	s_wait_dscnt 0x0
	v_cmp_lt_i16_e64 s5, v47, v46
	s_wait_alu 0xf1ff
	s_delay_alu instid0(VALU_DEP_1) | instskip(SKIP_1) | instid1(VALU_DEP_1)
	v_cndmask_b32_e64 v43, v43, v45, s5
	v_cndmask_b32_e64 v44, v48, v44, s5
	v_cmp_ge_i32_e64 s5, v44, v43
	s_wait_alu 0xfffe
	s_or_b32 s7, s5, s7
	s_wait_alu 0xfffe
	s_and_not1_b32 exec_lo, exec_lo, s7
	s_cbranch_execnz .LBB49_100
; %bb.101:                              ;   in Loop: Header=BB49_2 Depth=1
	s_or_b32 exec_lo, exec_lo, s7
.LBB49_102:                             ;   in Loop: Header=BB49_2 Depth=1
	s_wait_alu 0xfffe
	s_or_b32 exec_lo, exec_lo, s6
	v_add_nc_u32_e32 v43, v44, v9
	v_sub_nc_u32_e32 v44, v27, v44
                                        ; implicit-def: $vgpr47
	ds_load_u8 v45, v43
	ds_load_u8 v46, v44
	v_cmp_le_i32_e64 s5, v20, v43
	v_cmp_gt_i32_e64 s7, v21, v44
	s_wait_dscnt 0x1
	v_bfe_i32 v45, v45, 0, 8
	s_wait_dscnt 0x0
	v_bfe_i32 v46, v46, 0, 8
	s_delay_alu instid0(VALU_DEP_1)
	v_cmp_lt_i16_e64 s6, v46, v45
	s_or_b32 s5, s5, s6
	s_wait_alu 0xfffe
	s_and_b32 s5, s7, s5
	s_wait_alu 0xfffe
	s_xor_b32 s6, s5, -1
	s_wait_alu 0xfffe
	s_and_saveexec_b32 s7, s6
	s_wait_alu 0xfffe
	s_xor_b32 s6, exec_lo, s7
; %bb.103:                              ;   in Loop: Header=BB49_2 Depth=1
	ds_load_u8 v47, v43 offset:1
; %bb.104:                              ;   in Loop: Header=BB49_2 Depth=1
	s_wait_alu 0xfffe
	s_or_saveexec_b32 s6, s6
	v_mov_b32_e32 v48, v46
	s_wait_alu 0xfffe
	s_xor_b32 exec_lo, exec_lo, s6
	s_cbranch_execz .LBB49_106
; %bb.105:                              ;   in Loop: Header=BB49_2 Depth=1
	ds_load_u8 v48, v44 offset:1
	s_wait_dscnt 0x1
	v_mov_b32_e32 v47, v45
.LBB49_106:                             ;   in Loop: Header=BB49_2 Depth=1
	s_or_b32 exec_lo, exec_lo, s6
	v_add_nc_u32_e32 v49, 1, v43
	v_add_nc_u32_e32 v50, 1, v44
	s_wait_dscnt 0x0
	v_bfe_i32 v51, v47, 0, 8
	v_bfe_i32 v52, v48, 0, 8
	v_cndmask_b32_e64 v49, v49, v43, s5
	v_cndmask_b32_e64 v50, v44, v50, s5
	s_delay_alu instid0(VALU_DEP_3) | instskip(NEXT) | instid1(VALU_DEP_3)
	v_cmp_lt_i16_e64 s7, v52, v51
                                        ; implicit-def: $vgpr51
	v_cmp_ge_i32_e64 s6, v49, v20
	s_delay_alu instid0(VALU_DEP_3)
	v_cmp_lt_i32_e64 s8, v50, v21
	s_or_b32 s6, s6, s7
	s_wait_alu 0xfffe
	s_and_b32 s6, s8, s6
	s_wait_alu 0xfffe
	s_xor_b32 s7, s6, -1
	s_wait_alu 0xfffe
	s_and_saveexec_b32 s8, s7
	s_wait_alu 0xfffe
	s_xor_b32 s7, exec_lo, s8
; %bb.107:                              ;   in Loop: Header=BB49_2 Depth=1
	ds_load_u8 v51, v49 offset:1
; %bb.108:                              ;   in Loop: Header=BB49_2 Depth=1
	s_wait_alu 0xfffe
	s_or_saveexec_b32 s7, s7
	v_mov_b32_e32 v52, v48
	s_wait_alu 0xfffe
	s_xor_b32 exec_lo, exec_lo, s7
	s_cbranch_execz .LBB49_110
; %bb.109:                              ;   in Loop: Header=BB49_2 Depth=1
	ds_load_u8 v52, v50 offset:1
	s_wait_dscnt 0x1
	v_mov_b32_e32 v51, v47
.LBB49_110:                             ;   in Loop: Header=BB49_2 Depth=1
	s_or_b32 exec_lo, exec_lo, s7
	v_add_nc_u32_e32 v53, 1, v49
	v_add_nc_u32_e32 v54, 1, v50
	s_wait_dscnt 0x0
	v_bfe_i32 v55, v51, 0, 8
	v_bfe_i32 v56, v52, 0, 8
	v_cndmask_b32_e64 v53, v53, v49, s6
	v_cndmask_b32_e64 v54, v50, v54, s6
	s_delay_alu instid0(VALU_DEP_3) | instskip(NEXT) | instid1(VALU_DEP_3)
	v_cmp_lt_i16_e64 s8, v56, v55
                                        ; implicit-def: $vgpr55
	v_cmp_ge_i32_e64 s7, v53, v20
	s_delay_alu instid0(VALU_DEP_3)
	v_cmp_lt_i32_e64 s9, v54, v21
	s_or_b32 s7, s7, s8
	s_wait_alu 0xfffe
	s_and_b32 s7, s9, s7
	s_wait_alu 0xfffe
	s_xor_b32 s8, s7, -1
	s_wait_alu 0xfffe
	s_and_saveexec_b32 s9, s8
	s_wait_alu 0xfffe
	s_xor_b32 s8, exec_lo, s9
; %bb.111:                              ;   in Loop: Header=BB49_2 Depth=1
	ds_load_u8 v55, v53 offset:1
; %bb.112:                              ;   in Loop: Header=BB49_2 Depth=1
	s_wait_alu 0xfffe
	s_or_saveexec_b32 s8, s8
	v_mov_b32_e32 v56, v52
	s_wait_alu 0xfffe
	s_xor_b32 exec_lo, exec_lo, s8
	s_cbranch_execz .LBB49_114
; %bb.113:                              ;   in Loop: Header=BB49_2 Depth=1
	ds_load_u8 v56, v54 offset:1
	s_wait_dscnt 0x1
	v_mov_b32_e32 v55, v51
.LBB49_114:                             ;   in Loop: Header=BB49_2 Depth=1
	s_or_b32 exec_lo, exec_lo, s8
	v_add_nc_u32_e32 v57, 1, v53
	v_add_nc_u32_e32 v58, 1, v54
	s_wait_dscnt 0x0
	v_bfe_i32 v59, v55, 0, 8
	v_bfe_i32 v60, v56, 0, 8
	v_cndmask_b32_e64 v57, v57, v53, s7
	v_cndmask_b32_e64 v58, v54, v58, s7
	s_delay_alu instid0(VALU_DEP_3) | instskip(NEXT) | instid1(VALU_DEP_3)
	v_cmp_lt_i16_e64 s9, v60, v59
                                        ; implicit-def: $vgpr59
	v_cmp_ge_i32_e64 s8, v57, v20
	s_delay_alu instid0(VALU_DEP_3)
	v_cmp_lt_i32_e64 s10, v58, v21
	s_or_b32 s8, s8, s9
	s_wait_alu 0xfffe
	s_and_b32 s8, s10, s8
	s_wait_alu 0xfffe
	s_xor_b32 s9, s8, -1
	s_wait_alu 0xfffe
	s_and_saveexec_b32 s10, s9
	s_wait_alu 0xfffe
	s_xor_b32 s9, exec_lo, s10
; %bb.115:                              ;   in Loop: Header=BB49_2 Depth=1
	ds_load_u8 v59, v57 offset:1
; %bb.116:                              ;   in Loop: Header=BB49_2 Depth=1
	s_wait_alu 0xfffe
	s_or_saveexec_b32 s9, s9
	v_mov_b32_e32 v60, v56
	s_wait_alu 0xfffe
	s_xor_b32 exec_lo, exec_lo, s9
	s_cbranch_execz .LBB49_118
; %bb.117:                              ;   in Loop: Header=BB49_2 Depth=1
	ds_load_u8 v60, v58 offset:1
	s_wait_dscnt 0x1
	v_mov_b32_e32 v59, v55
.LBB49_118:                             ;   in Loop: Header=BB49_2 Depth=1
	s_or_b32 exec_lo, exec_lo, s9
	v_add_nc_u32_e32 v61, 1, v57
	v_add_nc_u32_e32 v62, 1, v58
	s_wait_dscnt 0x0
	v_bfe_i32 v63, v59, 0, 8
	v_bfe_i32 v64, v60, 0, 8
	v_cndmask_b32_e64 v61, v61, v57, s8
	v_cndmask_b32_e64 v62, v58, v62, s8
	s_delay_alu instid0(VALU_DEP_3) | instskip(NEXT) | instid1(VALU_DEP_3)
	v_cmp_lt_i16_e64 s10, v64, v63
                                        ; implicit-def: $vgpr63
	v_cmp_ge_i32_e64 s9, v61, v20
	s_delay_alu instid0(VALU_DEP_3)
	v_cmp_lt_i32_e64 s11, v62, v21
	s_or_b32 s9, s9, s10
	s_wait_alu 0xfffe
	s_and_b32 s9, s11, s9
	s_wait_alu 0xfffe
	s_xor_b32 s10, s9, -1
	s_wait_alu 0xfffe
	s_and_saveexec_b32 s11, s10
	s_wait_alu 0xfffe
	s_xor_b32 s10, exec_lo, s11
; %bb.119:                              ;   in Loop: Header=BB49_2 Depth=1
	ds_load_u8 v63, v61 offset:1
; %bb.120:                              ;   in Loop: Header=BB49_2 Depth=1
	s_wait_alu 0xfffe
	s_or_saveexec_b32 s10, s10
	v_mov_b32_e32 v64, v60
	s_wait_alu 0xfffe
	s_xor_b32 exec_lo, exec_lo, s10
	s_cbranch_execz .LBB49_122
; %bb.121:                              ;   in Loop: Header=BB49_2 Depth=1
	ds_load_u8 v64, v62 offset:1
	s_wait_dscnt 0x1
	v_mov_b32_e32 v63, v59
.LBB49_122:                             ;   in Loop: Header=BB49_2 Depth=1
	s_or_b32 exec_lo, exec_lo, s10
	v_add_nc_u32_e32 v65, 1, v61
	v_add_nc_u32_e32 v66, 1, v62
	s_wait_dscnt 0x0
	v_bfe_i32 v67, v63, 0, 8
	v_bfe_i32 v68, v64, 0, 8
	v_cndmask_b32_e64 v65, v65, v61, s9
	v_cndmask_b32_e64 v66, v62, v66, s9
	s_delay_alu instid0(VALU_DEP_3) | instskip(NEXT) | instid1(VALU_DEP_3)
	v_cmp_lt_i16_e64 s11, v68, v67
                                        ; implicit-def: $vgpr68
	v_cmp_ge_i32_e64 s10, v65, v20
	s_delay_alu instid0(VALU_DEP_3)
	v_cmp_lt_i32_e64 s12, v66, v21
	s_or_b32 s10, s10, s11
	s_wait_alu 0xfffe
	s_and_b32 s10, s12, s10
	s_wait_alu 0xfffe
	s_xor_b32 s11, s10, -1
	s_wait_alu 0xfffe
	s_and_saveexec_b32 s12, s11
	s_wait_alu 0xfffe
	s_xor_b32 s11, exec_lo, s12
; %bb.123:                              ;   in Loop: Header=BB49_2 Depth=1
	ds_load_u8 v68, v65 offset:1
; %bb.124:                              ;   in Loop: Header=BB49_2 Depth=1
	s_wait_alu 0xfffe
	s_or_saveexec_b32 s11, s11
	v_mov_b32_e32 v70, v64
	s_wait_alu 0xfffe
	s_xor_b32 exec_lo, exec_lo, s11
	s_cbranch_execz .LBB49_126
; %bb.125:                              ;   in Loop: Header=BB49_2 Depth=1
	ds_load_u8 v70, v66 offset:1
	s_wait_dscnt 0x1
	v_mov_b32_e32 v68, v63
.LBB49_126:                             ;   in Loop: Header=BB49_2 Depth=1
	s_or_b32 exec_lo, exec_lo, s11
	v_add_nc_u32_e32 v67, 1, v65
	v_add_nc_u32_e32 v69, 1, v66
	s_wait_dscnt 0x0
	v_bfe_i32 v73, v68, 0, 8
	s_delay_alu instid0(VALU_DEP_3) | instskip(SKIP_2) | instid1(VALU_DEP_3)
	v_cndmask_b32_e64 v71, v67, v65, s10
	v_bfe_i32 v67, v70, 0, 8
	v_cndmask_b32_e64 v72, v66, v69, s10
	v_cmp_ge_i32_e64 s11, v71, v20
	s_delay_alu instid0(VALU_DEP_3) | instskip(NEXT) | instid1(VALU_DEP_3)
	v_cmp_lt_i16_e64 s12, v67, v73
	v_cmp_lt_i32_e64 s13, v72, v21
                                        ; implicit-def: $vgpr67
	s_or_b32 s11, s11, s12
	s_wait_alu 0xfffe
	s_and_b32 s11, s13, s11
	s_wait_alu 0xfffe
	s_xor_b32 s12, s11, -1
	s_wait_alu 0xfffe
	s_and_saveexec_b32 s13, s12
	s_wait_alu 0xfffe
	s_xor_b32 s12, exec_lo, s13
; %bb.127:                              ;   in Loop: Header=BB49_2 Depth=1
	ds_load_u8 v67, v71 offset:1
; %bb.128:                              ;   in Loop: Header=BB49_2 Depth=1
	s_wait_alu 0xfffe
	s_or_saveexec_b32 s12, s12
	v_mov_b32_e32 v69, v70
	s_wait_alu 0xfffe
	s_xor_b32 exec_lo, exec_lo, s12
	s_cbranch_execz .LBB49_130
; %bb.129:                              ;   in Loop: Header=BB49_2 Depth=1
	ds_load_u8 v69, v72 offset:1
	s_wait_dscnt 0x1
	v_mov_b32_e32 v67, v68
.LBB49_130:                             ;   in Loop: Header=BB49_2 Depth=1
	s_or_b32 exec_lo, exec_lo, s12
	v_add_nc_u32_e32 v74, 1, v71
	v_add_nc_u32_e32 v73, 1, v72
	v_cndmask_b32_e64 v68, v68, v70, s11
	v_cndmask_b32_e64 v70, v71, v72, s11
	;; [unrolled: 1-line block ×5, first 2 shown]
	s_wait_dscnt 0x0
	v_bfe_i32 v57, v67, 0, 8
	v_bfe_i32 v58, v69, 0, 8
	v_cndmask_b32_e64 v72, v72, v73, s11
	v_cndmask_b32_e64 v51, v51, v52, s7
	;; [unrolled: 1-line block ×3, first 2 shown]
	v_cmp_ge_i32_e64 s7, v71, v20
	v_cmp_lt_i16_e64 s8, v58, v57
	v_cndmask_b32_e64 v45, v45, v46, s5
	v_cndmask_b32_e64 v43, v43, v44, s5
	v_cmp_lt_i32_e64 s5, v72, v21
	v_perm_b32 v40, v40, v41, 0xc0c0004
	v_perm_b32 v39, v42, v39, 0xc0c0004
	;; [unrolled: 1-line block ×4, first 2 shown]
	v_cndmask_b32_e64 v47, v47, v48, s6
	v_cndmask_b32_e64 v48, v49, v50, s6
	s_or_b32 s6, s7, s8
	v_cndmask_b32_e64 v63, v63, v64, s10
	s_wait_alu 0xfffe
	s_and_b32 s5, s5, s6
	v_cndmask_b32_e64 v59, v59, v60, s9
	s_wait_alu 0xfffe
	v_cndmask_b32_e64 v4, v67, v69, s5
	v_lshl_or_b32 v2, v39, 16, v40
	v_lshl_or_b32 v1, v3, 16, v1
	s_wait_loadcnt 0x0
	s_barrier_signal -1
	s_barrier_wait -1
	global_inv scope:SCOPE_SE
	ds_store_b64 v5, v[1:2]
	v_lshlrev_b16 v1, 8, v47
	v_and_b32_e32 v2, 0xff, v45
	v_lshlrev_b16 v3, 8, v55
	v_and_b32_e32 v39, 0xff, v51
	;; [unrolled: 2-line block ×3, first 2 shown]
	v_and_b32_e32 v44, 0xff, v68
	v_lshlrev_b16 v4, 8, v4
	v_cndmask_b32_e64 v41, v71, v72, s5
	v_cndmask_b32_e64 v64, v65, v66, s10
	;; [unrolled: 1-line block ×3, first 2 shown]
	s_wait_loadcnt_dscnt 0x0
	s_barrier_signal -1
	s_barrier_wait -1
	global_inv scope:SCOPE_SE
	v_or_b32_e32 v45, v2, v1
	v_or_b32_e32 v46, v39, v3
	;; [unrolled: 1-line block ×4, first 2 shown]
	ds_load_u8 v1, v43
	ds_load_u8 v39, v41
	;; [unrolled: 1-line block ×8, first 2 shown]
	v_and_b32_e32 v43, 0xffff, v45
	v_lshlrev_b32_e32 v45, 16, v46
	v_and_b32_e32 v46, 0xffff, v47
	v_lshlrev_b32_e32 v44, 16, v44
	s_wait_loadcnt_dscnt 0x0
	s_barrier_signal -1
	v_or_b32_e32 v43, v43, v45
	s_barrier_wait -1
	v_or_b32_e32 v44, v46, v44
	global_inv scope:SCOPE_SE
	ds_store_b64 v5, v[43:44]
	v_mov_b32_e32 v44, v38
	s_wait_loadcnt_dscnt 0x0
	s_barrier_signal -1
	s_barrier_wait -1
	global_inv scope:SCOPE_SE
	s_and_saveexec_b32 s6, s4
	s_cbranch_execz .LBB49_134
; %bb.131:                              ;   in Loop: Header=BB49_2 Depth=1
	v_dual_mov_b32 v44, v38 :: v_dual_mov_b32 v43, v33
	s_mov_b32 s7, 0
.LBB49_132:                             ;   Parent Loop BB49_2 Depth=1
                                        ; =>  This Inner Loop Header: Depth=2
	s_delay_alu instid0(VALU_DEP_1) | instskip(NEXT) | instid1(VALU_DEP_1)
	v_sub_nc_u32_e32 v45, v43, v44
	v_lshrrev_b32_e32 v45, 1, v45
	s_delay_alu instid0(VALU_DEP_1) | instskip(NEXT) | instid1(VALU_DEP_1)
	v_add_nc_u32_e32 v45, v45, v44
	v_add_nc_u32_e32 v46, v10, v45
	v_xad_u32 v47, v45, -1, v28
	v_add_nc_u32_e32 v48, 1, v45
	ds_load_i8 v46, v46
	ds_load_i8 v47, v47
	s_wait_dscnt 0x0
	v_cmp_lt_i16_e64 s5, v47, v46
	s_wait_alu 0xf1ff
	s_delay_alu instid0(VALU_DEP_1) | instskip(SKIP_1) | instid1(VALU_DEP_1)
	v_cndmask_b32_e64 v43, v43, v45, s5
	v_cndmask_b32_e64 v44, v48, v44, s5
	v_cmp_ge_i32_e64 s5, v44, v43
	s_wait_alu 0xfffe
	s_or_b32 s7, s5, s7
	s_wait_alu 0xfffe
	s_and_not1_b32 exec_lo, exec_lo, s7
	s_cbranch_execnz .LBB49_132
; %bb.133:                              ;   in Loop: Header=BB49_2 Depth=1
	s_or_b32 exec_lo, exec_lo, s7
.LBB49_134:                             ;   in Loop: Header=BB49_2 Depth=1
	s_wait_alu 0xfffe
	s_or_b32 exec_lo, exec_lo, s6
	v_add_nc_u32_e32 v43, v44, v10
	v_sub_nc_u32_e32 v44, v28, v44
                                        ; implicit-def: $vgpr47
	ds_load_u8 v45, v43
	ds_load_u8 v46, v44
	v_cmp_le_i32_e64 s5, v22, v43
	v_cmp_gt_i32_e64 s7, v23, v44
	s_wait_dscnt 0x1
	v_bfe_i32 v45, v45, 0, 8
	s_wait_dscnt 0x0
	v_bfe_i32 v46, v46, 0, 8
	s_delay_alu instid0(VALU_DEP_1)
	v_cmp_lt_i16_e64 s6, v46, v45
	s_or_b32 s5, s5, s6
	s_wait_alu 0xfffe
	s_and_b32 s5, s7, s5
	s_wait_alu 0xfffe
	s_xor_b32 s6, s5, -1
	s_wait_alu 0xfffe
	s_and_saveexec_b32 s7, s6
	s_wait_alu 0xfffe
	s_xor_b32 s6, exec_lo, s7
; %bb.135:                              ;   in Loop: Header=BB49_2 Depth=1
	ds_load_u8 v47, v43 offset:1
; %bb.136:                              ;   in Loop: Header=BB49_2 Depth=1
	s_wait_alu 0xfffe
	s_or_saveexec_b32 s6, s6
	v_mov_b32_e32 v48, v46
	s_wait_alu 0xfffe
	s_xor_b32 exec_lo, exec_lo, s6
	s_cbranch_execz .LBB49_138
; %bb.137:                              ;   in Loop: Header=BB49_2 Depth=1
	ds_load_u8 v48, v44 offset:1
	s_wait_dscnt 0x1
	v_mov_b32_e32 v47, v45
.LBB49_138:                             ;   in Loop: Header=BB49_2 Depth=1
	s_or_b32 exec_lo, exec_lo, s6
	v_add_nc_u32_e32 v49, 1, v43
	v_add_nc_u32_e32 v50, 1, v44
	s_wait_dscnt 0x0
	v_bfe_i32 v51, v47, 0, 8
	v_bfe_i32 v52, v48, 0, 8
	v_cndmask_b32_e64 v49, v49, v43, s5
	v_cndmask_b32_e64 v50, v44, v50, s5
	s_delay_alu instid0(VALU_DEP_3) | instskip(NEXT) | instid1(VALU_DEP_3)
	v_cmp_lt_i16_e64 s7, v52, v51
                                        ; implicit-def: $vgpr51
	v_cmp_ge_i32_e64 s6, v49, v22
	s_delay_alu instid0(VALU_DEP_3)
	v_cmp_lt_i32_e64 s8, v50, v23
	s_or_b32 s6, s6, s7
	s_wait_alu 0xfffe
	s_and_b32 s6, s8, s6
	s_wait_alu 0xfffe
	s_xor_b32 s7, s6, -1
	s_wait_alu 0xfffe
	s_and_saveexec_b32 s8, s7
	s_wait_alu 0xfffe
	s_xor_b32 s7, exec_lo, s8
; %bb.139:                              ;   in Loop: Header=BB49_2 Depth=1
	ds_load_u8 v51, v49 offset:1
; %bb.140:                              ;   in Loop: Header=BB49_2 Depth=1
	s_wait_alu 0xfffe
	s_or_saveexec_b32 s7, s7
	v_mov_b32_e32 v52, v48
	s_wait_alu 0xfffe
	s_xor_b32 exec_lo, exec_lo, s7
	s_cbranch_execz .LBB49_142
; %bb.141:                              ;   in Loop: Header=BB49_2 Depth=1
	ds_load_u8 v52, v50 offset:1
	s_wait_dscnt 0x1
	v_mov_b32_e32 v51, v47
.LBB49_142:                             ;   in Loop: Header=BB49_2 Depth=1
	s_or_b32 exec_lo, exec_lo, s7
	v_add_nc_u32_e32 v53, 1, v49
	v_add_nc_u32_e32 v54, 1, v50
	s_wait_dscnt 0x0
	v_bfe_i32 v55, v51, 0, 8
	v_bfe_i32 v56, v52, 0, 8
	v_cndmask_b32_e64 v53, v53, v49, s6
	v_cndmask_b32_e64 v54, v50, v54, s6
	s_delay_alu instid0(VALU_DEP_3) | instskip(NEXT) | instid1(VALU_DEP_3)
	v_cmp_lt_i16_e64 s8, v56, v55
                                        ; implicit-def: $vgpr55
	v_cmp_ge_i32_e64 s7, v53, v22
	s_delay_alu instid0(VALU_DEP_3)
	v_cmp_lt_i32_e64 s9, v54, v23
	s_or_b32 s7, s7, s8
	s_wait_alu 0xfffe
	s_and_b32 s7, s9, s7
	s_wait_alu 0xfffe
	s_xor_b32 s8, s7, -1
	s_wait_alu 0xfffe
	s_and_saveexec_b32 s9, s8
	s_wait_alu 0xfffe
	s_xor_b32 s8, exec_lo, s9
; %bb.143:                              ;   in Loop: Header=BB49_2 Depth=1
	ds_load_u8 v55, v53 offset:1
; %bb.144:                              ;   in Loop: Header=BB49_2 Depth=1
	s_wait_alu 0xfffe
	s_or_saveexec_b32 s8, s8
	v_mov_b32_e32 v56, v52
	s_wait_alu 0xfffe
	s_xor_b32 exec_lo, exec_lo, s8
	s_cbranch_execz .LBB49_146
; %bb.145:                              ;   in Loop: Header=BB49_2 Depth=1
	ds_load_u8 v56, v54 offset:1
	s_wait_dscnt 0x1
	v_mov_b32_e32 v55, v51
.LBB49_146:                             ;   in Loop: Header=BB49_2 Depth=1
	s_or_b32 exec_lo, exec_lo, s8
	v_add_nc_u32_e32 v57, 1, v53
	v_add_nc_u32_e32 v58, 1, v54
	s_wait_dscnt 0x0
	v_bfe_i32 v59, v55, 0, 8
	v_bfe_i32 v60, v56, 0, 8
	v_cndmask_b32_e64 v57, v57, v53, s7
	v_cndmask_b32_e64 v58, v54, v58, s7
	s_delay_alu instid0(VALU_DEP_3) | instskip(NEXT) | instid1(VALU_DEP_3)
	v_cmp_lt_i16_e64 s9, v60, v59
                                        ; implicit-def: $vgpr59
	v_cmp_ge_i32_e64 s8, v57, v22
	s_delay_alu instid0(VALU_DEP_3)
	v_cmp_lt_i32_e64 s10, v58, v23
	s_or_b32 s8, s8, s9
	s_wait_alu 0xfffe
	s_and_b32 s8, s10, s8
	s_wait_alu 0xfffe
	s_xor_b32 s9, s8, -1
	s_wait_alu 0xfffe
	s_and_saveexec_b32 s10, s9
	s_wait_alu 0xfffe
	s_xor_b32 s9, exec_lo, s10
; %bb.147:                              ;   in Loop: Header=BB49_2 Depth=1
	ds_load_u8 v59, v57 offset:1
; %bb.148:                              ;   in Loop: Header=BB49_2 Depth=1
	s_wait_alu 0xfffe
	s_or_saveexec_b32 s9, s9
	v_mov_b32_e32 v60, v56
	s_wait_alu 0xfffe
	s_xor_b32 exec_lo, exec_lo, s9
	s_cbranch_execz .LBB49_150
; %bb.149:                              ;   in Loop: Header=BB49_2 Depth=1
	ds_load_u8 v60, v58 offset:1
	s_wait_dscnt 0x1
	v_mov_b32_e32 v59, v55
.LBB49_150:                             ;   in Loop: Header=BB49_2 Depth=1
	s_or_b32 exec_lo, exec_lo, s9
	v_add_nc_u32_e32 v61, 1, v57
	v_add_nc_u32_e32 v62, 1, v58
	s_wait_dscnt 0x0
	v_bfe_i32 v63, v59, 0, 8
	v_bfe_i32 v64, v60, 0, 8
	v_cndmask_b32_e64 v61, v61, v57, s8
	v_cndmask_b32_e64 v62, v58, v62, s8
	s_delay_alu instid0(VALU_DEP_3) | instskip(NEXT) | instid1(VALU_DEP_3)
	v_cmp_lt_i16_e64 s10, v64, v63
                                        ; implicit-def: $vgpr63
	v_cmp_ge_i32_e64 s9, v61, v22
	s_delay_alu instid0(VALU_DEP_3)
	v_cmp_lt_i32_e64 s11, v62, v23
	s_or_b32 s9, s9, s10
	s_wait_alu 0xfffe
	s_and_b32 s9, s11, s9
	s_wait_alu 0xfffe
	s_xor_b32 s10, s9, -1
	s_wait_alu 0xfffe
	s_and_saveexec_b32 s11, s10
	s_wait_alu 0xfffe
	s_xor_b32 s10, exec_lo, s11
; %bb.151:                              ;   in Loop: Header=BB49_2 Depth=1
	ds_load_u8 v63, v61 offset:1
; %bb.152:                              ;   in Loop: Header=BB49_2 Depth=1
	s_wait_alu 0xfffe
	s_or_saveexec_b32 s10, s10
	v_mov_b32_e32 v64, v60
	s_wait_alu 0xfffe
	s_xor_b32 exec_lo, exec_lo, s10
	s_cbranch_execz .LBB49_154
; %bb.153:                              ;   in Loop: Header=BB49_2 Depth=1
	ds_load_u8 v64, v62 offset:1
	s_wait_dscnt 0x1
	v_mov_b32_e32 v63, v59
.LBB49_154:                             ;   in Loop: Header=BB49_2 Depth=1
	s_or_b32 exec_lo, exec_lo, s10
	v_add_nc_u32_e32 v65, 1, v61
	v_add_nc_u32_e32 v66, 1, v62
	s_wait_dscnt 0x0
	v_bfe_i32 v67, v63, 0, 8
	v_bfe_i32 v68, v64, 0, 8
	v_cndmask_b32_e64 v65, v65, v61, s9
	v_cndmask_b32_e64 v66, v62, v66, s9
	s_delay_alu instid0(VALU_DEP_3) | instskip(NEXT) | instid1(VALU_DEP_3)
	v_cmp_lt_i16_e64 s11, v68, v67
                                        ; implicit-def: $vgpr68
	v_cmp_ge_i32_e64 s10, v65, v22
	s_delay_alu instid0(VALU_DEP_3)
	v_cmp_lt_i32_e64 s12, v66, v23
	s_or_b32 s10, s10, s11
	s_wait_alu 0xfffe
	s_and_b32 s10, s12, s10
	s_wait_alu 0xfffe
	s_xor_b32 s11, s10, -1
	s_wait_alu 0xfffe
	s_and_saveexec_b32 s12, s11
	s_wait_alu 0xfffe
	s_xor_b32 s11, exec_lo, s12
; %bb.155:                              ;   in Loop: Header=BB49_2 Depth=1
	ds_load_u8 v68, v65 offset:1
; %bb.156:                              ;   in Loop: Header=BB49_2 Depth=1
	s_wait_alu 0xfffe
	s_or_saveexec_b32 s11, s11
	v_mov_b32_e32 v70, v64
	s_wait_alu 0xfffe
	s_xor_b32 exec_lo, exec_lo, s11
	s_cbranch_execz .LBB49_158
; %bb.157:                              ;   in Loop: Header=BB49_2 Depth=1
	ds_load_u8 v70, v66 offset:1
	s_wait_dscnt 0x1
	v_mov_b32_e32 v68, v63
.LBB49_158:                             ;   in Loop: Header=BB49_2 Depth=1
	s_or_b32 exec_lo, exec_lo, s11
	v_add_nc_u32_e32 v67, 1, v65
	v_add_nc_u32_e32 v69, 1, v66
	s_wait_dscnt 0x0
	v_bfe_i32 v73, v68, 0, 8
	s_delay_alu instid0(VALU_DEP_3) | instskip(SKIP_2) | instid1(VALU_DEP_3)
	v_cndmask_b32_e64 v71, v67, v65, s10
	v_bfe_i32 v67, v70, 0, 8
	v_cndmask_b32_e64 v72, v66, v69, s10
	v_cmp_ge_i32_e64 s11, v71, v22
	s_delay_alu instid0(VALU_DEP_3) | instskip(NEXT) | instid1(VALU_DEP_3)
	v_cmp_lt_i16_e64 s12, v67, v73
	v_cmp_lt_i32_e64 s13, v72, v23
                                        ; implicit-def: $vgpr67
	s_or_b32 s11, s11, s12
	s_wait_alu 0xfffe
	s_and_b32 s11, s13, s11
	s_wait_alu 0xfffe
	s_xor_b32 s12, s11, -1
	s_wait_alu 0xfffe
	s_and_saveexec_b32 s13, s12
	s_wait_alu 0xfffe
	s_xor_b32 s12, exec_lo, s13
; %bb.159:                              ;   in Loop: Header=BB49_2 Depth=1
	ds_load_u8 v67, v71 offset:1
; %bb.160:                              ;   in Loop: Header=BB49_2 Depth=1
	s_wait_alu 0xfffe
	s_or_saveexec_b32 s12, s12
	v_mov_b32_e32 v69, v70
	s_wait_alu 0xfffe
	s_xor_b32 exec_lo, exec_lo, s12
	s_cbranch_execz .LBB49_162
; %bb.161:                              ;   in Loop: Header=BB49_2 Depth=1
	ds_load_u8 v69, v72 offset:1
	s_wait_dscnt 0x1
	v_mov_b32_e32 v67, v68
.LBB49_162:                             ;   in Loop: Header=BB49_2 Depth=1
	s_or_b32 exec_lo, exec_lo, s12
	v_add_nc_u32_e32 v74, 1, v71
	v_add_nc_u32_e32 v73, 1, v72
	v_cndmask_b32_e64 v68, v68, v70, s11
	v_cndmask_b32_e64 v70, v71, v72, s11
	;; [unrolled: 1-line block ×5, first 2 shown]
	s_wait_dscnt 0x0
	v_bfe_i32 v57, v67, 0, 8
	v_bfe_i32 v58, v69, 0, 8
	v_cndmask_b32_e64 v72, v72, v73, s11
	v_cndmask_b32_e64 v51, v51, v52, s7
	;; [unrolled: 1-line block ×3, first 2 shown]
	v_cmp_ge_i32_e64 s7, v71, v22
	v_cmp_lt_i16_e64 s8, v58, v57
	v_cndmask_b32_e64 v45, v45, v46, s5
	v_cndmask_b32_e64 v43, v43, v44, s5
	v_cmp_lt_i32_e64 s5, v72, v23
	v_perm_b32 v40, v40, v41, 0xc0c0004
	v_perm_b32 v39, v42, v39, 0xc0c0004
	v_perm_b32 v1, v1, v2, 0xc0c0004
	v_perm_b32 v3, v3, v4, 0xc0c0004
	v_cndmask_b32_e64 v47, v47, v48, s6
	v_cndmask_b32_e64 v48, v49, v50, s6
	s_or_b32 s6, s7, s8
	v_cndmask_b32_e64 v63, v63, v64, s10
	s_wait_alu 0xfffe
	s_and_b32 s5, s5, s6
	v_cndmask_b32_e64 v59, v59, v60, s9
	s_wait_alu 0xfffe
	v_cndmask_b32_e64 v4, v67, v69, s5
	v_lshl_or_b32 v2, v39, 16, v40
	v_lshl_or_b32 v1, v3, 16, v1
	s_wait_loadcnt 0x0
	s_barrier_signal -1
	s_barrier_wait -1
	global_inv scope:SCOPE_SE
	ds_store_b64 v5, v[1:2]
	v_lshlrev_b16 v1, 8, v47
	v_and_b32_e32 v2, 0xff, v45
	v_lshlrev_b16 v3, 8, v55
	v_and_b32_e32 v39, 0xff, v51
	;; [unrolled: 2-line block ×3, first 2 shown]
	v_and_b32_e32 v44, 0xff, v68
	v_lshlrev_b16 v4, 8, v4
	v_cndmask_b32_e64 v41, v71, v72, s5
	v_cndmask_b32_e64 v64, v65, v66, s10
	;; [unrolled: 1-line block ×3, first 2 shown]
	s_wait_loadcnt_dscnt 0x0
	s_barrier_signal -1
	s_barrier_wait -1
	global_inv scope:SCOPE_SE
	v_or_b32_e32 v45, v2, v1
	v_or_b32_e32 v46, v39, v3
	;; [unrolled: 1-line block ×4, first 2 shown]
	ds_load_u8 v1, v43
	ds_load_u8 v39, v41
	;; [unrolled: 1-line block ×8, first 2 shown]
	v_and_b32_e32 v43, 0xffff, v45
	v_lshlrev_b32_e32 v45, 16, v46
	v_and_b32_e32 v46, 0xffff, v47
	v_lshlrev_b32_e32 v44, 16, v44
	s_wait_loadcnt_dscnt 0x0
	s_barrier_signal -1
	v_or_b32_e32 v43, v43, v45
	s_barrier_wait -1
	v_or_b32_e32 v44, v46, v44
	global_inv scope:SCOPE_SE
	ds_store_b64 v5, v[43:44]
	v_mov_b32_e32 v43, v11
	s_wait_loadcnt_dscnt 0x0
	s_barrier_signal -1
	s_barrier_wait -1
	global_inv scope:SCOPE_SE
	s_and_saveexec_b32 s6, vcc_lo
	s_cbranch_execz .LBB49_166
; %bb.163:                              ;   in Loop: Header=BB49_2 Depth=1
	v_dual_mov_b32 v43, v11 :: v_dual_mov_b32 v44, v12
	s_mov_b32 s7, 0
.LBB49_164:                             ;   Parent Loop BB49_2 Depth=1
                                        ; =>  This Inner Loop Header: Depth=2
	s_delay_alu instid0(VALU_DEP_1) | instskip(NEXT) | instid1(VALU_DEP_1)
	v_sub_nc_u32_e32 v45, v44, v43
	v_lshrrev_b32_e32 v45, 1, v45
	s_delay_alu instid0(VALU_DEP_1) | instskip(NEXT) | instid1(VALU_DEP_1)
	v_add_nc_u32_e32 v45, v45, v43
	v_xad_u32 v46, v45, -1, v13
	v_add_nc_u32_e32 v48, 1, v45
	ds_load_i8 v47, v45
	ds_load_i8 v46, v46
	s_wait_dscnt 0x0
	v_cmp_lt_i16_e64 s5, v46, v47
	s_wait_alu 0xf1ff
	s_delay_alu instid0(VALU_DEP_1) | instskip(SKIP_1) | instid1(VALU_DEP_1)
	v_cndmask_b32_e64 v44, v44, v45, s5
	v_cndmask_b32_e64 v43, v48, v43, s5
	v_cmp_ge_i32_e64 s5, v43, v44
	s_wait_alu 0xfffe
	s_or_b32 s7, s5, s7
	s_wait_alu 0xfffe
	s_and_not1_b32 exec_lo, exec_lo, s7
	s_cbranch_execnz .LBB49_164
; %bb.165:                              ;   in Loop: Header=BB49_2 Depth=1
	s_or_b32 exec_lo, exec_lo, s7
.LBB49_166:                             ;   in Loop: Header=BB49_2 Depth=1
	s_wait_alu 0xfffe
	s_or_b32 exec_lo, exec_lo, s6
	v_sub_nc_u32_e32 v44, v13, v43
	v_cmp_le_i32_e64 s5, 0x100, v43
                                        ; implicit-def: $vgpr47
	ds_load_u8 v45, v43
	ds_load_u8 v46, v44
	v_cmp_gt_i32_e64 s7, 0x200, v44
	s_wait_dscnt 0x1
	v_bfe_i32 v45, v45, 0, 8
	s_wait_dscnt 0x0
	v_bfe_i32 v46, v46, 0, 8
	s_delay_alu instid0(VALU_DEP_1)
	v_cmp_lt_i16_e64 s6, v46, v45
	s_or_b32 s5, s5, s6
	s_wait_alu 0xfffe
	s_and_b32 s5, s7, s5
	s_wait_alu 0xfffe
	s_xor_b32 s6, s5, -1
	s_wait_alu 0xfffe
	s_and_saveexec_b32 s7, s6
	s_wait_alu 0xfffe
	s_xor_b32 s6, exec_lo, s7
; %bb.167:                              ;   in Loop: Header=BB49_2 Depth=1
	ds_load_u8 v47, v43 offset:1
; %bb.168:                              ;   in Loop: Header=BB49_2 Depth=1
	s_wait_alu 0xfffe
	s_or_saveexec_b32 s6, s6
	v_mov_b32_e32 v50, v46
	s_wait_alu 0xfffe
	s_xor_b32 exec_lo, exec_lo, s6
	s_cbranch_execz .LBB49_170
; %bb.169:                              ;   in Loop: Header=BB49_2 Depth=1
	ds_load_u8 v50, v44 offset:1
	s_wait_dscnt 0x1
	v_mov_b32_e32 v47, v45
.LBB49_170:                             ;   in Loop: Header=BB49_2 Depth=1
	s_or_b32 exec_lo, exec_lo, s6
	v_add_nc_u32_e32 v48, 1, v43
	v_add_nc_u32_e32 v49, 1, v44
	s_wait_dscnt 0x0
	v_bfe_i32 v51, v47, 0, 8
	v_bfe_i32 v52, v50, 0, 8
	v_cndmask_b32_e64 v48, v48, v43, s5
	v_cndmask_b32_e64 v49, v44, v49, s5
	s_delay_alu instid0(VALU_DEP_3) | instskip(NEXT) | instid1(VALU_DEP_3)
	v_cmp_lt_i16_e64 s7, v52, v51
                                        ; implicit-def: $vgpr51
	v_cmp_le_i32_e64 s6, 0x100, v48
	s_delay_alu instid0(VALU_DEP_3)
	v_cmp_gt_i32_e64 s8, 0x200, v49
	s_or_b32 s6, s6, s7
	s_wait_alu 0xfffe
	s_and_b32 s6, s8, s6
	s_wait_alu 0xfffe
	s_xor_b32 s7, s6, -1
	s_wait_alu 0xfffe
	s_and_saveexec_b32 s8, s7
	s_wait_alu 0xfffe
	s_xor_b32 s7, exec_lo, s8
; %bb.171:                              ;   in Loop: Header=BB49_2 Depth=1
	ds_load_u8 v51, v48 offset:1
; %bb.172:                              ;   in Loop: Header=BB49_2 Depth=1
	s_wait_alu 0xfffe
	s_or_saveexec_b32 s7, s7
	v_mov_b32_e32 v53, v50
	s_wait_alu 0xfffe
	s_xor_b32 exec_lo, exec_lo, s7
	s_cbranch_execz .LBB49_174
; %bb.173:                              ;   in Loop: Header=BB49_2 Depth=1
	ds_load_u8 v53, v49 offset:1
	s_wait_dscnt 0x1
	v_mov_b32_e32 v51, v47
.LBB49_174:                             ;   in Loop: Header=BB49_2 Depth=1
	s_or_b32 exec_lo, exec_lo, s7
	v_add_nc_u32_e32 v52, 1, v48
	v_add_nc_u32_e32 v54, 1, v49
	s_wait_dscnt 0x0
	v_bfe_i32 v55, v51, 0, 8
	v_bfe_i32 v56, v53, 0, 8
	v_cndmask_b32_e64 v52, v52, v48, s6
	v_cndmask_b32_e64 v54, v49, v54, s6
	s_delay_alu instid0(VALU_DEP_3) | instskip(NEXT) | instid1(VALU_DEP_3)
	v_cmp_lt_i16_e64 s8, v56, v55
                                        ; implicit-def: $vgpr55
	v_cmp_le_i32_e64 s7, 0x100, v52
	s_delay_alu instid0(VALU_DEP_3)
	v_cmp_gt_i32_e64 s9, 0x200, v54
	s_or_b32 s7, s7, s8
	s_wait_alu 0xfffe
	s_and_b32 s7, s9, s7
	s_wait_alu 0xfffe
	s_xor_b32 s8, s7, -1
	s_wait_alu 0xfffe
	s_and_saveexec_b32 s9, s8
	s_wait_alu 0xfffe
	s_xor_b32 s8, exec_lo, s9
; %bb.175:                              ;   in Loop: Header=BB49_2 Depth=1
	ds_load_u8 v55, v52 offset:1
; %bb.176:                              ;   in Loop: Header=BB49_2 Depth=1
	s_wait_alu 0xfffe
	s_or_saveexec_b32 s8, s8
	v_mov_b32_e32 v56, v53
	s_wait_alu 0xfffe
	s_xor_b32 exec_lo, exec_lo, s8
	s_cbranch_execz .LBB49_178
; %bb.177:                              ;   in Loop: Header=BB49_2 Depth=1
	ds_load_u8 v56, v54 offset:1
	s_wait_dscnt 0x1
	v_mov_b32_e32 v55, v51
.LBB49_178:                             ;   in Loop: Header=BB49_2 Depth=1
	s_or_b32 exec_lo, exec_lo, s8
	v_add_nc_u32_e32 v57, 1, v52
	v_add_nc_u32_e32 v58, 1, v54
	s_wait_dscnt 0x0
	v_bfe_i32 v59, v55, 0, 8
	v_bfe_i32 v60, v56, 0, 8
	v_cndmask_b32_e64 v57, v57, v52, s7
	v_cndmask_b32_e64 v58, v54, v58, s7
	s_delay_alu instid0(VALU_DEP_3) | instskip(NEXT) | instid1(VALU_DEP_3)
	v_cmp_lt_i16_e64 s9, v60, v59
                                        ; implicit-def: $vgpr59
	v_cmp_le_i32_e64 s8, 0x100, v57
	s_delay_alu instid0(VALU_DEP_3)
	v_cmp_gt_i32_e64 s10, 0x200, v58
	s_or_b32 s8, s8, s9
	s_wait_alu 0xfffe
	s_and_b32 s8, s10, s8
	s_wait_alu 0xfffe
	s_xor_b32 s9, s8, -1
	s_wait_alu 0xfffe
	s_and_saveexec_b32 s10, s9
	s_wait_alu 0xfffe
	s_xor_b32 s9, exec_lo, s10
; %bb.179:                              ;   in Loop: Header=BB49_2 Depth=1
	ds_load_u8 v59, v57 offset:1
; %bb.180:                              ;   in Loop: Header=BB49_2 Depth=1
	s_wait_alu 0xfffe
	s_or_saveexec_b32 s9, s9
	v_mov_b32_e32 v60, v56
	s_wait_alu 0xfffe
	s_xor_b32 exec_lo, exec_lo, s9
	s_cbranch_execz .LBB49_182
; %bb.181:                              ;   in Loop: Header=BB49_2 Depth=1
	ds_load_u8 v60, v58 offset:1
	s_wait_dscnt 0x1
	v_mov_b32_e32 v59, v55
.LBB49_182:                             ;   in Loop: Header=BB49_2 Depth=1
	s_or_b32 exec_lo, exec_lo, s9
	v_add_nc_u32_e32 v61, 1, v57
	v_add_nc_u32_e32 v62, 1, v58
	s_wait_dscnt 0x0
	v_bfe_i32 v63, v59, 0, 8
	v_bfe_i32 v64, v60, 0, 8
	v_cndmask_b32_e64 v61, v61, v57, s8
	v_cndmask_b32_e64 v62, v58, v62, s8
	s_delay_alu instid0(VALU_DEP_3) | instskip(NEXT) | instid1(VALU_DEP_3)
	v_cmp_lt_i16_e64 s10, v64, v63
                                        ; implicit-def: $vgpr63
	v_cmp_le_i32_e64 s9, 0x100, v61
	s_delay_alu instid0(VALU_DEP_3)
	v_cmp_gt_i32_e64 s11, 0x200, v62
	s_or_b32 s9, s9, s10
	s_wait_alu 0xfffe
	s_and_b32 s9, s11, s9
	s_wait_alu 0xfffe
	s_xor_b32 s10, s9, -1
	s_wait_alu 0xfffe
	s_and_saveexec_b32 s11, s10
	s_wait_alu 0xfffe
	s_xor_b32 s10, exec_lo, s11
; %bb.183:                              ;   in Loop: Header=BB49_2 Depth=1
	ds_load_u8 v63, v61 offset:1
; %bb.184:                              ;   in Loop: Header=BB49_2 Depth=1
	s_wait_alu 0xfffe
	s_or_saveexec_b32 s10, s10
	v_mov_b32_e32 v64, v60
	s_wait_alu 0xfffe
	s_xor_b32 exec_lo, exec_lo, s10
	s_cbranch_execz .LBB49_186
; %bb.185:                              ;   in Loop: Header=BB49_2 Depth=1
	ds_load_u8 v64, v62 offset:1
	s_wait_dscnt 0x1
	v_mov_b32_e32 v63, v59
.LBB49_186:                             ;   in Loop: Header=BB49_2 Depth=1
	s_or_b32 exec_lo, exec_lo, s10
	v_add_nc_u32_e32 v65, 1, v61
	v_add_nc_u32_e32 v67, 1, v62
	s_wait_dscnt 0x0
	v_bfe_i32 v68, v63, 0, 8
	s_delay_alu instid0(VALU_DEP_3) | instskip(SKIP_2) | instid1(VALU_DEP_3)
	v_cndmask_b32_e64 v66, v65, v61, s9
	v_bfe_i32 v65, v64, 0, 8
	v_cndmask_b32_e64 v67, v62, v67, s9
	v_cmp_le_i32_e64 s10, 0x100, v66
	s_delay_alu instid0(VALU_DEP_3) | instskip(NEXT) | instid1(VALU_DEP_3)
	v_cmp_lt_i16_e64 s11, v65, v68
	v_cmp_gt_i32_e64 s12, 0x200, v67
                                        ; implicit-def: $vgpr68
	s_or_b32 s10, s10, s11
	s_wait_alu 0xfffe
	s_and_b32 s10, s12, s10
	s_wait_alu 0xfffe
	s_xor_b32 s11, s10, -1
	s_wait_alu 0xfffe
	s_and_saveexec_b32 s12, s11
	s_wait_alu 0xfffe
	s_xor_b32 s11, exec_lo, s12
; %bb.187:                              ;   in Loop: Header=BB49_2 Depth=1
	ds_load_u8 v68, v66 offset:1
; %bb.188:                              ;   in Loop: Header=BB49_2 Depth=1
	s_wait_alu 0xfffe
	s_or_saveexec_b32 s11, s11
	v_mov_b32_e32 v71, v64
	s_wait_alu 0xfffe
	s_xor_b32 exec_lo, exec_lo, s11
	s_cbranch_execz .LBB49_190
; %bb.189:                              ;   in Loop: Header=BB49_2 Depth=1
	ds_load_u8 v71, v67 offset:1
	s_wait_dscnt 0x1
	v_mov_b32_e32 v68, v63
.LBB49_190:                             ;   in Loop: Header=BB49_2 Depth=1
	s_or_b32 exec_lo, exec_lo, s11
	v_add_nc_u32_e32 v65, 1, v66
	v_add_nc_u32_e32 v69, 1, v67
	s_wait_dscnt 0x0
	v_bfe_i32 v70, v68, 0, 8
	v_bfe_i32 v72, v71, 0, 8
                                        ; implicit-def: $vgpr73
	v_cndmask_b32_e64 v65, v65, v66, s10
	v_cndmask_b32_e64 v69, v67, v69, s10
	s_delay_alu instid0(VALU_DEP_3) | instskip(NEXT) | instid1(VALU_DEP_3)
	v_cmp_lt_i16_e64 s12, v72, v70
                                        ; implicit-def: $vgpr72
	v_cmp_le_i32_e64 s11, 0x100, v65
	s_delay_alu instid0(VALU_DEP_3)
	v_cmp_gt_i32_e64 s13, 0x200, v69
	s_or_b32 s11, s11, s12
	s_wait_alu 0xfffe
	s_and_b32 s11, s13, s11
	s_wait_alu 0xfffe
	s_xor_b32 s12, s11, -1
	s_wait_alu 0xfffe
	s_and_saveexec_b32 s13, s12
	s_wait_alu 0xfffe
	s_xor_b32 s12, exec_lo, s13
; %bb.191:                              ;   in Loop: Header=BB49_2 Depth=1
	ds_load_u8 v73, v65 offset:1
	v_add_nc_u32_e32 v72, 1, v65
; %bb.192:                              ;   in Loop: Header=BB49_2 Depth=1
	s_wait_alu 0xfffe
	s_or_saveexec_b32 s12, s12
	v_mov_b32_e32 v70, v65
	v_mov_b32_e32 v74, v71
	s_wait_alu 0xfffe
	s_xor_b32 exec_lo, exec_lo, s12
	s_cbranch_execz .LBB49_1
; %bb.193:                              ;   in Loop: Header=BB49_2 Depth=1
	ds_load_u8 v74, v69 offset:1
	s_wait_dscnt 0x1
	v_dual_mov_b32 v70, v69 :: v_dual_add_nc_u32 v73, 1, v69
	s_delay_alu instid0(VALU_DEP_1)
	v_dual_mov_b32 v72, v65 :: v_dual_mov_b32 v69, v73
	v_mov_b32_e32 v73, v68
	s_branch .LBB49_1
.LBB49_194:
	s_add_nc_u64 s[0:1], s[46:47], s[48:49]
	v_add_nc_u16 v2, v65, v40
	s_wait_alu 0xfffe
	v_add_co_u32 v0, s0, s0, v0
	s_wait_alu 0xf1ff
	v_add_co_ci_u32_e64 v1, null, s1, 0, s0
	v_add_nc_u16 v5, v50, v44
	v_add_nc_u16 v6, v51, v48
	;; [unrolled: 1-line block ×7, first 2 shown]
	s_clause 0x7
	global_store_b8 v[0:1], v2, off
	global_store_b8 v[0:1], v5, off offset:64
	global_store_b8 v[0:1], v6, off offset:128
	;; [unrolled: 1-line block ×7, first 2 shown]
	s_endpgm
	.section	.rodata,"a",@progbits
	.p2align	6, 0x0
	.amdhsa_kernel _Z17sort_pairs_kernelIaLj64ELj8EN10test_utils4lessELj10EEvPKT_PS2_T2_
		.amdhsa_group_segment_fixed_size 513
		.amdhsa_private_segment_fixed_size 0
		.amdhsa_kernarg_size 20
		.amdhsa_user_sgpr_count 2
		.amdhsa_user_sgpr_dispatch_ptr 0
		.amdhsa_user_sgpr_queue_ptr 0
		.amdhsa_user_sgpr_kernarg_segment_ptr 1
		.amdhsa_user_sgpr_dispatch_id 0
		.amdhsa_user_sgpr_private_segment_size 0
		.amdhsa_wavefront_size32 1
		.amdhsa_uses_dynamic_stack 0
		.amdhsa_enable_private_segment 0
		.amdhsa_system_sgpr_workgroup_id_x 1
		.amdhsa_system_sgpr_workgroup_id_y 0
		.amdhsa_system_sgpr_workgroup_id_z 0
		.amdhsa_system_sgpr_workgroup_info 0
		.amdhsa_system_vgpr_workitem_id 0
		.amdhsa_next_free_vgpr 75
		.amdhsa_next_free_sgpr 50
		.amdhsa_reserve_vcc 1
		.amdhsa_float_round_mode_32 0
		.amdhsa_float_round_mode_16_64 0
		.amdhsa_float_denorm_mode_32 3
		.amdhsa_float_denorm_mode_16_64 3
		.amdhsa_fp16_overflow 0
		.amdhsa_workgroup_processor_mode 1
		.amdhsa_memory_ordered 1
		.amdhsa_forward_progress 1
		.amdhsa_inst_pref_size 121
		.amdhsa_round_robin_scheduling 0
		.amdhsa_exception_fp_ieee_invalid_op 0
		.amdhsa_exception_fp_denorm_src 0
		.amdhsa_exception_fp_ieee_div_zero 0
		.amdhsa_exception_fp_ieee_overflow 0
		.amdhsa_exception_fp_ieee_underflow 0
		.amdhsa_exception_fp_ieee_inexact 0
		.amdhsa_exception_int_div_zero 0
	.end_amdhsa_kernel
	.section	.text._Z17sort_pairs_kernelIaLj64ELj8EN10test_utils4lessELj10EEvPKT_PS2_T2_,"axG",@progbits,_Z17sort_pairs_kernelIaLj64ELj8EN10test_utils4lessELj10EEvPKT_PS2_T2_,comdat
.Lfunc_end49:
	.size	_Z17sort_pairs_kernelIaLj64ELj8EN10test_utils4lessELj10EEvPKT_PS2_T2_, .Lfunc_end49-_Z17sort_pairs_kernelIaLj64ELj8EN10test_utils4lessELj10EEvPKT_PS2_T2_
                                        ; -- End function
	.set _Z17sort_pairs_kernelIaLj64ELj8EN10test_utils4lessELj10EEvPKT_PS2_T2_.num_vgpr, 75
	.set _Z17sort_pairs_kernelIaLj64ELj8EN10test_utils4lessELj10EEvPKT_PS2_T2_.num_agpr, 0
	.set _Z17sort_pairs_kernelIaLj64ELj8EN10test_utils4lessELj10EEvPKT_PS2_T2_.numbered_sgpr, 50
	.set _Z17sort_pairs_kernelIaLj64ELj8EN10test_utils4lessELj10EEvPKT_PS2_T2_.num_named_barrier, 0
	.set _Z17sort_pairs_kernelIaLj64ELj8EN10test_utils4lessELj10EEvPKT_PS2_T2_.private_seg_size, 0
	.set _Z17sort_pairs_kernelIaLj64ELj8EN10test_utils4lessELj10EEvPKT_PS2_T2_.uses_vcc, 1
	.set _Z17sort_pairs_kernelIaLj64ELj8EN10test_utils4lessELj10EEvPKT_PS2_T2_.uses_flat_scratch, 0
	.set _Z17sort_pairs_kernelIaLj64ELj8EN10test_utils4lessELj10EEvPKT_PS2_T2_.has_dyn_sized_stack, 0
	.set _Z17sort_pairs_kernelIaLj64ELj8EN10test_utils4lessELj10EEvPKT_PS2_T2_.has_recursion, 0
	.set _Z17sort_pairs_kernelIaLj64ELj8EN10test_utils4lessELj10EEvPKT_PS2_T2_.has_indirect_call, 0
	.section	.AMDGPU.csdata,"",@progbits
; Kernel info:
; codeLenInByte = 15468
; TotalNumSgprs: 52
; NumVgprs: 75
; ScratchSize: 0
; MemoryBound: 0
; FloatMode: 240
; IeeeMode: 1
; LDSByteSize: 513 bytes/workgroup (compile time only)
; SGPRBlocks: 0
; VGPRBlocks: 9
; NumSGPRsForWavesPerEU: 52
; NumVGPRsForWavesPerEU: 75
; Occupancy: 16
; WaveLimiterHint : 0
; COMPUTE_PGM_RSRC2:SCRATCH_EN: 0
; COMPUTE_PGM_RSRC2:USER_SGPR: 2
; COMPUTE_PGM_RSRC2:TRAP_HANDLER: 0
; COMPUTE_PGM_RSRC2:TGID_X_EN: 1
; COMPUTE_PGM_RSRC2:TGID_Y_EN: 0
; COMPUTE_PGM_RSRC2:TGID_Z_EN: 0
; COMPUTE_PGM_RSRC2:TIDIG_COMP_CNT: 0
	.section	.text._Z16sort_keys_kernelIaLj128ELj1EN10test_utils4lessELj10EEvPKT_PS2_T2_,"axG",@progbits,_Z16sort_keys_kernelIaLj128ELj1EN10test_utils4lessELj10EEvPKT_PS2_T2_,comdat
	.protected	_Z16sort_keys_kernelIaLj128ELj1EN10test_utils4lessELj10EEvPKT_PS2_T2_ ; -- Begin function _Z16sort_keys_kernelIaLj128ELj1EN10test_utils4lessELj10EEvPKT_PS2_T2_
	.globl	_Z16sort_keys_kernelIaLj128ELj1EN10test_utils4lessELj10EEvPKT_PS2_T2_
	.p2align	8
	.type	_Z16sort_keys_kernelIaLj128ELj1EN10test_utils4lessELj10EEvPKT_PS2_T2_,@function
_Z16sort_keys_kernelIaLj128ELj1EN10test_utils4lessELj10EEvPKT_PS2_T2_: ; @_Z16sort_keys_kernelIaLj128ELj1EN10test_utils4lessELj10EEvPKT_PS2_T2_
; %bb.0:
	s_load_b128 s[8:11], s[0:1], 0x0
	s_lshl_b32 s12, ttmp9, 7
	s_mov_b32 s13, 0
	v_and_b32_e32 v4, 0x7c, v0
	v_and_b32_e32 v12, 0x70, v0
	;; [unrolled: 1-line block ×5, first 2 shown]
	v_or_b32_e32 v19, 2, v4
	v_add_nc_u32_e32 v7, 4, v4
	v_or_b32_e32 v28, 8, v12
	v_add_nc_u32_e32 v16, 16, v12
	;; [unrolled: 2-line block ×3, first 2 shown]
	v_sub_nc_u32_e32 v13, v7, v19
	v_sub_nc_u32_e32 v11, v19, v4
	v_and_b32_e32 v29, 15, v0
	v_sub_nc_u32_e32 v24, v16, v28
	v_sub_nc_u32_e32 v17, v9, v21
	;; [unrolled: 1-line block ×3, first 2 shown]
	s_wait_kmcnt 0x0
	s_add_nc_u64 s[0:1], s[8:9], s[12:13]
	v_sub_nc_u32_e32 v15, v21, v8
	global_load_u8 v40, v0, s[0:1]
	v_cmp_ge_i32_e64 s0, v20, v13
	v_add_nc_u32_e32 v19, v19, v20
	v_sub_nc_u32_e32 v25, v29, v24
	v_cmp_ge_i32_e64 s2, v29, v24
	v_and_b32_e32 v23, 64, v0
	v_cndmask_b32_e64 v13, 0, v14, s0
	v_min_i32_e32 v14, v20, v11
	v_add_nc_u32_e32 v20, v21, v22
	v_and_b32_e32 v21, 0x60, v0
	v_cndmask_b32_e64 v24, 0, v25, s2
	v_sub_nc_u32_e32 v18, v22, v17
	v_cmp_ge_i32_e64 s0, v22, v17
	v_or_b32_e32 v38, 32, v23
	v_or_b32_e32 v37, 16, v21
	v_add_nc_u32_e32 v25, 32, v21
	v_add_nc_u32_e32 v27, 64, v23
	v_and_b32_e32 v39, 31, v0
	v_and_b32_e32 v1, 0x7e, v0
	s_wait_alu 0xf1ff
	v_cndmask_b32_e64 v17, 0, v18, s0
	v_sub_nc_u32_e32 v31, v25, v37
	v_min_i32_e32 v18, v22, v15
	v_sub_nc_u32_e32 v22, v28, v12
	v_and_b32_e32 v41, 63, v0
	v_sub_nc_u32_e32 v33, v27, v38
	v_sub_nc_u32_e32 v32, v39, v31
	v_cmp_ge_i32_e64 s3, v39, v31
	v_and_b32_e32 v10, 1, v0
	v_or_b32_e32 v2, 1, v1
	v_min_i32_e32 v26, v29, v22
	v_add_nc_u32_e32 v28, v28, v29
	v_sub_nc_u32_e32 v29, v37, v21
	v_sub_nc_u32_e32 v30, v38, v23
	;; [unrolled: 1-line block ×3, first 2 shown]
	s_wait_alu 0xf1ff
	v_cndmask_b32_e64 v31, 0, v32, s3
	v_cmp_ge_i32_e64 s3, v41, v33
	v_add_nc_u32_e32 v5, -1, v10
	v_sub_nc_u32_e32 v3, v2, v1
	v_cmp_lt_i32_e32 vcc_lo, 0, v10
	v_min_i32_e32 v32, v39, v29
	s_wait_alu 0xf1ff
	v_cndmask_b32_e64 v33, 0, v34, s3
	v_min_i32_e32 v34, v41, v30
	v_sub_nc_u32_e64 v35, v0, 64 clamp
	v_min_i32_e32 v36, 64, v0
	v_cndmask_b32_e32 v5, 0, v5, vcc_lo
	v_min_i32_e32 v6, v10, v3
	v_add_nc_u32_e32 v10, v2, v10
	v_cmp_lt_i32_e64 s0, v13, v14
	v_cmp_lt_i32_e64 s1, v17, v18
	;; [unrolled: 1-line block ×4, first 2 shown]
	v_add_nc_u32_e32 v37, v37, v39
	v_cmp_lt_i32_e64 s4, v33, v34
	v_add_nc_u32_e32 v38, v38, v41
	v_cmp_lt_i32_e64 s5, v35, v36
	v_add_nc_u32_e32 v39, 64, v0
	s_mov_b32 s9, s13
	v_cmp_lt_i32_e32 vcc_lo, v5, v6
	s_branch .LBB50_2
.LBB50_1:                               ;   in Loop: Header=BB50_2 Depth=1
	s_wait_alu 0xfffe
	s_or_b32 exec_lo, exec_lo, s7
	v_sub_nc_u32_e32 v41, v39, v40
	v_cmp_le_i32_e64 s6, 64, v40
	s_add_co_i32 s9, s9, 1
	ds_load_u8 v42, v40
	ds_load_u8 v43, v41
	v_cmp_gt_i32_e64 s8, 0x80, v41
	s_wait_dscnt 0x1
	v_bfe_i32 v44, v42, 0, 8
	s_wait_dscnt 0x0
	v_bfe_i32 v45, v43, 0, 8
	s_delay_alu instid0(VALU_DEP_1)
	v_cmp_lt_i16_e64 s7, v45, v44
	s_or_b32 s6, s6, s7
	s_wait_alu 0xfffe
	s_and_b32 s6, s8, s6
	s_cmp_eq_u32 s9, 10
	s_wait_alu 0xfffe
	v_cndmask_b32_e64 v40, v42, v43, s6
	s_cbranch_scc1 .LBB50_30
.LBB50_2:                               ; =>This Loop Header: Depth=1
                                        ;     Child Loop BB50_4 Depth 2
                                        ;     Child Loop BB50_8 Depth 2
                                        ;     Child Loop BB50_12 Depth 2
                                        ;     Child Loop BB50_16 Depth 2
                                        ;     Child Loop BB50_20 Depth 2
                                        ;     Child Loop BB50_24 Depth 2
                                        ;     Child Loop BB50_28 Depth 2
	s_wait_loadcnt 0x0
	s_barrier_signal -1
	s_barrier_wait -1
	global_inv scope:SCOPE_SE
	ds_store_b8 v0, v40
	v_mov_b32_e32 v40, v5
	s_wait_loadcnt_dscnt 0x0
	s_barrier_signal -1
	s_barrier_wait -1
	global_inv scope:SCOPE_SE
	s_and_saveexec_b32 s7, vcc_lo
	s_cbranch_execz .LBB50_6
; %bb.3:                                ;   in Loop: Header=BB50_2 Depth=1
	v_dual_mov_b32 v40, v5 :: v_dual_mov_b32 v41, v6
	s_mov_b32 s8, 0
.LBB50_4:                               ;   Parent Loop BB50_2 Depth=1
                                        ; =>  This Inner Loop Header: Depth=2
	s_delay_alu instid0(VALU_DEP_1) | instskip(NEXT) | instid1(VALU_DEP_1)
	v_sub_nc_u32_e32 v42, v41, v40
	v_lshrrev_b32_e32 v42, 1, v42
	s_delay_alu instid0(VALU_DEP_1) | instskip(NEXT) | instid1(VALU_DEP_1)
	v_add_nc_u32_e32 v42, v42, v40
	v_add_nc_u32_e32 v43, v1, v42
	v_xad_u32 v44, v42, -1, v10
	v_add_nc_u32_e32 v45, 1, v42
	ds_load_i8 v43, v43
	ds_load_i8 v44, v44
	s_wait_dscnt 0x0
	v_cmp_lt_i16_e64 s6, v44, v43
	s_wait_alu 0xf1ff
	s_delay_alu instid0(VALU_DEP_1) | instskip(SKIP_1) | instid1(VALU_DEP_1)
	v_cndmask_b32_e64 v41, v41, v42, s6
	v_cndmask_b32_e64 v40, v45, v40, s6
	v_cmp_ge_i32_e64 s6, v40, v41
	s_or_b32 s8, s6, s8
	s_delay_alu instid0(SALU_CYCLE_1)
	s_and_not1_b32 exec_lo, exec_lo, s8
	s_cbranch_execnz .LBB50_4
; %bb.5:                                ;   in Loop: Header=BB50_2 Depth=1
	s_or_b32 exec_lo, exec_lo, s8
.LBB50_6:                               ;   in Loop: Header=BB50_2 Depth=1
	s_wait_alu 0xfffe
	s_or_b32 exec_lo, exec_lo, s7
	v_add_nc_u32_e32 v41, v1, v40
	v_sub_nc_u32_e32 v42, v10, v40
	v_cmp_ge_i32_e64 s6, v40, v3
	v_mov_b32_e32 v40, v13
	ds_load_u8 v41, v41
	ds_load_u8 v43, v42
	v_cmp_ge_i32_e64 s8, v2, v42
	s_wait_loadcnt_dscnt 0x0
	s_barrier_signal -1
	s_barrier_wait -1
	global_inv scope:SCOPE_SE
	v_bfe_i32 v44, v41, 0, 8
	v_bfe_i32 v45, v43, 0, 8
	s_delay_alu instid0(VALU_DEP_1)
	v_cmp_lt_i16_e64 s7, v45, v44
	s_or_b32 s6, s6, s7
	s_wait_alu 0xfffe
	s_and_b32 s6, s8, s6
	s_wait_alu 0xfffe
	v_cndmask_b32_e64 v41, v41, v43, s6
	ds_store_b8 v0, v41
	s_wait_loadcnt_dscnt 0x0
	s_barrier_signal -1
	s_barrier_wait -1
	global_inv scope:SCOPE_SE
	s_and_saveexec_b32 s7, s0
	s_cbranch_execz .LBB50_10
; %bb.7:                                ;   in Loop: Header=BB50_2 Depth=1
	v_dual_mov_b32 v40, v13 :: v_dual_mov_b32 v41, v14
	s_mov_b32 s8, 0
.LBB50_8:                               ;   Parent Loop BB50_2 Depth=1
                                        ; =>  This Inner Loop Header: Depth=2
	s_delay_alu instid0(VALU_DEP_1) | instskip(NEXT) | instid1(VALU_DEP_1)
	v_sub_nc_u32_e32 v42, v41, v40
	v_lshrrev_b32_e32 v42, 1, v42
	s_delay_alu instid0(VALU_DEP_1) | instskip(NEXT) | instid1(VALU_DEP_1)
	v_add_nc_u32_e32 v42, v42, v40
	v_add_nc_u32_e32 v43, v4, v42
	v_xad_u32 v44, v42, -1, v19
	v_add_nc_u32_e32 v45, 1, v42
	ds_load_i8 v43, v43
	ds_load_i8 v44, v44
	s_wait_dscnt 0x0
	v_cmp_lt_i16_e64 s6, v44, v43
	s_wait_alu 0xf1ff
	s_delay_alu instid0(VALU_DEP_1) | instskip(SKIP_1) | instid1(VALU_DEP_1)
	v_cndmask_b32_e64 v41, v41, v42, s6
	v_cndmask_b32_e64 v40, v45, v40, s6
	v_cmp_ge_i32_e64 s6, v40, v41
	s_or_b32 s8, s6, s8
	s_delay_alu instid0(SALU_CYCLE_1)
	s_and_not1_b32 exec_lo, exec_lo, s8
	s_cbranch_execnz .LBB50_8
; %bb.9:                                ;   in Loop: Header=BB50_2 Depth=1
	s_or_b32 exec_lo, exec_lo, s8
.LBB50_10:                              ;   in Loop: Header=BB50_2 Depth=1
	s_wait_alu 0xfffe
	s_or_b32 exec_lo, exec_lo, s7
	v_add_nc_u32_e32 v41, v4, v40
	v_sub_nc_u32_e32 v42, v19, v40
	v_cmp_ge_i32_e64 s6, v40, v11
	v_mov_b32_e32 v40, v17
	ds_load_u8 v41, v41
	ds_load_u8 v43, v42
	v_cmp_gt_i32_e64 s8, v7, v42
	s_wait_loadcnt_dscnt 0x0
	s_barrier_signal -1
	s_barrier_wait -1
	global_inv scope:SCOPE_SE
	v_bfe_i32 v44, v41, 0, 8
	v_bfe_i32 v45, v43, 0, 8
	s_delay_alu instid0(VALU_DEP_1)
	v_cmp_lt_i16_e64 s7, v45, v44
	s_or_b32 s6, s6, s7
	s_wait_alu 0xfffe
	s_and_b32 s6, s8, s6
	s_wait_alu 0xfffe
	v_cndmask_b32_e64 v41, v41, v43, s6
	ds_store_b8 v0, v41
	s_wait_loadcnt_dscnt 0x0
	s_barrier_signal -1
	s_barrier_wait -1
	global_inv scope:SCOPE_SE
	s_and_saveexec_b32 s7, s1
	s_cbranch_execz .LBB50_14
; %bb.11:                               ;   in Loop: Header=BB50_2 Depth=1
	v_dual_mov_b32 v40, v17 :: v_dual_mov_b32 v41, v18
	s_mov_b32 s8, 0
.LBB50_12:                              ;   Parent Loop BB50_2 Depth=1
                                        ; =>  This Inner Loop Header: Depth=2
	s_delay_alu instid0(VALU_DEP_1) | instskip(NEXT) | instid1(VALU_DEP_1)
	v_sub_nc_u32_e32 v42, v41, v40
	v_lshrrev_b32_e32 v42, 1, v42
	s_delay_alu instid0(VALU_DEP_1) | instskip(NEXT) | instid1(VALU_DEP_1)
	v_add_nc_u32_e32 v42, v42, v40
	v_add_nc_u32_e32 v43, v8, v42
	v_xad_u32 v44, v42, -1, v20
	v_add_nc_u32_e32 v45, 1, v42
	ds_load_i8 v43, v43
	ds_load_i8 v44, v44
	s_wait_dscnt 0x0
	v_cmp_lt_i16_e64 s6, v44, v43
	s_wait_alu 0xf1ff
	s_delay_alu instid0(VALU_DEP_1) | instskip(SKIP_1) | instid1(VALU_DEP_1)
	v_cndmask_b32_e64 v41, v41, v42, s6
	v_cndmask_b32_e64 v40, v45, v40, s6
	v_cmp_ge_i32_e64 s6, v40, v41
	s_or_b32 s8, s6, s8
	s_delay_alu instid0(SALU_CYCLE_1)
	s_and_not1_b32 exec_lo, exec_lo, s8
	s_cbranch_execnz .LBB50_12
; %bb.13:                               ;   in Loop: Header=BB50_2 Depth=1
	s_or_b32 exec_lo, exec_lo, s8
.LBB50_14:                              ;   in Loop: Header=BB50_2 Depth=1
	s_wait_alu 0xfffe
	s_or_b32 exec_lo, exec_lo, s7
	v_add_nc_u32_e32 v41, v8, v40
	v_sub_nc_u32_e32 v42, v20, v40
	v_cmp_ge_i32_e64 s6, v40, v15
	v_mov_b32_e32 v40, v24
	ds_load_u8 v41, v41
	ds_load_u8 v43, v42
	v_cmp_gt_i32_e64 s8, v9, v42
	s_wait_loadcnt_dscnt 0x0
	s_barrier_signal -1
	s_barrier_wait -1
	global_inv scope:SCOPE_SE
	v_bfe_i32 v44, v41, 0, 8
	v_bfe_i32 v45, v43, 0, 8
	s_delay_alu instid0(VALU_DEP_1)
	v_cmp_lt_i16_e64 s7, v45, v44
	s_or_b32 s6, s6, s7
	s_wait_alu 0xfffe
	s_and_b32 s6, s8, s6
	s_wait_alu 0xfffe
	v_cndmask_b32_e64 v41, v41, v43, s6
	ds_store_b8 v0, v41
	s_wait_loadcnt_dscnt 0x0
	s_barrier_signal -1
	s_barrier_wait -1
	global_inv scope:SCOPE_SE
	s_and_saveexec_b32 s7, s2
	s_cbranch_execz .LBB50_18
; %bb.15:                               ;   in Loop: Header=BB50_2 Depth=1
	v_dual_mov_b32 v40, v24 :: v_dual_mov_b32 v41, v26
	s_mov_b32 s8, 0
.LBB50_16:                              ;   Parent Loop BB50_2 Depth=1
                                        ; =>  This Inner Loop Header: Depth=2
	s_delay_alu instid0(VALU_DEP_1) | instskip(NEXT) | instid1(VALU_DEP_1)
	v_sub_nc_u32_e32 v42, v41, v40
	v_lshrrev_b32_e32 v42, 1, v42
	s_delay_alu instid0(VALU_DEP_1) | instskip(NEXT) | instid1(VALU_DEP_1)
	v_add_nc_u32_e32 v42, v42, v40
	v_add_nc_u32_e32 v43, v12, v42
	v_xad_u32 v44, v42, -1, v28
	v_add_nc_u32_e32 v45, 1, v42
	ds_load_i8 v43, v43
	ds_load_i8 v44, v44
	s_wait_dscnt 0x0
	v_cmp_lt_i16_e64 s6, v44, v43
	s_wait_alu 0xf1ff
	s_delay_alu instid0(VALU_DEP_1) | instskip(SKIP_1) | instid1(VALU_DEP_1)
	v_cndmask_b32_e64 v41, v41, v42, s6
	v_cndmask_b32_e64 v40, v45, v40, s6
	v_cmp_ge_i32_e64 s6, v40, v41
	s_or_b32 s8, s6, s8
	s_delay_alu instid0(SALU_CYCLE_1)
	s_and_not1_b32 exec_lo, exec_lo, s8
	s_cbranch_execnz .LBB50_16
; %bb.17:                               ;   in Loop: Header=BB50_2 Depth=1
	s_or_b32 exec_lo, exec_lo, s8
.LBB50_18:                              ;   in Loop: Header=BB50_2 Depth=1
	;; [unrolled: 58-line block ×4, first 2 shown]
	s_wait_alu 0xfffe
	s_or_b32 exec_lo, exec_lo, s7
	v_add_nc_u32_e32 v41, v23, v40
	v_sub_nc_u32_e32 v42, v38, v40
	v_cmp_ge_i32_e64 s6, v40, v30
	v_mov_b32_e32 v40, v35
	ds_load_u8 v41, v41
	ds_load_u8 v43, v42
	v_cmp_gt_i32_e64 s8, v27, v42
	s_wait_loadcnt_dscnt 0x0
	s_barrier_signal -1
	s_barrier_wait -1
	global_inv scope:SCOPE_SE
	v_bfe_i32 v44, v41, 0, 8
	v_bfe_i32 v45, v43, 0, 8
	s_delay_alu instid0(VALU_DEP_1)
	v_cmp_lt_i16_e64 s7, v45, v44
	s_or_b32 s6, s6, s7
	s_wait_alu 0xfffe
	s_and_b32 s6, s8, s6
	s_wait_alu 0xfffe
	v_cndmask_b32_e64 v41, v41, v43, s6
	ds_store_b8 v0, v41
	s_wait_loadcnt_dscnt 0x0
	s_barrier_signal -1
	s_barrier_wait -1
	global_inv scope:SCOPE_SE
	s_and_saveexec_b32 s7, s5
	s_cbranch_execz .LBB50_1
; %bb.27:                               ;   in Loop: Header=BB50_2 Depth=1
	v_dual_mov_b32 v40, v35 :: v_dual_mov_b32 v41, v36
	s_mov_b32 s8, 0
.LBB50_28:                              ;   Parent Loop BB50_2 Depth=1
                                        ; =>  This Inner Loop Header: Depth=2
	s_delay_alu instid0(VALU_DEP_1) | instskip(NEXT) | instid1(VALU_DEP_1)
	v_sub_nc_u32_e32 v42, v41, v40
	v_lshrrev_b32_e32 v42, 1, v42
	s_delay_alu instid0(VALU_DEP_1) | instskip(NEXT) | instid1(VALU_DEP_1)
	v_add_nc_u32_e32 v42, v42, v40
	v_xad_u32 v43, v42, -1, v39
	v_add_nc_u32_e32 v45, 1, v42
	ds_load_i8 v44, v42
	ds_load_i8 v43, v43
	s_wait_dscnt 0x0
	v_cmp_lt_i16_e64 s6, v43, v44
	s_wait_alu 0xf1ff
	s_delay_alu instid0(VALU_DEP_1) | instskip(SKIP_1) | instid1(VALU_DEP_1)
	v_cndmask_b32_e64 v41, v41, v42, s6
	v_cndmask_b32_e64 v40, v45, v40, s6
	v_cmp_ge_i32_e64 s6, v40, v41
	s_or_b32 s8, s6, s8
	s_delay_alu instid0(SALU_CYCLE_1)
	s_and_not1_b32 exec_lo, exec_lo, s8
	s_cbranch_execnz .LBB50_28
; %bb.29:                               ;   in Loop: Header=BB50_2 Depth=1
	s_or_b32 exec_lo, exec_lo, s8
	s_branch .LBB50_1
.LBB50_30:
	s_add_nc_u64 s[0:1], s[10:11], s[12:13]
	s_wait_alu 0xfffe
	v_add_co_u32 v0, s0, s0, v0
	s_wait_alu 0xf1ff
	v_add_co_ci_u32_e64 v1, null, s1, 0, s0
	global_store_b8 v[0:1], v40, off
	s_endpgm
	.section	.rodata,"a",@progbits
	.p2align	6, 0x0
	.amdhsa_kernel _Z16sort_keys_kernelIaLj128ELj1EN10test_utils4lessELj10EEvPKT_PS2_T2_
		.amdhsa_group_segment_fixed_size 129
		.amdhsa_private_segment_fixed_size 0
		.amdhsa_kernarg_size 20
		.amdhsa_user_sgpr_count 2
		.amdhsa_user_sgpr_dispatch_ptr 0
		.amdhsa_user_sgpr_queue_ptr 0
		.amdhsa_user_sgpr_kernarg_segment_ptr 1
		.amdhsa_user_sgpr_dispatch_id 0
		.amdhsa_user_sgpr_private_segment_size 0
		.amdhsa_wavefront_size32 1
		.amdhsa_uses_dynamic_stack 0
		.amdhsa_enable_private_segment 0
		.amdhsa_system_sgpr_workgroup_id_x 1
		.amdhsa_system_sgpr_workgroup_id_y 0
		.amdhsa_system_sgpr_workgroup_id_z 0
		.amdhsa_system_sgpr_workgroup_info 0
		.amdhsa_system_vgpr_workitem_id 0
		.amdhsa_next_free_vgpr 46
		.amdhsa_next_free_sgpr 14
		.amdhsa_reserve_vcc 1
		.amdhsa_float_round_mode_32 0
		.amdhsa_float_round_mode_16_64 0
		.amdhsa_float_denorm_mode_32 3
		.amdhsa_float_denorm_mode_16_64 3
		.amdhsa_fp16_overflow 0
		.amdhsa_workgroup_processor_mode 1
		.amdhsa_memory_ordered 1
		.amdhsa_forward_progress 1
		.amdhsa_inst_pref_size 21
		.amdhsa_round_robin_scheduling 0
		.amdhsa_exception_fp_ieee_invalid_op 0
		.amdhsa_exception_fp_denorm_src 0
		.amdhsa_exception_fp_ieee_div_zero 0
		.amdhsa_exception_fp_ieee_overflow 0
		.amdhsa_exception_fp_ieee_underflow 0
		.amdhsa_exception_fp_ieee_inexact 0
		.amdhsa_exception_int_div_zero 0
	.end_amdhsa_kernel
	.section	.text._Z16sort_keys_kernelIaLj128ELj1EN10test_utils4lessELj10EEvPKT_PS2_T2_,"axG",@progbits,_Z16sort_keys_kernelIaLj128ELj1EN10test_utils4lessELj10EEvPKT_PS2_T2_,comdat
.Lfunc_end50:
	.size	_Z16sort_keys_kernelIaLj128ELj1EN10test_utils4lessELj10EEvPKT_PS2_T2_, .Lfunc_end50-_Z16sort_keys_kernelIaLj128ELj1EN10test_utils4lessELj10EEvPKT_PS2_T2_
                                        ; -- End function
	.set _Z16sort_keys_kernelIaLj128ELj1EN10test_utils4lessELj10EEvPKT_PS2_T2_.num_vgpr, 46
	.set _Z16sort_keys_kernelIaLj128ELj1EN10test_utils4lessELj10EEvPKT_PS2_T2_.num_agpr, 0
	.set _Z16sort_keys_kernelIaLj128ELj1EN10test_utils4lessELj10EEvPKT_PS2_T2_.numbered_sgpr, 14
	.set _Z16sort_keys_kernelIaLj128ELj1EN10test_utils4lessELj10EEvPKT_PS2_T2_.num_named_barrier, 0
	.set _Z16sort_keys_kernelIaLj128ELj1EN10test_utils4lessELj10EEvPKT_PS2_T2_.private_seg_size, 0
	.set _Z16sort_keys_kernelIaLj128ELj1EN10test_utils4lessELj10EEvPKT_PS2_T2_.uses_vcc, 1
	.set _Z16sort_keys_kernelIaLj128ELj1EN10test_utils4lessELj10EEvPKT_PS2_T2_.uses_flat_scratch, 0
	.set _Z16sort_keys_kernelIaLj128ELj1EN10test_utils4lessELj10EEvPKT_PS2_T2_.has_dyn_sized_stack, 0
	.set _Z16sort_keys_kernelIaLj128ELj1EN10test_utils4lessELj10EEvPKT_PS2_T2_.has_recursion, 0
	.set _Z16sort_keys_kernelIaLj128ELj1EN10test_utils4lessELj10EEvPKT_PS2_T2_.has_indirect_call, 0
	.section	.AMDGPU.csdata,"",@progbits
; Kernel info:
; codeLenInByte = 2576
; TotalNumSgprs: 16
; NumVgprs: 46
; ScratchSize: 0
; MemoryBound: 0
; FloatMode: 240
; IeeeMode: 1
; LDSByteSize: 129 bytes/workgroup (compile time only)
; SGPRBlocks: 0
; VGPRBlocks: 5
; NumSGPRsForWavesPerEU: 16
; NumVGPRsForWavesPerEU: 46
; Occupancy: 16
; WaveLimiterHint : 0
; COMPUTE_PGM_RSRC2:SCRATCH_EN: 0
; COMPUTE_PGM_RSRC2:USER_SGPR: 2
; COMPUTE_PGM_RSRC2:TRAP_HANDLER: 0
; COMPUTE_PGM_RSRC2:TGID_X_EN: 1
; COMPUTE_PGM_RSRC2:TGID_Y_EN: 0
; COMPUTE_PGM_RSRC2:TGID_Z_EN: 0
; COMPUTE_PGM_RSRC2:TIDIG_COMP_CNT: 0
	.section	.text._Z17sort_pairs_kernelIaLj128ELj1EN10test_utils4lessELj10EEvPKT_PS2_T2_,"axG",@progbits,_Z17sort_pairs_kernelIaLj128ELj1EN10test_utils4lessELj10EEvPKT_PS2_T2_,comdat
	.protected	_Z17sort_pairs_kernelIaLj128ELj1EN10test_utils4lessELj10EEvPKT_PS2_T2_ ; -- Begin function _Z17sort_pairs_kernelIaLj128ELj1EN10test_utils4lessELj10EEvPKT_PS2_T2_
	.globl	_Z17sort_pairs_kernelIaLj128ELj1EN10test_utils4lessELj10EEvPKT_PS2_T2_
	.p2align	8
	.type	_Z17sort_pairs_kernelIaLj128ELj1EN10test_utils4lessELj10EEvPKT_PS2_T2_,@function
_Z17sort_pairs_kernelIaLj128ELj1EN10test_utils4lessELj10EEvPKT_PS2_T2_: ; @_Z17sort_pairs_kernelIaLj128ELj1EN10test_utils4lessELj10EEvPKT_PS2_T2_
; %bb.0:
	s_load_b128 s[8:11], s[0:1], 0x0
	s_lshl_b32 s12, ttmp9, 7
	s_mov_b32 s13, 0
	v_and_b32_e32 v2, 0x7c, v0
	v_and_b32_e32 v1, 0x7e, v0
	;; [unrolled: 1-line block ×5, first 2 shown]
	v_or_b32_e32 v10, 2, v2
	v_add_nc_u32_e32 v11, 4, v2
	v_or_b32_e32 v9, 1, v1
	v_or_b32_e32 v12, 4, v3
	v_add_nc_u32_e32 v13, 8, v3
	v_and_b32_e32 v27, 1, v0
	v_sub_nc_u32_e32 v38, v11, v10
	v_and_b32_e32 v34, 7, v0
	v_and_b32_e32 v5, 0x60, v0
	v_or_b32_e32 v14, 8, v4
	v_add_nc_u32_e32 v15, 16, v4
	v_sub_nc_u32_e32 v28, v9, v1
	s_wait_kmcnt 0x0
	s_add_nc_u64 s[0:1], s[8:9], s[12:13]
	v_sub_nc_u32_e32 v29, v10, v2
	global_load_u8 v39, v0, s[0:1]
	v_sub_nc_u32_e32 v40, v13, v12
	v_sub_nc_u32_e32 v45, v33, v38
	v_cmp_ge_i32_e64 s1, v33, v38
	v_and_b32_e32 v35, 15, v0
	v_and_b32_e32 v6, 64, v0
	v_add_nc_u32_e32 v20, -1, v27
	v_or_b32_e32 v16, 16, v5
	v_add_nc_u32_e32 v17, 32, v5
	v_cmp_lt_i32_e64 s0, 0, v27
	v_add_nc_u32_e32 v21, v9, v27
	v_add_nc_u32_e32 v22, v10, v33
	v_sub_nc_u32_e32 v30, v12, v3
	v_sub_nc_u32_e32 v41, v15, v14
	v_min_i32_e32 v27, v27, v28
	v_min_i32_e32 v28, v33, v29
	v_sub_nc_u32_e32 v46, v34, v40
	v_cndmask_b32_e64 v33, 0, v45, s1
	v_cmp_ge_i32_e64 s1, v34, v40
	v_and_b32_e32 v36, 31, v0
	v_or_b32_e32 v18, 32, v6
	v_add_nc_u32_e32 v19, 64, v6
	v_add_nc_u32_e32 v23, v12, v34
	v_sub_nc_u32_e32 v31, v14, v4
	v_sub_nc_u32_e32 v42, v17, v16
	v_min_i32_e32 v29, v34, v30
	v_sub_nc_u32_e32 v47, v35, v41
	s_wait_alu 0xf1ff
	v_cndmask_b32_e64 v34, 0, v46, s1
	v_cmp_ge_i32_e64 s1, v35, v41
	v_and_b32_e32 v37, 63, v0
	v_add_nc_u32_e32 v24, v14, v35
	v_sub_nc_u32_e32 v32, v16, v5
	v_sub_nc_u32_e32 v44, v19, v18
	v_min_i32_e32 v30, v35, v31
	v_sub_nc_u32_e32 v48, v36, v42
	s_wait_alu 0xf1ff
	v_cndmask_b32_e64 v35, 0, v47, s1
	v_cmp_ge_i32_e64 s1, v36, v42
	v_add_nc_u32_e32 v25, v16, v36
	v_sub_nc_u32_e32 v43, v18, v6
	v_min_i32_e32 v31, v36, v32
	v_sub_nc_u32_e32 v49, v37, v44
	s_wait_alu 0xf1ff
	v_cndmask_b32_e64 v36, 0, v48, s1
	v_cmp_ge_i32_e64 s1, v37, v44
	v_cndmask_b32_e64 v20, 0, v20, s0
	v_add_nc_u32_e32 v26, v18, v37
	v_min_i32_e32 v32, v37, v43
	v_sub_nc_u32_e64 v7, v0, 64 clamp
	s_wait_alu 0xf1ff
	v_cndmask_b32_e64 v37, 0, v49, s1
	v_min_i32_e32 v8, 64, v0
	v_cmp_lt_i32_e64 s0, v20, v27
	v_cmp_lt_i32_e64 s1, v33, v28
	;; [unrolled: 1-line block ×6, first 2 shown]
	v_add_nc_u32_e32 v38, 64, v0
	s_mov_b32 s9, s13
	v_cmp_lt_i32_e32 vcc_lo, v7, v8
	s_wait_loadcnt 0x0
	v_add_nc_u16 v40, v39, 1
	s_branch .LBB51_2
.LBB51_1:                               ;   in Loop: Header=BB51_2 Depth=1
	s_wait_alu 0xfffe
	s_or_b32 exec_lo, exec_lo, s7
	v_sub_nc_u32_e32 v42, v38, v41
	v_cmp_le_i32_e64 s6, 64, v41
	s_add_co_i32 s9, s9, 1
	ds_load_u8 v39, v41
	ds_load_u8 v43, v42
	v_cmp_gt_i32_e64 s8, 0x80, v42
	s_wait_loadcnt_dscnt 0x0
	s_barrier_signal -1
	s_barrier_wait -1
	global_inv scope:SCOPE_SE
	ds_store_b8 v0, v40
	s_wait_loadcnt_dscnt 0x0
	s_barrier_signal -1
	s_barrier_wait -1
	global_inv scope:SCOPE_SE
	v_bfe_i32 v44, v39, 0, 8
	v_bfe_i32 v45, v43, 0, 8
	s_delay_alu instid0(VALU_DEP_1)
	v_cmp_lt_i16_e64 s7, v45, v44
	s_or_b32 s6, s6, s7
	s_wait_alu 0xfffe
	s_and_b32 s6, s8, s6
	s_cmp_eq_u32 s9, 10
	s_wait_alu 0xfffe
	v_cndmask_b32_e64 v41, v41, v42, s6
	v_cndmask_b32_e64 v39, v39, v43, s6
	ds_load_u8 v40, v41
	s_cbranch_scc1 .LBB51_30
.LBB51_2:                               ; =>This Loop Header: Depth=1
                                        ;     Child Loop BB51_4 Depth 2
                                        ;     Child Loop BB51_8 Depth 2
	;; [unrolled: 1-line block ×7, first 2 shown]
	s_barrier_signal -1
	s_barrier_wait -1
	global_inv scope:SCOPE_SE
	ds_store_b8 v0, v39
	v_mov_b32_e32 v39, v20
	s_wait_loadcnt_dscnt 0x0
	s_barrier_signal -1
	s_barrier_wait -1
	global_inv scope:SCOPE_SE
	s_and_saveexec_b32 s7, s0
	s_cbranch_execz .LBB51_6
; %bb.3:                                ;   in Loop: Header=BB51_2 Depth=1
	v_mov_b32_e32 v39, v20
	v_mov_b32_e32 v41, v27
	s_mov_b32 s8, 0
.LBB51_4:                               ;   Parent Loop BB51_2 Depth=1
                                        ; =>  This Inner Loop Header: Depth=2
	s_delay_alu instid0(VALU_DEP_1) | instskip(NEXT) | instid1(VALU_DEP_1)
	v_sub_nc_u32_e32 v42, v41, v39
	v_lshrrev_b32_e32 v42, 1, v42
	s_delay_alu instid0(VALU_DEP_1) | instskip(NEXT) | instid1(VALU_DEP_1)
	v_add_nc_u32_e32 v42, v42, v39
	v_add_nc_u32_e32 v43, v1, v42
	v_xad_u32 v44, v42, -1, v21
	v_add_nc_u32_e32 v45, 1, v42
	ds_load_i8 v43, v43
	ds_load_i8 v44, v44
	s_wait_dscnt 0x0
	v_cmp_lt_i16_e64 s6, v44, v43
	s_wait_alu 0xf1ff
	s_delay_alu instid0(VALU_DEP_1) | instskip(SKIP_1) | instid1(VALU_DEP_1)
	v_cndmask_b32_e64 v41, v41, v42, s6
	v_cndmask_b32_e64 v39, v45, v39, s6
	v_cmp_ge_i32_e64 s6, v39, v41
	s_or_b32 s8, s6, s8
	s_delay_alu instid0(SALU_CYCLE_1)
	s_and_not1_b32 exec_lo, exec_lo, s8
	s_cbranch_execnz .LBB51_4
; %bb.5:                                ;   in Loop: Header=BB51_2 Depth=1
	s_or_b32 exec_lo, exec_lo, s8
.LBB51_6:                               ;   in Loop: Header=BB51_2 Depth=1
	s_wait_alu 0xfffe
	s_or_b32 exec_lo, exec_lo, s7
	v_add_nc_u32_e32 v41, v39, v1
	v_sub_nc_u32_e32 v39, v21, v39
	ds_load_u8 v42, v41
	ds_load_u8 v43, v39
	s_wait_loadcnt_dscnt 0x0
	s_barrier_signal -1
	s_barrier_wait -1
	global_inv scope:SCOPE_SE
	ds_store_b8 v0, v40
	v_mov_b32_e32 v40, v33
	v_cmp_le_i32_e64 s6, v9, v41
	v_cmp_ge_i32_e64 s8, v9, v39
	s_wait_loadcnt_dscnt 0x0
	s_barrier_signal -1
	s_barrier_wait -1
	global_inv scope:SCOPE_SE
	v_bfe_i32 v44, v42, 0, 8
	v_bfe_i32 v45, v43, 0, 8
	s_delay_alu instid0(VALU_DEP_1)
	v_cmp_lt_i16_e64 s7, v45, v44
	s_or_b32 s6, s6, s7
	s_wait_alu 0xfffe
	s_and_b32 s6, s8, s6
	s_wait_alu 0xfffe
	v_cndmask_b32_e64 v39, v41, v39, s6
	v_cndmask_b32_e64 v42, v42, v43, s6
	ds_load_u8 v39, v39
	s_wait_loadcnt_dscnt 0x0
	s_barrier_signal -1
	s_barrier_wait -1
	global_inv scope:SCOPE_SE
	ds_store_b8 v0, v42
	s_wait_loadcnt_dscnt 0x0
	s_barrier_signal -1
	s_barrier_wait -1
	global_inv scope:SCOPE_SE
	s_and_saveexec_b32 s7, s1
	s_cbranch_execz .LBB51_10
; %bb.7:                                ;   in Loop: Header=BB51_2 Depth=1
	v_dual_mov_b32 v40, v33 :: v_dual_mov_b32 v41, v28
	s_mov_b32 s8, 0
.LBB51_8:                               ;   Parent Loop BB51_2 Depth=1
                                        ; =>  This Inner Loop Header: Depth=2
	s_delay_alu instid0(VALU_DEP_1) | instskip(NEXT) | instid1(VALU_DEP_1)
	v_sub_nc_u32_e32 v42, v41, v40
	v_lshrrev_b32_e32 v42, 1, v42
	s_delay_alu instid0(VALU_DEP_1) | instskip(NEXT) | instid1(VALU_DEP_1)
	v_add_nc_u32_e32 v42, v42, v40
	v_add_nc_u32_e32 v43, v2, v42
	v_xad_u32 v44, v42, -1, v22
	v_add_nc_u32_e32 v45, 1, v42
	ds_load_i8 v43, v43
	ds_load_i8 v44, v44
	s_wait_dscnt 0x0
	v_cmp_lt_i16_e64 s6, v44, v43
	s_wait_alu 0xf1ff
	s_delay_alu instid0(VALU_DEP_1) | instskip(SKIP_1) | instid1(VALU_DEP_1)
	v_cndmask_b32_e64 v41, v41, v42, s6
	v_cndmask_b32_e64 v40, v45, v40, s6
	v_cmp_ge_i32_e64 s6, v40, v41
	s_or_b32 s8, s6, s8
	s_delay_alu instid0(SALU_CYCLE_1)
	s_and_not1_b32 exec_lo, exec_lo, s8
	s_cbranch_execnz .LBB51_8
; %bb.9:                                ;   in Loop: Header=BB51_2 Depth=1
	s_or_b32 exec_lo, exec_lo, s8
.LBB51_10:                              ;   in Loop: Header=BB51_2 Depth=1
	s_wait_alu 0xfffe
	s_or_b32 exec_lo, exec_lo, s7
	v_add_nc_u32_e32 v41, v40, v2
	v_sub_nc_u32_e32 v40, v22, v40
	ds_load_u8 v42, v41
	ds_load_u8 v43, v40
	v_cmp_le_i32_e64 s6, v10, v41
	v_cmp_gt_i32_e64 s8, v11, v40
	s_wait_loadcnt_dscnt 0x0
	s_barrier_signal -1
	s_barrier_wait -1
	global_inv scope:SCOPE_SE
	ds_store_b8 v0, v39
	s_wait_loadcnt_dscnt 0x0
	s_barrier_signal -1
	s_barrier_wait -1
	global_inv scope:SCOPE_SE
	v_bfe_i32 v44, v42, 0, 8
	v_bfe_i32 v45, v43, 0, 8
	s_delay_alu instid0(VALU_DEP_1)
	v_cmp_lt_i16_e64 s7, v45, v44
	s_or_b32 s6, s6, s7
	s_wait_alu 0xfffe
	s_and_b32 s6, s8, s6
	s_wait_alu 0xfffe
	v_cndmask_b32_e64 v40, v41, v40, s6
	v_cndmask_b32_e64 v42, v42, v43, s6
	ds_load_u8 v39, v40
	v_mov_b32_e32 v40, v34
	s_wait_loadcnt_dscnt 0x0
	s_barrier_signal -1
	s_barrier_wait -1
	global_inv scope:SCOPE_SE
	ds_store_b8 v0, v42
	s_wait_loadcnt_dscnt 0x0
	s_barrier_signal -1
	s_barrier_wait -1
	global_inv scope:SCOPE_SE
	s_and_saveexec_b32 s7, s2
	s_cbranch_execz .LBB51_14
; %bb.11:                               ;   in Loop: Header=BB51_2 Depth=1
	v_dual_mov_b32 v40, v34 :: v_dual_mov_b32 v41, v29
	s_mov_b32 s8, 0
.LBB51_12:                              ;   Parent Loop BB51_2 Depth=1
                                        ; =>  This Inner Loop Header: Depth=2
	s_delay_alu instid0(VALU_DEP_1) | instskip(NEXT) | instid1(VALU_DEP_1)
	v_sub_nc_u32_e32 v42, v41, v40
	v_lshrrev_b32_e32 v42, 1, v42
	s_delay_alu instid0(VALU_DEP_1) | instskip(NEXT) | instid1(VALU_DEP_1)
	v_add_nc_u32_e32 v42, v42, v40
	v_add_nc_u32_e32 v43, v3, v42
	v_xad_u32 v44, v42, -1, v23
	v_add_nc_u32_e32 v45, 1, v42
	ds_load_i8 v43, v43
	ds_load_i8 v44, v44
	s_wait_dscnt 0x0
	v_cmp_lt_i16_e64 s6, v44, v43
	s_wait_alu 0xf1ff
	s_delay_alu instid0(VALU_DEP_1) | instskip(SKIP_1) | instid1(VALU_DEP_1)
	v_cndmask_b32_e64 v41, v41, v42, s6
	v_cndmask_b32_e64 v40, v45, v40, s6
	v_cmp_ge_i32_e64 s6, v40, v41
	s_or_b32 s8, s6, s8
	s_delay_alu instid0(SALU_CYCLE_1)
	s_and_not1_b32 exec_lo, exec_lo, s8
	s_cbranch_execnz .LBB51_12
; %bb.13:                               ;   in Loop: Header=BB51_2 Depth=1
	s_or_b32 exec_lo, exec_lo, s8
.LBB51_14:                              ;   in Loop: Header=BB51_2 Depth=1
	s_wait_alu 0xfffe
	s_or_b32 exec_lo, exec_lo, s7
	v_add_nc_u32_e32 v41, v40, v3
	v_sub_nc_u32_e32 v40, v23, v40
	ds_load_u8 v42, v41
	ds_load_u8 v43, v40
	v_cmp_le_i32_e64 s6, v12, v41
	v_cmp_gt_i32_e64 s8, v13, v40
	s_wait_loadcnt_dscnt 0x0
	s_barrier_signal -1
	s_barrier_wait -1
	global_inv scope:SCOPE_SE
	ds_store_b8 v0, v39
	s_wait_loadcnt_dscnt 0x0
	s_barrier_signal -1
	s_barrier_wait -1
	global_inv scope:SCOPE_SE
	v_bfe_i32 v44, v42, 0, 8
	v_bfe_i32 v45, v43, 0, 8
	s_delay_alu instid0(VALU_DEP_1)
	v_cmp_lt_i16_e64 s7, v45, v44
	s_or_b32 s6, s6, s7
	s_wait_alu 0xfffe
	s_and_b32 s6, s8, s6
	s_wait_alu 0xfffe
	v_cndmask_b32_e64 v40, v41, v40, s6
	v_cndmask_b32_e64 v42, v42, v43, s6
	ds_load_u8 v39, v40
	v_mov_b32_e32 v40, v35
	s_wait_loadcnt_dscnt 0x0
	s_barrier_signal -1
	s_barrier_wait -1
	global_inv scope:SCOPE_SE
	ds_store_b8 v0, v42
	s_wait_loadcnt_dscnt 0x0
	s_barrier_signal -1
	s_barrier_wait -1
	global_inv scope:SCOPE_SE
	s_and_saveexec_b32 s7, s3
	s_cbranch_execz .LBB51_18
; %bb.15:                               ;   in Loop: Header=BB51_2 Depth=1
	v_dual_mov_b32 v40, v35 :: v_dual_mov_b32 v41, v30
	s_mov_b32 s8, 0
.LBB51_16:                              ;   Parent Loop BB51_2 Depth=1
                                        ; =>  This Inner Loop Header: Depth=2
	s_delay_alu instid0(VALU_DEP_1) | instskip(NEXT) | instid1(VALU_DEP_1)
	v_sub_nc_u32_e32 v42, v41, v40
	v_lshrrev_b32_e32 v42, 1, v42
	s_delay_alu instid0(VALU_DEP_1) | instskip(NEXT) | instid1(VALU_DEP_1)
	v_add_nc_u32_e32 v42, v42, v40
	v_add_nc_u32_e32 v43, v4, v42
	v_xad_u32 v44, v42, -1, v24
	v_add_nc_u32_e32 v45, 1, v42
	ds_load_i8 v43, v43
	ds_load_i8 v44, v44
	s_wait_dscnt 0x0
	v_cmp_lt_i16_e64 s6, v44, v43
	s_wait_alu 0xf1ff
	s_delay_alu instid0(VALU_DEP_1) | instskip(SKIP_1) | instid1(VALU_DEP_1)
	v_cndmask_b32_e64 v41, v41, v42, s6
	v_cndmask_b32_e64 v40, v45, v40, s6
	v_cmp_ge_i32_e64 s6, v40, v41
	s_or_b32 s8, s6, s8
	s_delay_alu instid0(SALU_CYCLE_1)
	s_and_not1_b32 exec_lo, exec_lo, s8
	s_cbranch_execnz .LBB51_16
; %bb.17:                               ;   in Loop: Header=BB51_2 Depth=1
	s_or_b32 exec_lo, exec_lo, s8
.LBB51_18:                              ;   in Loop: Header=BB51_2 Depth=1
	s_wait_alu 0xfffe
	s_or_b32 exec_lo, exec_lo, s7
	v_add_nc_u32_e32 v41, v40, v4
	v_sub_nc_u32_e32 v40, v24, v40
	ds_load_u8 v42, v41
	ds_load_u8 v43, v40
	v_cmp_le_i32_e64 s6, v14, v41
	v_cmp_gt_i32_e64 s8, v15, v40
	s_wait_loadcnt_dscnt 0x0
	s_barrier_signal -1
	s_barrier_wait -1
	global_inv scope:SCOPE_SE
	ds_store_b8 v0, v39
	s_wait_loadcnt_dscnt 0x0
	s_barrier_signal -1
	s_barrier_wait -1
	global_inv scope:SCOPE_SE
	v_bfe_i32 v44, v42, 0, 8
	v_bfe_i32 v45, v43, 0, 8
	s_delay_alu instid0(VALU_DEP_1)
	v_cmp_lt_i16_e64 s7, v45, v44
	s_or_b32 s6, s6, s7
	s_wait_alu 0xfffe
	s_and_b32 s6, s8, s6
	s_wait_alu 0xfffe
	v_cndmask_b32_e64 v40, v41, v40, s6
	v_cndmask_b32_e64 v42, v42, v43, s6
	ds_load_u8 v39, v40
	v_mov_b32_e32 v40, v36
	s_wait_loadcnt_dscnt 0x0
	s_barrier_signal -1
	s_barrier_wait -1
	global_inv scope:SCOPE_SE
	ds_store_b8 v0, v42
	s_wait_loadcnt_dscnt 0x0
	s_barrier_signal -1
	s_barrier_wait -1
	global_inv scope:SCOPE_SE
	s_and_saveexec_b32 s7, s4
	s_cbranch_execz .LBB51_22
; %bb.19:                               ;   in Loop: Header=BB51_2 Depth=1
	v_dual_mov_b32 v40, v36 :: v_dual_mov_b32 v41, v31
	s_mov_b32 s8, 0
.LBB51_20:                              ;   Parent Loop BB51_2 Depth=1
                                        ; =>  This Inner Loop Header: Depth=2
	s_delay_alu instid0(VALU_DEP_1) | instskip(NEXT) | instid1(VALU_DEP_1)
	v_sub_nc_u32_e32 v42, v41, v40
	v_lshrrev_b32_e32 v42, 1, v42
	s_delay_alu instid0(VALU_DEP_1) | instskip(NEXT) | instid1(VALU_DEP_1)
	v_add_nc_u32_e32 v42, v42, v40
	v_add_nc_u32_e32 v43, v5, v42
	v_xad_u32 v44, v42, -1, v25
	v_add_nc_u32_e32 v45, 1, v42
	ds_load_i8 v43, v43
	ds_load_i8 v44, v44
	s_wait_dscnt 0x0
	v_cmp_lt_i16_e64 s6, v44, v43
	s_wait_alu 0xf1ff
	s_delay_alu instid0(VALU_DEP_1) | instskip(SKIP_1) | instid1(VALU_DEP_1)
	v_cndmask_b32_e64 v41, v41, v42, s6
	v_cndmask_b32_e64 v40, v45, v40, s6
	v_cmp_ge_i32_e64 s6, v40, v41
	s_or_b32 s8, s6, s8
	s_delay_alu instid0(SALU_CYCLE_1)
	s_and_not1_b32 exec_lo, exec_lo, s8
	s_cbranch_execnz .LBB51_20
; %bb.21:                               ;   in Loop: Header=BB51_2 Depth=1
	s_or_b32 exec_lo, exec_lo, s8
.LBB51_22:                              ;   in Loop: Header=BB51_2 Depth=1
	s_wait_alu 0xfffe
	s_or_b32 exec_lo, exec_lo, s7
	v_add_nc_u32_e32 v41, v40, v5
	v_sub_nc_u32_e32 v40, v25, v40
	ds_load_u8 v42, v41
	ds_load_u8 v43, v40
	v_cmp_le_i32_e64 s6, v16, v41
	v_cmp_gt_i32_e64 s8, v17, v40
	s_wait_loadcnt_dscnt 0x0
	s_barrier_signal -1
	s_barrier_wait -1
	global_inv scope:SCOPE_SE
	ds_store_b8 v0, v39
	s_wait_loadcnt_dscnt 0x0
	s_barrier_signal -1
	s_barrier_wait -1
	global_inv scope:SCOPE_SE
	v_bfe_i32 v44, v42, 0, 8
	v_bfe_i32 v45, v43, 0, 8
	s_delay_alu instid0(VALU_DEP_1)
	v_cmp_lt_i16_e64 s7, v45, v44
	s_or_b32 s6, s6, s7
	s_wait_alu 0xfffe
	s_and_b32 s6, s8, s6
	s_wait_alu 0xfffe
	v_cndmask_b32_e64 v40, v41, v40, s6
	v_cndmask_b32_e64 v42, v42, v43, s6
	ds_load_u8 v39, v40
	v_mov_b32_e32 v40, v37
	s_wait_loadcnt_dscnt 0x0
	s_barrier_signal -1
	s_barrier_wait -1
	global_inv scope:SCOPE_SE
	ds_store_b8 v0, v42
	s_wait_loadcnt_dscnt 0x0
	s_barrier_signal -1
	s_barrier_wait -1
	global_inv scope:SCOPE_SE
	s_and_saveexec_b32 s7, s5
	s_cbranch_execz .LBB51_26
; %bb.23:                               ;   in Loop: Header=BB51_2 Depth=1
	v_dual_mov_b32 v40, v37 :: v_dual_mov_b32 v41, v32
	s_mov_b32 s8, 0
.LBB51_24:                              ;   Parent Loop BB51_2 Depth=1
                                        ; =>  This Inner Loop Header: Depth=2
	s_delay_alu instid0(VALU_DEP_1) | instskip(NEXT) | instid1(VALU_DEP_1)
	v_sub_nc_u32_e32 v42, v41, v40
	v_lshrrev_b32_e32 v42, 1, v42
	s_delay_alu instid0(VALU_DEP_1) | instskip(NEXT) | instid1(VALU_DEP_1)
	v_add_nc_u32_e32 v42, v42, v40
	v_add_nc_u32_e32 v43, v6, v42
	v_xad_u32 v44, v42, -1, v26
	v_add_nc_u32_e32 v45, 1, v42
	ds_load_i8 v43, v43
	ds_load_i8 v44, v44
	s_wait_dscnt 0x0
	v_cmp_lt_i16_e64 s6, v44, v43
	s_wait_alu 0xf1ff
	s_delay_alu instid0(VALU_DEP_1) | instskip(SKIP_1) | instid1(VALU_DEP_1)
	v_cndmask_b32_e64 v41, v41, v42, s6
	v_cndmask_b32_e64 v40, v45, v40, s6
	v_cmp_ge_i32_e64 s6, v40, v41
	s_or_b32 s8, s6, s8
	s_delay_alu instid0(SALU_CYCLE_1)
	s_and_not1_b32 exec_lo, exec_lo, s8
	s_cbranch_execnz .LBB51_24
; %bb.25:                               ;   in Loop: Header=BB51_2 Depth=1
	s_or_b32 exec_lo, exec_lo, s8
.LBB51_26:                              ;   in Loop: Header=BB51_2 Depth=1
	s_wait_alu 0xfffe
	s_or_b32 exec_lo, exec_lo, s7
	v_add_nc_u32_e32 v41, v40, v6
	v_sub_nc_u32_e32 v40, v26, v40
	ds_load_u8 v42, v41
	ds_load_u8 v43, v40
	v_cmp_le_i32_e64 s6, v18, v41
	v_cmp_gt_i32_e64 s8, v19, v40
	s_wait_loadcnt_dscnt 0x0
	s_barrier_signal -1
	s_barrier_wait -1
	global_inv scope:SCOPE_SE
	ds_store_b8 v0, v39
	s_wait_loadcnt_dscnt 0x0
	s_barrier_signal -1
	s_barrier_wait -1
	global_inv scope:SCOPE_SE
	v_bfe_i32 v44, v42, 0, 8
	v_bfe_i32 v45, v43, 0, 8
	s_delay_alu instid0(VALU_DEP_1)
	v_cmp_lt_i16_e64 s7, v45, v44
	s_or_b32 s6, s6, s7
	s_wait_alu 0xfffe
	s_and_b32 s6, s8, s6
	s_wait_alu 0xfffe
	v_cndmask_b32_e64 v40, v41, v40, s6
	v_cndmask_b32_e64 v42, v42, v43, s6
	v_mov_b32_e32 v41, v7
	ds_load_u8 v40, v40
	s_wait_loadcnt_dscnt 0x0
	s_barrier_signal -1
	s_barrier_wait -1
	global_inv scope:SCOPE_SE
	ds_store_b8 v0, v42
	s_wait_loadcnt_dscnt 0x0
	s_barrier_signal -1
	s_barrier_wait -1
	global_inv scope:SCOPE_SE
	s_and_saveexec_b32 s7, vcc_lo
	s_cbranch_execz .LBB51_1
; %bb.27:                               ;   in Loop: Header=BB51_2 Depth=1
	v_mov_b32_e32 v41, v7
	v_mov_b32_e32 v39, v8
	s_mov_b32 s8, 0
.LBB51_28:                              ;   Parent Loop BB51_2 Depth=1
                                        ; =>  This Inner Loop Header: Depth=2
	s_delay_alu instid0(VALU_DEP_1) | instskip(NEXT) | instid1(VALU_DEP_1)
	v_sub_nc_u32_e32 v42, v39, v41
	v_lshrrev_b32_e32 v42, 1, v42
	s_delay_alu instid0(VALU_DEP_1) | instskip(NEXT) | instid1(VALU_DEP_1)
	v_add_nc_u32_e32 v42, v42, v41
	v_xad_u32 v43, v42, -1, v38
	v_add_nc_u32_e32 v45, 1, v42
	ds_load_i8 v44, v42
	ds_load_i8 v43, v43
	s_wait_dscnt 0x0
	v_cmp_lt_i16_e64 s6, v43, v44
	s_wait_alu 0xf1ff
	s_delay_alu instid0(VALU_DEP_1) | instskip(SKIP_1) | instid1(VALU_DEP_1)
	v_cndmask_b32_e64 v39, v39, v42, s6
	v_cndmask_b32_e64 v41, v45, v41, s6
	v_cmp_ge_i32_e64 s6, v41, v39
	s_or_b32 s8, s6, s8
	s_delay_alu instid0(SALU_CYCLE_1)
	s_and_not1_b32 exec_lo, exec_lo, s8
	s_cbranch_execnz .LBB51_28
; %bb.29:                               ;   in Loop: Header=BB51_2 Depth=1
	s_or_b32 exec_lo, exec_lo, s8
	s_branch .LBB51_1
.LBB51_30:
	s_add_nc_u64 s[0:1], s[10:11], s[12:13]
	s_wait_dscnt 0x0
	v_add_nc_u16 v2, v39, v40
	s_wait_alu 0xfffe
	v_add_co_u32 v0, s0, s0, v0
	s_wait_alu 0xf1ff
	v_add_co_ci_u32_e64 v1, null, s1, 0, s0
	global_store_b8 v[0:1], v2, off
	s_endpgm
	.section	.rodata,"a",@progbits
	.p2align	6, 0x0
	.amdhsa_kernel _Z17sort_pairs_kernelIaLj128ELj1EN10test_utils4lessELj10EEvPKT_PS2_T2_
		.amdhsa_group_segment_fixed_size 129
		.amdhsa_private_segment_fixed_size 0
		.amdhsa_kernarg_size 20
		.amdhsa_user_sgpr_count 2
		.amdhsa_user_sgpr_dispatch_ptr 0
		.amdhsa_user_sgpr_queue_ptr 0
		.amdhsa_user_sgpr_kernarg_segment_ptr 1
		.amdhsa_user_sgpr_dispatch_id 0
		.amdhsa_user_sgpr_private_segment_size 0
		.amdhsa_wavefront_size32 1
		.amdhsa_uses_dynamic_stack 0
		.amdhsa_enable_private_segment 0
		.amdhsa_system_sgpr_workgroup_id_x 1
		.amdhsa_system_sgpr_workgroup_id_y 0
		.amdhsa_system_sgpr_workgroup_id_z 0
		.amdhsa_system_sgpr_workgroup_info 0
		.amdhsa_system_vgpr_workitem_id 0
		.amdhsa_next_free_vgpr 50
		.amdhsa_next_free_sgpr 14
		.amdhsa_reserve_vcc 1
		.amdhsa_float_round_mode_32 0
		.amdhsa_float_round_mode_16_64 0
		.amdhsa_float_denorm_mode_32 3
		.amdhsa_float_denorm_mode_16_64 3
		.amdhsa_fp16_overflow 0
		.amdhsa_workgroup_processor_mode 1
		.amdhsa_memory_ordered 1
		.amdhsa_forward_progress 1
		.amdhsa_inst_pref_size 25
		.amdhsa_round_robin_scheduling 0
		.amdhsa_exception_fp_ieee_invalid_op 0
		.amdhsa_exception_fp_denorm_src 0
		.amdhsa_exception_fp_ieee_div_zero 0
		.amdhsa_exception_fp_ieee_overflow 0
		.amdhsa_exception_fp_ieee_underflow 0
		.amdhsa_exception_fp_ieee_inexact 0
		.amdhsa_exception_int_div_zero 0
	.end_amdhsa_kernel
	.section	.text._Z17sort_pairs_kernelIaLj128ELj1EN10test_utils4lessELj10EEvPKT_PS2_T2_,"axG",@progbits,_Z17sort_pairs_kernelIaLj128ELj1EN10test_utils4lessELj10EEvPKT_PS2_T2_,comdat
.Lfunc_end51:
	.size	_Z17sort_pairs_kernelIaLj128ELj1EN10test_utils4lessELj10EEvPKT_PS2_T2_, .Lfunc_end51-_Z17sort_pairs_kernelIaLj128ELj1EN10test_utils4lessELj10EEvPKT_PS2_T2_
                                        ; -- End function
	.set _Z17sort_pairs_kernelIaLj128ELj1EN10test_utils4lessELj10EEvPKT_PS2_T2_.num_vgpr, 50
	.set _Z17sort_pairs_kernelIaLj128ELj1EN10test_utils4lessELj10EEvPKT_PS2_T2_.num_agpr, 0
	.set _Z17sort_pairs_kernelIaLj128ELj1EN10test_utils4lessELj10EEvPKT_PS2_T2_.numbered_sgpr, 14
	.set _Z17sort_pairs_kernelIaLj128ELj1EN10test_utils4lessELj10EEvPKT_PS2_T2_.num_named_barrier, 0
	.set _Z17sort_pairs_kernelIaLj128ELj1EN10test_utils4lessELj10EEvPKT_PS2_T2_.private_seg_size, 0
	.set _Z17sort_pairs_kernelIaLj128ELj1EN10test_utils4lessELj10EEvPKT_PS2_T2_.uses_vcc, 1
	.set _Z17sort_pairs_kernelIaLj128ELj1EN10test_utils4lessELj10EEvPKT_PS2_T2_.uses_flat_scratch, 0
	.set _Z17sort_pairs_kernelIaLj128ELj1EN10test_utils4lessELj10EEvPKT_PS2_T2_.has_dyn_sized_stack, 0
	.set _Z17sort_pairs_kernelIaLj128ELj1EN10test_utils4lessELj10EEvPKT_PS2_T2_.has_recursion, 0
	.set _Z17sort_pairs_kernelIaLj128ELj1EN10test_utils4lessELj10EEvPKT_PS2_T2_.has_indirect_call, 0
	.section	.AMDGPU.csdata,"",@progbits
; Kernel info:
; codeLenInByte = 3104
; TotalNumSgprs: 16
; NumVgprs: 50
; ScratchSize: 0
; MemoryBound: 0
; FloatMode: 240
; IeeeMode: 1
; LDSByteSize: 129 bytes/workgroup (compile time only)
; SGPRBlocks: 0
; VGPRBlocks: 6
; NumSGPRsForWavesPerEU: 16
; NumVGPRsForWavesPerEU: 50
; Occupancy: 16
; WaveLimiterHint : 0
; COMPUTE_PGM_RSRC2:SCRATCH_EN: 0
; COMPUTE_PGM_RSRC2:USER_SGPR: 2
; COMPUTE_PGM_RSRC2:TRAP_HANDLER: 0
; COMPUTE_PGM_RSRC2:TGID_X_EN: 1
; COMPUTE_PGM_RSRC2:TGID_Y_EN: 0
; COMPUTE_PGM_RSRC2:TGID_Z_EN: 0
; COMPUTE_PGM_RSRC2:TIDIG_COMP_CNT: 0
	.section	.text._Z16sort_keys_kernelIaLj128ELj2EN10test_utils4lessELj10EEvPKT_PS2_T2_,"axG",@progbits,_Z16sort_keys_kernelIaLj128ELj2EN10test_utils4lessELj10EEvPKT_PS2_T2_,comdat
	.protected	_Z16sort_keys_kernelIaLj128ELj2EN10test_utils4lessELj10EEvPKT_PS2_T2_ ; -- Begin function _Z16sort_keys_kernelIaLj128ELj2EN10test_utils4lessELj10EEvPKT_PS2_T2_
	.globl	_Z16sort_keys_kernelIaLj128ELj2EN10test_utils4lessELj10EEvPKT_PS2_T2_
	.p2align	8
	.type	_Z16sort_keys_kernelIaLj128ELj2EN10test_utils4lessELj10EEvPKT_PS2_T2_,@function
_Z16sort_keys_kernelIaLj128ELj2EN10test_utils4lessELj10EEvPKT_PS2_T2_: ; @_Z16sort_keys_kernelIaLj128ELj2EN10test_utils4lessELj10EEvPKT_PS2_T2_
; %bb.0:
	s_load_b128 s[8:11], s[0:1], 0x0
	s_lshl_b32 s12, ttmp9, 8
	s_mov_b32 s13, 0
	v_lshlrev_b32_e32 v1, 1, v0
	s_mov_b32 s14, s13
	s_delay_alu instid0(VALU_DEP_1) | instskip(SKIP_1) | instid1(VALU_DEP_2)
	v_and_b32_e32 v2, 0xfc, v1
	v_and_b32_e32 v13, 2, v1
	v_or_b32_e32 v3, 2, v2
	v_add_nc_u32_e32 v4, 4, v2
	s_delay_alu instid0(VALU_DEP_2) | instskip(NEXT) | instid1(VALU_DEP_2)
	v_sub_nc_u32_e32 v8, v3, v2
	v_sub_nc_u32_e32 v6, v4, v3
	s_wait_kmcnt 0x0
	s_add_nc_u64 s[0:1], s[8:9], s[12:13]
	s_clause 0x1
	global_load_u8 v42, v0, s[0:1] offset:128
	global_load_u8 v41, v0, s[0:1]
	v_sub_nc_u32_e32 v7, v13, v6
	v_cmp_ge_i32_e32 vcc_lo, v13, v6
	s_delay_alu instid0(VALU_DEP_2)
	v_dual_cndmask_b32 v6, 0, v7 :: v_dual_and_b32 v5, 0xf8, v1
	v_min_i32_e32 v7, v13, v8
	v_and_b32_e32 v10, 0xf0, v1
	v_and_b32_e32 v21, 6, v1
	;; [unrolled: 1-line block ×3, first 2 shown]
	v_or_b32_e32 v8, 4, v5
	v_add_nc_u32_e32 v9, 8, v5
	v_or_b32_e32 v11, 8, v10
	v_add_nc_u32_e32 v12, 16, v10
	v_and_b32_e32 v22, 14, v1
	v_add_nc_u32_e32 v18, 32, v14
	v_sub_nc_u32_e32 v15, v9, v8
	v_sub_nc_u32_e32 v23, v11, v10
	;; [unrolled: 1-line block ×3, first 2 shown]
	v_and_b32_e32 v31, 30, v1
	v_and_b32_e32 v24, 0x80, v1
	v_sub_nc_u32_e32 v17, v21, v15
	v_cmp_ge_i32_e64 s0, v21, v15
	v_sub_nc_u32_e32 v20, v22, v19
	v_and_b32_e32 v38, 62, v1
	v_or_b32_e32 v29, 64, v24
	v_add_nc_u32_e32 v30, 0x80, v24
	v_cndmask_b32_e64 v15, 0, v17, s0
	v_or_b32_e32 v17, 16, v14
	v_cmp_ge_i32_e64 s0, v22, v19
	v_and_b32_e32 v39, 0x7e, v1
	v_sub_nc_u32_e32 v34, v30, v29
	v_sub_nc_u32_e32 v16, v8, v5
	;; [unrolled: 1-line block ×3, first 2 shown]
	s_wait_alu 0xf1ff
	v_cndmask_b32_e64 v19, 0, v20, s0
	v_min_i32_e32 v20, v22, v23
	v_and_b32_e32 v23, 0xc0, v1
	v_sub_nc_u32_e32 v28, v17, v14
	v_sub_nc_u32_e32 v26, v31, v25
	v_cmp_ge_i32_e64 s2, v31, v25
	v_sub_nc_u32_e32 v36, v29, v24
	v_add_nc_u32_e32 v27, 64, v23
	v_sub_nc_u32_e32 v37, v39, v34
	v_min_i32_e32 v16, v21, v16
	v_cndmask_b32_e64 v25, 0, v26, s2
	v_or_b32_e32 v26, 32, v23
	v_min_i32_e32 v28, v31, v28
	v_add_nc_u32_e32 v13, v3, v13
	v_cmp_lt_i32_e64 s0, v15, v16
	v_add_nc_u32_e32 v21, v8, v21
	v_sub_nc_u32_e32 v32, v27, v26
	v_sub_nc_u32_e32 v35, v26, v23
	v_cmp_lt_i32_e64 s1, v19, v20
	v_add_nc_u32_e32 v22, v11, v22
	v_cmp_lt_i32_e64 s2, v25, v28
	v_sub_nc_u32_e32 v33, v38, v32
	v_cmp_ge_i32_e64 s3, v38, v32
	v_add_nc_u32_e32 v31, v17, v31
	v_add_nc_u32_e32 v40, 0x80, v1
	v_cmp_lt_i32_e32 vcc_lo, v6, v7
	s_wait_alu 0xf1ff
	v_cndmask_b32_e64 v32, 0, v33, s3
	v_cmp_ge_i32_e64 s3, v39, v34
	v_min_i32_e32 v33, v38, v35
	v_min_i32_e32 v35, v39, v36
	v_subrev_nc_u32_e64 v36, 0x80, v1 clamp
	v_add_nc_u32_e32 v38, v26, v38
	s_wait_alu 0xf1ff
	v_cndmask_b32_e64 v34, 0, v37, s3
	v_min_i32_e32 v37, 0x80, v1
	v_cmp_lt_i32_e64 s3, v32, v33
	v_add_nc_u32_e32 v39, v29, v39
	s_delay_alu instid0(VALU_DEP_4) | instskip(NEXT) | instid1(VALU_DEP_4)
	v_cmp_lt_i32_e64 s4, v34, v35
	v_cmp_lt_i32_e64 s5, v36, v37
	s_branch .LBB52_2
.LBB52_1:                               ;   in Loop: Header=BB52_2 Depth=1
	s_or_b32 exec_lo, exec_lo, s7
	s_wait_dscnt 0x0
	s_delay_alu instid0(VALU_DEP_1)
	v_bfe_i32 v41, v45, 0, 8
	v_bfe_i32 v48, v47, 0, 8
	v_cmp_le_i32_e64 s7, 0x80, v46
	v_cmp_gt_i32_e64 s9, 0x100, v43
	s_add_co_i32 s14, s14, 1
	v_cmp_lt_i16_e64 s8, v48, v41
	v_cndmask_b32_e64 v41, v42, v44, s6
	s_or_b32 s7, s7, s8
	s_wait_alu 0xfffe
	s_and_b32 s6, s9, s7
	s_cmp_eq_u32 s14, 10
	s_wait_alu 0xfffe
	v_cndmask_b32_e64 v42, v45, v47, s6
	s_cbranch_scc1 .LBB52_58
.LBB52_2:                               ; =>This Loop Header: Depth=1
                                        ;     Child Loop BB52_4 Depth 2
                                        ;     Child Loop BB52_12 Depth 2
                                        ;     Child Loop BB52_20 Depth 2
                                        ;     Child Loop BB52_28 Depth 2
                                        ;     Child Loop BB52_36 Depth 2
                                        ;     Child Loop BB52_44 Depth 2
                                        ;     Child Loop BB52_52 Depth 2
	s_wait_loadcnt 0x0
	v_bfe_i32 v43, v41, 0, 8
	s_delay_alu instid0(VALU_DEP_2) | instskip(SKIP_3) | instid1(VALU_DEP_4)
	v_bfe_i32 v44, v42, 0, 8
	v_perm_b32 v45, v42, v41, 0xc0c0004
	v_perm_b32 v41, v41, v42, 0xc0c0004
	v_mov_b32_e32 v42, v6
	v_cmp_lt_i16_e64 s6, v44, v43
	s_barrier_signal -1
	s_barrier_wait -1
	global_inv scope:SCOPE_SE
	s_wait_alu 0xf1ff
	v_cndmask_b32_e64 v41, v41, v45, s6
	s_delay_alu instid0(VALU_DEP_1)
	v_lshrrev_b16 v43, 8, v41
	ds_store_b8 v1, v41
	ds_store_b8 v1, v43 offset:1
	s_wait_loadcnt_dscnt 0x0
	s_barrier_signal -1
	s_barrier_wait -1
	global_inv scope:SCOPE_SE
	s_and_saveexec_b32 s7, vcc_lo
	s_cbranch_execz .LBB52_6
; %bb.3:                                ;   in Loop: Header=BB52_2 Depth=1
	v_dual_mov_b32 v42, v6 :: v_dual_mov_b32 v41, v7
	s_mov_b32 s8, 0
.LBB52_4:                               ;   Parent Loop BB52_2 Depth=1
                                        ; =>  This Inner Loop Header: Depth=2
	s_delay_alu instid0(VALU_DEP_1) | instskip(NEXT) | instid1(VALU_DEP_1)
	v_sub_nc_u32_e32 v43, v41, v42
	v_lshrrev_b32_e32 v43, 1, v43
	s_delay_alu instid0(VALU_DEP_1) | instskip(NEXT) | instid1(VALU_DEP_1)
	v_add_nc_u32_e32 v43, v43, v42
	v_add_nc_u32_e32 v44, v2, v43
	v_xad_u32 v45, v43, -1, v13
	v_add_nc_u32_e32 v46, 1, v43
	ds_load_i8 v44, v44
	ds_load_i8 v45, v45
	s_wait_dscnt 0x0
	v_cmp_lt_i16_e64 s6, v45, v44
	s_wait_alu 0xf1ff
	s_delay_alu instid0(VALU_DEP_1) | instskip(SKIP_1) | instid1(VALU_DEP_1)
	v_cndmask_b32_e64 v41, v41, v43, s6
	v_cndmask_b32_e64 v42, v46, v42, s6
	v_cmp_ge_i32_e64 s6, v42, v41
	s_or_b32 s8, s6, s8
	s_delay_alu instid0(SALU_CYCLE_1)
	s_and_not1_b32 exec_lo, exec_lo, s8
	s_cbranch_execnz .LBB52_4
; %bb.5:                                ;   in Loop: Header=BB52_2 Depth=1
	s_or_b32 exec_lo, exec_lo, s8
.LBB52_6:                               ;   in Loop: Header=BB52_2 Depth=1
	s_wait_alu 0xfffe
	s_or_b32 exec_lo, exec_lo, s7
	v_add_nc_u32_e32 v41, v42, v2
	v_sub_nc_u32_e32 v42, v13, v42
                                        ; implicit-def: $vgpr45
	ds_load_u8 v43, v41
	ds_load_u8 v44, v42
	v_cmp_le_i32_e64 s6, v3, v41
	v_cmp_gt_i32_e64 s8, v4, v42
	s_wait_dscnt 0x1
	v_bfe_i32 v43, v43, 0, 8
	s_wait_dscnt 0x0
	v_bfe_i32 v44, v44, 0, 8
	s_delay_alu instid0(VALU_DEP_1)
	v_cmp_lt_i16_e64 s7, v44, v43
	s_or_b32 s6, s6, s7
	s_wait_alu 0xfffe
	s_and_b32 s6, s8, s6
	s_wait_alu 0xfffe
	s_xor_b32 s7, s6, -1
	s_wait_alu 0xfffe
	s_and_saveexec_b32 s8, s7
	s_delay_alu instid0(SALU_CYCLE_1)
	s_xor_b32 s7, exec_lo, s8
; %bb.7:                                ;   in Loop: Header=BB52_2 Depth=1
	ds_load_u8 v45, v41 offset:1
; %bb.8:                                ;   in Loop: Header=BB52_2 Depth=1
	s_wait_alu 0xfffe
	s_or_saveexec_b32 s7, s7
	v_mov_b32_e32 v46, v44
	s_wait_alu 0xfffe
	s_xor_b32 exec_lo, exec_lo, s7
	s_cbranch_execz .LBB52_10
; %bb.9:                                ;   in Loop: Header=BB52_2 Depth=1
	ds_load_u8 v46, v42 offset:1
	s_wait_dscnt 0x1
	v_mov_b32_e32 v45, v43
.LBB52_10:                              ;   in Loop: Header=BB52_2 Depth=1
	s_or_b32 exec_lo, exec_lo, s7
	v_add_nc_u32_e32 v48, 1, v42
	v_add_nc_u32_e32 v47, 1, v41
	s_wait_dscnt 0x0
	v_bfe_i32 v49, v45, 0, 8
	v_bfe_i32 v50, v46, 0, 8
	s_wait_loadcnt 0x0
	v_cndmask_b32_e64 v42, v42, v48, s6
	s_barrier_signal -1
	s_barrier_wait -1
	v_cmp_lt_i16_e64 s7, v50, v49
	global_inv scope:SCOPE_SE
	v_cmp_lt_i32_e64 s9, v42, v4
	v_mov_b32_e32 v42, v15
	v_cndmask_b32_e64 v41, v47, v41, s6
	s_delay_alu instid0(VALU_DEP_1)
	v_cmp_ge_i32_e64 s8, v41, v3
	v_cndmask_b32_e64 v41, v43, v44, s6
	s_or_b32 s6, s8, s7
	s_wait_alu 0xfffe
	s_and_b32 s6, s9, s6
	s_wait_alu 0xfffe
	v_cndmask_b32_e64 v43, v45, v46, s6
	ds_store_b8 v1, v41
	ds_store_b8 v1, v43 offset:1
	s_wait_loadcnt_dscnt 0x0
	s_barrier_signal -1
	s_barrier_wait -1
	global_inv scope:SCOPE_SE
	s_and_saveexec_b32 s7, s0
	s_cbranch_execz .LBB52_14
; %bb.11:                               ;   in Loop: Header=BB52_2 Depth=1
	v_dual_mov_b32 v42, v15 :: v_dual_mov_b32 v41, v16
	s_mov_b32 s8, 0
.LBB52_12:                              ;   Parent Loop BB52_2 Depth=1
                                        ; =>  This Inner Loop Header: Depth=2
	s_delay_alu instid0(VALU_DEP_1) | instskip(NEXT) | instid1(VALU_DEP_1)
	v_sub_nc_u32_e32 v43, v41, v42
	v_lshrrev_b32_e32 v43, 1, v43
	s_delay_alu instid0(VALU_DEP_1) | instskip(NEXT) | instid1(VALU_DEP_1)
	v_add_nc_u32_e32 v43, v43, v42
	v_add_nc_u32_e32 v44, v5, v43
	v_xad_u32 v45, v43, -1, v21
	v_add_nc_u32_e32 v46, 1, v43
	ds_load_i8 v44, v44
	ds_load_i8 v45, v45
	s_wait_dscnt 0x0
	v_cmp_lt_i16_e64 s6, v45, v44
	s_wait_alu 0xf1ff
	s_delay_alu instid0(VALU_DEP_1) | instskip(SKIP_1) | instid1(VALU_DEP_1)
	v_cndmask_b32_e64 v41, v41, v43, s6
	v_cndmask_b32_e64 v42, v46, v42, s6
	v_cmp_ge_i32_e64 s6, v42, v41
	s_or_b32 s8, s6, s8
	s_delay_alu instid0(SALU_CYCLE_1)
	s_and_not1_b32 exec_lo, exec_lo, s8
	s_cbranch_execnz .LBB52_12
; %bb.13:                               ;   in Loop: Header=BB52_2 Depth=1
	s_or_b32 exec_lo, exec_lo, s8
.LBB52_14:                              ;   in Loop: Header=BB52_2 Depth=1
	s_wait_alu 0xfffe
	s_or_b32 exec_lo, exec_lo, s7
	v_add_nc_u32_e32 v41, v42, v5
	v_sub_nc_u32_e32 v42, v21, v42
                                        ; implicit-def: $vgpr45
	ds_load_u8 v43, v41
	ds_load_u8 v44, v42
	v_cmp_le_i32_e64 s6, v8, v41
	v_cmp_gt_i32_e64 s8, v9, v42
	s_wait_dscnt 0x1
	v_bfe_i32 v43, v43, 0, 8
	s_wait_dscnt 0x0
	v_bfe_i32 v44, v44, 0, 8
	s_delay_alu instid0(VALU_DEP_1)
	v_cmp_lt_i16_e64 s7, v44, v43
	s_or_b32 s6, s6, s7
	s_wait_alu 0xfffe
	s_and_b32 s6, s8, s6
	s_wait_alu 0xfffe
	s_xor_b32 s7, s6, -1
	s_wait_alu 0xfffe
	s_and_saveexec_b32 s8, s7
	s_delay_alu instid0(SALU_CYCLE_1)
	s_xor_b32 s7, exec_lo, s8
; %bb.15:                               ;   in Loop: Header=BB52_2 Depth=1
	ds_load_u8 v45, v41 offset:1
; %bb.16:                               ;   in Loop: Header=BB52_2 Depth=1
	s_wait_alu 0xfffe
	s_or_saveexec_b32 s7, s7
	v_mov_b32_e32 v46, v44
	s_wait_alu 0xfffe
	s_xor_b32 exec_lo, exec_lo, s7
	s_cbranch_execz .LBB52_18
; %bb.17:                               ;   in Loop: Header=BB52_2 Depth=1
	ds_load_u8 v46, v42 offset:1
	s_wait_dscnt 0x1
	v_mov_b32_e32 v45, v43
.LBB52_18:                              ;   in Loop: Header=BB52_2 Depth=1
	s_or_b32 exec_lo, exec_lo, s7
	v_add_nc_u32_e32 v48, 1, v42
	v_add_nc_u32_e32 v47, 1, v41
	s_wait_dscnt 0x0
	v_bfe_i32 v49, v45, 0, 8
	v_bfe_i32 v50, v46, 0, 8
	s_wait_loadcnt 0x0
	v_cndmask_b32_e64 v42, v42, v48, s6
	s_barrier_signal -1
	s_barrier_wait -1
	v_cmp_lt_i16_e64 s7, v50, v49
	global_inv scope:SCOPE_SE
	v_cmp_lt_i32_e64 s9, v42, v9
	v_mov_b32_e32 v42, v19
	v_cndmask_b32_e64 v41, v47, v41, s6
	s_delay_alu instid0(VALU_DEP_1)
	v_cmp_ge_i32_e64 s8, v41, v8
	v_cndmask_b32_e64 v41, v43, v44, s6
	s_or_b32 s6, s8, s7
	s_wait_alu 0xfffe
	s_and_b32 s6, s9, s6
	s_wait_alu 0xfffe
	v_cndmask_b32_e64 v43, v45, v46, s6
	ds_store_b8 v1, v41
	ds_store_b8 v1, v43 offset:1
	s_wait_loadcnt_dscnt 0x0
	s_barrier_signal -1
	s_barrier_wait -1
	global_inv scope:SCOPE_SE
	s_and_saveexec_b32 s7, s1
	s_cbranch_execz .LBB52_22
; %bb.19:                               ;   in Loop: Header=BB52_2 Depth=1
	v_dual_mov_b32 v42, v19 :: v_dual_mov_b32 v41, v20
	s_mov_b32 s8, 0
.LBB52_20:                              ;   Parent Loop BB52_2 Depth=1
                                        ; =>  This Inner Loop Header: Depth=2
	s_delay_alu instid0(VALU_DEP_1) | instskip(NEXT) | instid1(VALU_DEP_1)
	v_sub_nc_u32_e32 v43, v41, v42
	v_lshrrev_b32_e32 v43, 1, v43
	s_delay_alu instid0(VALU_DEP_1) | instskip(NEXT) | instid1(VALU_DEP_1)
	v_add_nc_u32_e32 v43, v43, v42
	v_add_nc_u32_e32 v44, v10, v43
	v_xad_u32 v45, v43, -1, v22
	v_add_nc_u32_e32 v46, 1, v43
	ds_load_i8 v44, v44
	ds_load_i8 v45, v45
	s_wait_dscnt 0x0
	v_cmp_lt_i16_e64 s6, v45, v44
	s_wait_alu 0xf1ff
	s_delay_alu instid0(VALU_DEP_1) | instskip(SKIP_1) | instid1(VALU_DEP_1)
	v_cndmask_b32_e64 v41, v41, v43, s6
	v_cndmask_b32_e64 v42, v46, v42, s6
	v_cmp_ge_i32_e64 s6, v42, v41
	s_or_b32 s8, s6, s8
	s_delay_alu instid0(SALU_CYCLE_1)
	s_and_not1_b32 exec_lo, exec_lo, s8
	s_cbranch_execnz .LBB52_20
; %bb.21:                               ;   in Loop: Header=BB52_2 Depth=1
	s_or_b32 exec_lo, exec_lo, s8
.LBB52_22:                              ;   in Loop: Header=BB52_2 Depth=1
	s_wait_alu 0xfffe
	s_or_b32 exec_lo, exec_lo, s7
	v_add_nc_u32_e32 v41, v42, v10
	v_sub_nc_u32_e32 v42, v22, v42
                                        ; implicit-def: $vgpr45
	ds_load_u8 v43, v41
	ds_load_u8 v44, v42
	v_cmp_le_i32_e64 s6, v11, v41
	v_cmp_gt_i32_e64 s8, v12, v42
	s_wait_dscnt 0x1
	v_bfe_i32 v43, v43, 0, 8
	s_wait_dscnt 0x0
	v_bfe_i32 v44, v44, 0, 8
	s_delay_alu instid0(VALU_DEP_1)
	v_cmp_lt_i16_e64 s7, v44, v43
	s_or_b32 s6, s6, s7
	s_wait_alu 0xfffe
	s_and_b32 s6, s8, s6
	s_wait_alu 0xfffe
	s_xor_b32 s7, s6, -1
	s_wait_alu 0xfffe
	s_and_saveexec_b32 s8, s7
	s_delay_alu instid0(SALU_CYCLE_1)
	s_xor_b32 s7, exec_lo, s8
; %bb.23:                               ;   in Loop: Header=BB52_2 Depth=1
	ds_load_u8 v45, v41 offset:1
; %bb.24:                               ;   in Loop: Header=BB52_2 Depth=1
	s_wait_alu 0xfffe
	s_or_saveexec_b32 s7, s7
	v_mov_b32_e32 v46, v44
	s_wait_alu 0xfffe
	s_xor_b32 exec_lo, exec_lo, s7
	s_cbranch_execz .LBB52_26
; %bb.25:                               ;   in Loop: Header=BB52_2 Depth=1
	ds_load_u8 v46, v42 offset:1
	s_wait_dscnt 0x1
	v_mov_b32_e32 v45, v43
.LBB52_26:                              ;   in Loop: Header=BB52_2 Depth=1
	s_or_b32 exec_lo, exec_lo, s7
	v_add_nc_u32_e32 v48, 1, v42
	v_add_nc_u32_e32 v47, 1, v41
	s_wait_dscnt 0x0
	v_bfe_i32 v49, v45, 0, 8
	v_bfe_i32 v50, v46, 0, 8
	s_wait_loadcnt 0x0
	v_cndmask_b32_e64 v42, v42, v48, s6
	s_barrier_signal -1
	s_barrier_wait -1
	v_cmp_lt_i16_e64 s7, v50, v49
	global_inv scope:SCOPE_SE
	v_cmp_lt_i32_e64 s9, v42, v12
	v_mov_b32_e32 v42, v25
	v_cndmask_b32_e64 v41, v47, v41, s6
	s_delay_alu instid0(VALU_DEP_1)
	v_cmp_ge_i32_e64 s8, v41, v11
	v_cndmask_b32_e64 v41, v43, v44, s6
	s_or_b32 s6, s8, s7
	s_wait_alu 0xfffe
	s_and_b32 s6, s9, s6
	s_wait_alu 0xfffe
	v_cndmask_b32_e64 v43, v45, v46, s6
	ds_store_b8 v1, v41
	ds_store_b8 v1, v43 offset:1
	s_wait_loadcnt_dscnt 0x0
	s_barrier_signal -1
	s_barrier_wait -1
	global_inv scope:SCOPE_SE
	s_and_saveexec_b32 s7, s2
	s_cbranch_execz .LBB52_30
; %bb.27:                               ;   in Loop: Header=BB52_2 Depth=1
	v_dual_mov_b32 v42, v25 :: v_dual_mov_b32 v41, v28
	s_mov_b32 s8, 0
.LBB52_28:                              ;   Parent Loop BB52_2 Depth=1
                                        ; =>  This Inner Loop Header: Depth=2
	s_delay_alu instid0(VALU_DEP_1) | instskip(NEXT) | instid1(VALU_DEP_1)
	v_sub_nc_u32_e32 v43, v41, v42
	v_lshrrev_b32_e32 v43, 1, v43
	s_delay_alu instid0(VALU_DEP_1) | instskip(NEXT) | instid1(VALU_DEP_1)
	v_add_nc_u32_e32 v43, v43, v42
	v_add_nc_u32_e32 v44, v14, v43
	v_xad_u32 v45, v43, -1, v31
	v_add_nc_u32_e32 v46, 1, v43
	ds_load_i8 v44, v44
	ds_load_i8 v45, v45
	s_wait_dscnt 0x0
	v_cmp_lt_i16_e64 s6, v45, v44
	s_wait_alu 0xf1ff
	s_delay_alu instid0(VALU_DEP_1) | instskip(SKIP_1) | instid1(VALU_DEP_1)
	v_cndmask_b32_e64 v41, v41, v43, s6
	v_cndmask_b32_e64 v42, v46, v42, s6
	v_cmp_ge_i32_e64 s6, v42, v41
	s_or_b32 s8, s6, s8
	s_delay_alu instid0(SALU_CYCLE_1)
	s_and_not1_b32 exec_lo, exec_lo, s8
	s_cbranch_execnz .LBB52_28
; %bb.29:                               ;   in Loop: Header=BB52_2 Depth=1
	s_or_b32 exec_lo, exec_lo, s8
.LBB52_30:                              ;   in Loop: Header=BB52_2 Depth=1
	s_wait_alu 0xfffe
	s_or_b32 exec_lo, exec_lo, s7
	v_add_nc_u32_e32 v41, v42, v14
	v_sub_nc_u32_e32 v42, v31, v42
                                        ; implicit-def: $vgpr45
	ds_load_u8 v43, v41
	ds_load_u8 v44, v42
	v_cmp_le_i32_e64 s6, v17, v41
	v_cmp_gt_i32_e64 s8, v18, v42
	s_wait_dscnt 0x1
	v_bfe_i32 v43, v43, 0, 8
	s_wait_dscnt 0x0
	v_bfe_i32 v44, v44, 0, 8
	s_delay_alu instid0(VALU_DEP_1)
	v_cmp_lt_i16_e64 s7, v44, v43
	s_or_b32 s6, s6, s7
	s_wait_alu 0xfffe
	s_and_b32 s6, s8, s6
	s_wait_alu 0xfffe
	s_xor_b32 s7, s6, -1
	s_wait_alu 0xfffe
	s_and_saveexec_b32 s8, s7
	s_delay_alu instid0(SALU_CYCLE_1)
	s_xor_b32 s7, exec_lo, s8
; %bb.31:                               ;   in Loop: Header=BB52_2 Depth=1
	ds_load_u8 v45, v41 offset:1
; %bb.32:                               ;   in Loop: Header=BB52_2 Depth=1
	s_wait_alu 0xfffe
	s_or_saveexec_b32 s7, s7
	v_mov_b32_e32 v46, v44
	s_wait_alu 0xfffe
	s_xor_b32 exec_lo, exec_lo, s7
	s_cbranch_execz .LBB52_34
; %bb.33:                               ;   in Loop: Header=BB52_2 Depth=1
	ds_load_u8 v46, v42 offset:1
	s_wait_dscnt 0x1
	v_mov_b32_e32 v45, v43
.LBB52_34:                              ;   in Loop: Header=BB52_2 Depth=1
	s_or_b32 exec_lo, exec_lo, s7
	v_add_nc_u32_e32 v48, 1, v42
	v_add_nc_u32_e32 v47, 1, v41
	s_wait_dscnt 0x0
	v_bfe_i32 v49, v45, 0, 8
	v_bfe_i32 v50, v46, 0, 8
	s_wait_loadcnt 0x0
	v_cndmask_b32_e64 v42, v42, v48, s6
	s_barrier_signal -1
	s_barrier_wait -1
	v_cmp_lt_i16_e64 s7, v50, v49
	global_inv scope:SCOPE_SE
	v_cmp_lt_i32_e64 s9, v42, v18
	v_mov_b32_e32 v42, v32
	v_cndmask_b32_e64 v41, v47, v41, s6
	s_delay_alu instid0(VALU_DEP_1)
	v_cmp_ge_i32_e64 s8, v41, v17
	v_cndmask_b32_e64 v41, v43, v44, s6
	s_or_b32 s6, s8, s7
	s_wait_alu 0xfffe
	s_and_b32 s6, s9, s6
	s_wait_alu 0xfffe
	v_cndmask_b32_e64 v43, v45, v46, s6
	ds_store_b8 v1, v41
	ds_store_b8 v1, v43 offset:1
	s_wait_loadcnt_dscnt 0x0
	s_barrier_signal -1
	s_barrier_wait -1
	global_inv scope:SCOPE_SE
	s_and_saveexec_b32 s7, s3
	s_cbranch_execz .LBB52_38
; %bb.35:                               ;   in Loop: Header=BB52_2 Depth=1
	v_dual_mov_b32 v42, v32 :: v_dual_mov_b32 v41, v33
	s_mov_b32 s8, 0
.LBB52_36:                              ;   Parent Loop BB52_2 Depth=1
                                        ; =>  This Inner Loop Header: Depth=2
	s_delay_alu instid0(VALU_DEP_1) | instskip(NEXT) | instid1(VALU_DEP_1)
	v_sub_nc_u32_e32 v43, v41, v42
	v_lshrrev_b32_e32 v43, 1, v43
	s_delay_alu instid0(VALU_DEP_1) | instskip(NEXT) | instid1(VALU_DEP_1)
	v_add_nc_u32_e32 v43, v43, v42
	v_add_nc_u32_e32 v44, v23, v43
	v_xad_u32 v45, v43, -1, v38
	v_add_nc_u32_e32 v46, 1, v43
	ds_load_i8 v44, v44
	ds_load_i8 v45, v45
	s_wait_dscnt 0x0
	v_cmp_lt_i16_e64 s6, v45, v44
	s_wait_alu 0xf1ff
	s_delay_alu instid0(VALU_DEP_1) | instskip(SKIP_1) | instid1(VALU_DEP_1)
	v_cndmask_b32_e64 v41, v41, v43, s6
	v_cndmask_b32_e64 v42, v46, v42, s6
	v_cmp_ge_i32_e64 s6, v42, v41
	s_or_b32 s8, s6, s8
	s_delay_alu instid0(SALU_CYCLE_1)
	s_and_not1_b32 exec_lo, exec_lo, s8
	s_cbranch_execnz .LBB52_36
; %bb.37:                               ;   in Loop: Header=BB52_2 Depth=1
	s_or_b32 exec_lo, exec_lo, s8
.LBB52_38:                              ;   in Loop: Header=BB52_2 Depth=1
	s_wait_alu 0xfffe
	s_or_b32 exec_lo, exec_lo, s7
	v_add_nc_u32_e32 v41, v42, v23
	v_sub_nc_u32_e32 v42, v38, v42
                                        ; implicit-def: $vgpr45
	ds_load_u8 v43, v41
	ds_load_u8 v44, v42
	v_cmp_le_i32_e64 s6, v26, v41
	v_cmp_gt_i32_e64 s8, v27, v42
	s_wait_dscnt 0x1
	v_bfe_i32 v43, v43, 0, 8
	s_wait_dscnt 0x0
	v_bfe_i32 v44, v44, 0, 8
	s_delay_alu instid0(VALU_DEP_1)
	v_cmp_lt_i16_e64 s7, v44, v43
	s_or_b32 s6, s6, s7
	s_wait_alu 0xfffe
	s_and_b32 s6, s8, s6
	s_wait_alu 0xfffe
	s_xor_b32 s7, s6, -1
	s_wait_alu 0xfffe
	s_and_saveexec_b32 s8, s7
	s_delay_alu instid0(SALU_CYCLE_1)
	s_xor_b32 s7, exec_lo, s8
; %bb.39:                               ;   in Loop: Header=BB52_2 Depth=1
	ds_load_u8 v45, v41 offset:1
; %bb.40:                               ;   in Loop: Header=BB52_2 Depth=1
	s_wait_alu 0xfffe
	s_or_saveexec_b32 s7, s7
	v_mov_b32_e32 v46, v44
	s_wait_alu 0xfffe
	s_xor_b32 exec_lo, exec_lo, s7
	s_cbranch_execz .LBB52_42
; %bb.41:                               ;   in Loop: Header=BB52_2 Depth=1
	ds_load_u8 v46, v42 offset:1
	s_wait_dscnt 0x1
	v_mov_b32_e32 v45, v43
.LBB52_42:                              ;   in Loop: Header=BB52_2 Depth=1
	s_or_b32 exec_lo, exec_lo, s7
	v_add_nc_u32_e32 v48, 1, v42
	v_add_nc_u32_e32 v47, 1, v41
	s_wait_dscnt 0x0
	v_bfe_i32 v49, v45, 0, 8
	v_bfe_i32 v50, v46, 0, 8
	s_wait_loadcnt 0x0
	v_cndmask_b32_e64 v42, v42, v48, s6
	s_barrier_signal -1
	s_barrier_wait -1
	v_cmp_lt_i16_e64 s7, v50, v49
	global_inv scope:SCOPE_SE
	v_cmp_lt_i32_e64 s9, v42, v27
	v_mov_b32_e32 v42, v34
	v_cndmask_b32_e64 v41, v47, v41, s6
	s_delay_alu instid0(VALU_DEP_1)
	v_cmp_ge_i32_e64 s8, v41, v26
	v_cndmask_b32_e64 v41, v43, v44, s6
	s_or_b32 s6, s8, s7
	s_wait_alu 0xfffe
	s_and_b32 s6, s9, s6
	s_wait_alu 0xfffe
	v_cndmask_b32_e64 v43, v45, v46, s6
	ds_store_b8 v1, v41
	ds_store_b8 v1, v43 offset:1
	s_wait_loadcnt_dscnt 0x0
	s_barrier_signal -1
	s_barrier_wait -1
	global_inv scope:SCOPE_SE
	s_and_saveexec_b32 s7, s4
	s_cbranch_execz .LBB52_46
; %bb.43:                               ;   in Loop: Header=BB52_2 Depth=1
	v_dual_mov_b32 v42, v34 :: v_dual_mov_b32 v41, v35
	s_mov_b32 s8, 0
.LBB52_44:                              ;   Parent Loop BB52_2 Depth=1
                                        ; =>  This Inner Loop Header: Depth=2
	s_delay_alu instid0(VALU_DEP_1) | instskip(NEXT) | instid1(VALU_DEP_1)
	v_sub_nc_u32_e32 v43, v41, v42
	v_lshrrev_b32_e32 v43, 1, v43
	s_delay_alu instid0(VALU_DEP_1) | instskip(NEXT) | instid1(VALU_DEP_1)
	v_add_nc_u32_e32 v43, v43, v42
	v_add_nc_u32_e32 v44, v24, v43
	v_xad_u32 v45, v43, -1, v39
	v_add_nc_u32_e32 v46, 1, v43
	ds_load_i8 v44, v44
	ds_load_i8 v45, v45
	s_wait_dscnt 0x0
	v_cmp_lt_i16_e64 s6, v45, v44
	s_wait_alu 0xf1ff
	s_delay_alu instid0(VALU_DEP_1) | instskip(SKIP_1) | instid1(VALU_DEP_1)
	v_cndmask_b32_e64 v41, v41, v43, s6
	v_cndmask_b32_e64 v42, v46, v42, s6
	v_cmp_ge_i32_e64 s6, v42, v41
	s_or_b32 s8, s6, s8
	s_delay_alu instid0(SALU_CYCLE_1)
	s_and_not1_b32 exec_lo, exec_lo, s8
	s_cbranch_execnz .LBB52_44
; %bb.45:                               ;   in Loop: Header=BB52_2 Depth=1
	s_or_b32 exec_lo, exec_lo, s8
.LBB52_46:                              ;   in Loop: Header=BB52_2 Depth=1
	s_wait_alu 0xfffe
	s_or_b32 exec_lo, exec_lo, s7
	v_add_nc_u32_e32 v41, v42, v24
	v_sub_nc_u32_e32 v42, v39, v42
                                        ; implicit-def: $vgpr45
	ds_load_u8 v43, v41
	ds_load_u8 v44, v42
	v_cmp_le_i32_e64 s6, v29, v41
	v_cmp_gt_i32_e64 s8, v30, v42
	s_wait_dscnt 0x1
	v_bfe_i32 v43, v43, 0, 8
	s_wait_dscnt 0x0
	v_bfe_i32 v44, v44, 0, 8
	s_delay_alu instid0(VALU_DEP_1)
	v_cmp_lt_i16_e64 s7, v44, v43
	s_or_b32 s6, s6, s7
	s_wait_alu 0xfffe
	s_and_b32 s6, s8, s6
	s_wait_alu 0xfffe
	s_xor_b32 s7, s6, -1
	s_wait_alu 0xfffe
	s_and_saveexec_b32 s8, s7
	s_delay_alu instid0(SALU_CYCLE_1)
	s_xor_b32 s7, exec_lo, s8
; %bb.47:                               ;   in Loop: Header=BB52_2 Depth=1
	ds_load_u8 v45, v41 offset:1
; %bb.48:                               ;   in Loop: Header=BB52_2 Depth=1
	s_wait_alu 0xfffe
	s_or_saveexec_b32 s7, s7
	v_mov_b32_e32 v46, v44
	s_wait_alu 0xfffe
	s_xor_b32 exec_lo, exec_lo, s7
	s_cbranch_execz .LBB52_50
; %bb.49:                               ;   in Loop: Header=BB52_2 Depth=1
	ds_load_u8 v46, v42 offset:1
	s_wait_dscnt 0x1
	v_mov_b32_e32 v45, v43
.LBB52_50:                              ;   in Loop: Header=BB52_2 Depth=1
	s_or_b32 exec_lo, exec_lo, s7
	v_add_nc_u32_e32 v47, 1, v41
	v_add_nc_u32_e32 v48, 1, v42
	s_wait_dscnt 0x0
	v_bfe_i32 v49, v45, 0, 8
	v_bfe_i32 v50, v46, 0, 8
	s_wait_loadcnt 0x0
	v_cndmask_b32_e64 v41, v47, v41, s6
	s_barrier_signal -1
	s_barrier_wait -1
	v_cmp_lt_i16_e64 s7, v50, v49
	global_inv scope:SCOPE_SE
	v_cmp_ge_i32_e64 s8, v41, v29
	v_mov_b32_e32 v41, v36
	v_cndmask_b32_e64 v42, v42, v48, s6
	s_delay_alu instid0(VALU_DEP_1)
	v_cmp_lt_i32_e64 s9, v42, v30
	v_cndmask_b32_e64 v42, v43, v44, s6
	s_or_b32 s6, s8, s7
	s_wait_alu 0xfffe
	s_and_b32 s6, s9, s6
	s_wait_alu 0xfffe
	v_cndmask_b32_e64 v43, v45, v46, s6
	ds_store_b8 v1, v42
	ds_store_b8 v1, v43 offset:1
	s_wait_loadcnt_dscnt 0x0
	s_barrier_signal -1
	s_barrier_wait -1
	global_inv scope:SCOPE_SE
	s_and_saveexec_b32 s7, s5
	s_cbranch_execz .LBB52_54
; %bb.51:                               ;   in Loop: Header=BB52_2 Depth=1
	v_dual_mov_b32 v41, v36 :: v_dual_mov_b32 v42, v37
	s_mov_b32 s8, 0
.LBB52_52:                              ;   Parent Loop BB52_2 Depth=1
                                        ; =>  This Inner Loop Header: Depth=2
	s_delay_alu instid0(VALU_DEP_1) | instskip(NEXT) | instid1(VALU_DEP_1)
	v_sub_nc_u32_e32 v43, v42, v41
	v_lshrrev_b32_e32 v43, 1, v43
	s_delay_alu instid0(VALU_DEP_1) | instskip(NEXT) | instid1(VALU_DEP_1)
	v_add_nc_u32_e32 v43, v43, v41
	v_xad_u32 v44, v43, -1, v40
	v_add_nc_u32_e32 v46, 1, v43
	ds_load_i8 v45, v43
	ds_load_i8 v44, v44
	s_wait_dscnt 0x0
	v_cmp_lt_i16_e64 s6, v44, v45
	s_wait_alu 0xf1ff
	s_delay_alu instid0(VALU_DEP_1) | instskip(SKIP_1) | instid1(VALU_DEP_1)
	v_cndmask_b32_e64 v42, v42, v43, s6
	v_cndmask_b32_e64 v41, v46, v41, s6
	v_cmp_ge_i32_e64 s6, v41, v42
	s_or_b32 s8, s6, s8
	s_delay_alu instid0(SALU_CYCLE_1)
	s_and_not1_b32 exec_lo, exec_lo, s8
	s_cbranch_execnz .LBB52_52
; %bb.53:                               ;   in Loop: Header=BB52_2 Depth=1
	s_or_b32 exec_lo, exec_lo, s8
.LBB52_54:                              ;   in Loop: Header=BB52_2 Depth=1
	s_wait_alu 0xfffe
	s_or_b32 exec_lo, exec_lo, s7
	v_sub_nc_u32_e32 v43, v40, v41
	v_cmp_le_i32_e64 s6, 0x80, v41
                                        ; implicit-def: $vgpr45
                                        ; implicit-def: $vgpr46
	ds_load_u8 v42, v41
	ds_load_u8 v44, v43
	v_cmp_gt_i32_e64 s8, 0x100, v43
	s_wait_dscnt 0x1
	v_bfe_i32 v42, v42, 0, 8
	s_wait_dscnt 0x0
	v_bfe_i32 v44, v44, 0, 8
	s_delay_alu instid0(VALU_DEP_1)
	v_cmp_lt_i16_e64 s7, v44, v42
	s_or_b32 s6, s6, s7
	s_wait_alu 0xfffe
	s_and_b32 s6, s8, s6
	s_wait_alu 0xfffe
	s_xor_b32 s7, s6, -1
	s_wait_alu 0xfffe
	s_and_saveexec_b32 s8, s7
	s_delay_alu instid0(SALU_CYCLE_1)
	s_xor_b32 s7, exec_lo, s8
; %bb.55:                               ;   in Loop: Header=BB52_2 Depth=1
	ds_load_u8 v45, v41 offset:1
	v_add_nc_u32_e32 v46, 1, v41
                                        ; implicit-def: $vgpr41
; %bb.56:                               ;   in Loop: Header=BB52_2 Depth=1
	s_wait_alu 0xfffe
	s_or_saveexec_b32 s7, s7
	v_mov_b32_e32 v47, v44
	s_wait_alu 0xfffe
	s_xor_b32 exec_lo, exec_lo, s7
	s_cbranch_execz .LBB52_1
; %bb.57:                               ;   in Loop: Header=BB52_2 Depth=1
	ds_load_u8 v47, v43 offset:1
	v_dual_mov_b32 v46, v41 :: v_dual_add_nc_u32 v43, 1, v43
	s_wait_dscnt 0x1
	v_mov_b32_e32 v45, v42
	s_branch .LBB52_1
.LBB52_58:
	s_add_nc_u64 s[0:1], s[10:11], s[12:13]
	s_wait_alu 0xfffe
	v_add_co_u32 v0, s0, s0, v0
	s_wait_alu 0xf1ff
	v_add_co_ci_u32_e64 v1, null, s1, 0, s0
	s_clause 0x1
	global_store_b8 v[0:1], v41, off
	global_store_b8 v[0:1], v42, off offset:128
	s_endpgm
	.section	.rodata,"a",@progbits
	.p2align	6, 0x0
	.amdhsa_kernel _Z16sort_keys_kernelIaLj128ELj2EN10test_utils4lessELj10EEvPKT_PS2_T2_
		.amdhsa_group_segment_fixed_size 257
		.amdhsa_private_segment_fixed_size 0
		.amdhsa_kernarg_size 20
		.amdhsa_user_sgpr_count 2
		.amdhsa_user_sgpr_dispatch_ptr 0
		.amdhsa_user_sgpr_queue_ptr 0
		.amdhsa_user_sgpr_kernarg_segment_ptr 1
		.amdhsa_user_sgpr_dispatch_id 0
		.amdhsa_user_sgpr_private_segment_size 0
		.amdhsa_wavefront_size32 1
		.amdhsa_uses_dynamic_stack 0
		.amdhsa_enable_private_segment 0
		.amdhsa_system_sgpr_workgroup_id_x 1
		.amdhsa_system_sgpr_workgroup_id_y 0
		.amdhsa_system_sgpr_workgroup_id_z 0
		.amdhsa_system_sgpr_workgroup_info 0
		.amdhsa_system_vgpr_workitem_id 0
		.amdhsa_next_free_vgpr 51
		.amdhsa_next_free_sgpr 15
		.amdhsa_reserve_vcc 1
		.amdhsa_float_round_mode_32 0
		.amdhsa_float_round_mode_16_64 0
		.amdhsa_float_denorm_mode_32 3
		.amdhsa_float_denorm_mode_16_64 3
		.amdhsa_fp16_overflow 0
		.amdhsa_workgroup_processor_mode 1
		.amdhsa_memory_ordered 1
		.amdhsa_forward_progress 1
		.amdhsa_inst_pref_size 32
		.amdhsa_round_robin_scheduling 0
		.amdhsa_exception_fp_ieee_invalid_op 0
		.amdhsa_exception_fp_denorm_src 0
		.amdhsa_exception_fp_ieee_div_zero 0
		.amdhsa_exception_fp_ieee_overflow 0
		.amdhsa_exception_fp_ieee_underflow 0
		.amdhsa_exception_fp_ieee_inexact 0
		.amdhsa_exception_int_div_zero 0
	.end_amdhsa_kernel
	.section	.text._Z16sort_keys_kernelIaLj128ELj2EN10test_utils4lessELj10EEvPKT_PS2_T2_,"axG",@progbits,_Z16sort_keys_kernelIaLj128ELj2EN10test_utils4lessELj10EEvPKT_PS2_T2_,comdat
.Lfunc_end52:
	.size	_Z16sort_keys_kernelIaLj128ELj2EN10test_utils4lessELj10EEvPKT_PS2_T2_, .Lfunc_end52-_Z16sort_keys_kernelIaLj128ELj2EN10test_utils4lessELj10EEvPKT_PS2_T2_
                                        ; -- End function
	.set _Z16sort_keys_kernelIaLj128ELj2EN10test_utils4lessELj10EEvPKT_PS2_T2_.num_vgpr, 51
	.set _Z16sort_keys_kernelIaLj128ELj2EN10test_utils4lessELj10EEvPKT_PS2_T2_.num_agpr, 0
	.set _Z16sort_keys_kernelIaLj128ELj2EN10test_utils4lessELj10EEvPKT_PS2_T2_.numbered_sgpr, 15
	.set _Z16sort_keys_kernelIaLj128ELj2EN10test_utils4lessELj10EEvPKT_PS2_T2_.num_named_barrier, 0
	.set _Z16sort_keys_kernelIaLj128ELj2EN10test_utils4lessELj10EEvPKT_PS2_T2_.private_seg_size, 0
	.set _Z16sort_keys_kernelIaLj128ELj2EN10test_utils4lessELj10EEvPKT_PS2_T2_.uses_vcc, 1
	.set _Z16sort_keys_kernelIaLj128ELj2EN10test_utils4lessELj10EEvPKT_PS2_T2_.uses_flat_scratch, 0
	.set _Z16sort_keys_kernelIaLj128ELj2EN10test_utils4lessELj10EEvPKT_PS2_T2_.has_dyn_sized_stack, 0
	.set _Z16sort_keys_kernelIaLj128ELj2EN10test_utils4lessELj10EEvPKT_PS2_T2_.has_recursion, 0
	.set _Z16sort_keys_kernelIaLj128ELj2EN10test_utils4lessELj10EEvPKT_PS2_T2_.has_indirect_call, 0
	.section	.AMDGPU.csdata,"",@progbits
; Kernel info:
; codeLenInByte = 4016
; TotalNumSgprs: 17
; NumVgprs: 51
; ScratchSize: 0
; MemoryBound: 0
; FloatMode: 240
; IeeeMode: 1
; LDSByteSize: 257 bytes/workgroup (compile time only)
; SGPRBlocks: 0
; VGPRBlocks: 6
; NumSGPRsForWavesPerEU: 17
; NumVGPRsForWavesPerEU: 51
; Occupancy: 16
; WaveLimiterHint : 1
; COMPUTE_PGM_RSRC2:SCRATCH_EN: 0
; COMPUTE_PGM_RSRC2:USER_SGPR: 2
; COMPUTE_PGM_RSRC2:TRAP_HANDLER: 0
; COMPUTE_PGM_RSRC2:TGID_X_EN: 1
; COMPUTE_PGM_RSRC2:TGID_Y_EN: 0
; COMPUTE_PGM_RSRC2:TGID_Z_EN: 0
; COMPUTE_PGM_RSRC2:TIDIG_COMP_CNT: 0
	.section	.text._Z17sort_pairs_kernelIaLj128ELj2EN10test_utils4lessELj10EEvPKT_PS2_T2_,"axG",@progbits,_Z17sort_pairs_kernelIaLj128ELj2EN10test_utils4lessELj10EEvPKT_PS2_T2_,comdat
	.protected	_Z17sort_pairs_kernelIaLj128ELj2EN10test_utils4lessELj10EEvPKT_PS2_T2_ ; -- Begin function _Z17sort_pairs_kernelIaLj128ELj2EN10test_utils4lessELj10EEvPKT_PS2_T2_
	.globl	_Z17sort_pairs_kernelIaLj128ELj2EN10test_utils4lessELj10EEvPKT_PS2_T2_
	.p2align	8
	.type	_Z17sort_pairs_kernelIaLj128ELj2EN10test_utils4lessELj10EEvPKT_PS2_T2_,@function
_Z17sort_pairs_kernelIaLj128ELj2EN10test_utils4lessELj10EEvPKT_PS2_T2_: ; @_Z17sort_pairs_kernelIaLj128ELj2EN10test_utils4lessELj10EEvPKT_PS2_T2_
; %bb.0:
	s_load_b128 s[8:11], s[0:1], 0x0
	s_lshl_b32 s12, ttmp9, 8
	s_mov_b32 s13, 0
	v_lshlrev_b32_e32 v1, 1, v0
	s_mov_b32 s14, s13
	s_delay_alu instid0(VALU_DEP_1)
	v_and_b32_e32 v2, 0xfc, v1
	v_and_b32_e32 v3, 0xf8, v1
	;; [unrolled: 1-line block ×5, first 2 shown]
	v_or_b32_e32 v10, 2, v2
	v_add_nc_u32_e32 v11, 4, v2
	v_or_b32_e32 v12, 4, v3
	v_add_nc_u32_e32 v13, 8, v3
	v_and_b32_e32 v5, 0xe0, v1
	v_or_b32_e32 v14, 8, v4
	v_sub_nc_u32_e32 v40, v11, v10
	s_wait_kmcnt 0x0
	s_add_nc_u64 s[0:1], s[8:9], s[12:13]
	v_add_nc_u32_e32 v15, 16, v4
	s_clause 0x1
	global_load_u8 v42, v0, s[0:1]
	global_load_u8 v41, v0, s[0:1] offset:128
	v_sub_nc_u32_e32 v28, v10, v2
	v_sub_nc_u32_e32 v43, v13, v12
	;; [unrolled: 1-line block ×3, first 2 shown]
	v_cmp_ge_i32_e64 s0, v34, v40
	v_and_b32_e32 v36, 14, v1
	v_and_b32_e32 v6, 0xc0, v1
	v_or_b32_e32 v16, 16, v5
	v_add_nc_u32_e32 v17, 32, v5
	v_add_nc_u32_e32 v22, v10, v34
	v_sub_nc_u32_e32 v29, v12, v3
	v_sub_nc_u32_e32 v44, v15, v14
	v_min_i32_e32 v28, v34, v28
	v_sub_nc_u32_e32 v49, v35, v43
	v_cndmask_b32_e64 v34, 0, v48, s0
	v_cmp_ge_i32_e64 s0, v35, v43
	v_and_b32_e32 v37, 30, v1
	v_and_b32_e32 v7, 0x80, v1
	v_or_b32_e32 v18, 32, v6
	v_add_nc_u32_e32 v19, 64, v6
	v_add_nc_u32_e32 v23, v12, v35
	v_sub_nc_u32_e32 v30, v14, v4
	v_sub_nc_u32_e32 v45, v17, v16
	v_min_i32_e32 v29, v35, v29
	v_sub_nc_u32_e32 v50, v36, v44
	s_wait_alu 0xf1ff
	v_cndmask_b32_e64 v35, 0, v49, s0
	v_cmp_ge_i32_e64 s0, v36, v44
	v_and_b32_e32 v38, 62, v1
	v_or_b32_e32 v20, 64, v7
	v_add_nc_u32_e32 v21, 0x80, v7
	v_add_nc_u32_e32 v24, v14, v36
	v_sub_nc_u32_e32 v31, v16, v5
	v_sub_nc_u32_e32 v46, v19, v18
	v_min_i32_e32 v30, v36, v30
	v_sub_nc_u32_e32 v51, v37, v45
	s_wait_alu 0xf1ff
	v_cndmask_b32_e64 v36, 0, v50, s0
	v_cmp_ge_i32_e64 s0, v37, v45
	v_and_b32_e32 v39, 0x7e, v1
	v_add_nc_u32_e32 v25, v16, v37
	v_sub_nc_u32_e32 v32, v18, v6
	v_sub_nc_u32_e32 v47, v21, v20
	v_min_i32_e32 v31, v37, v31
	v_sub_nc_u32_e32 v52, v38, v46
	s_wait_alu 0xf1ff
	v_cndmask_b32_e64 v37, 0, v51, s0
	v_cmp_ge_i32_e64 s0, v38, v46
	v_add_nc_u32_e32 v26, v18, v38
	v_sub_nc_u32_e32 v33, v20, v7
	v_min_i32_e32 v32, v38, v32
	v_sub_nc_u32_e32 v53, v39, v47
	s_wait_alu 0xf1ff
	v_cndmask_b32_e64 v38, 0, v52, s0
	v_cmp_ge_i32_e64 s0, v39, v47
	v_add_nc_u32_e32 v27, v20, v39
	v_min_i32_e32 v33, v39, v33
	v_subrev_nc_u32_e64 v8, 0x80, v1 clamp
	v_min_i32_e32 v9, 0x80, v1
	s_wait_alu 0xf1ff
	v_cndmask_b32_e64 v39, 0, v53, s0
	v_cmp_lt_i32_e64 s0, v34, v28
	v_cmp_lt_i32_e64 s1, v35, v29
	;; [unrolled: 1-line block ×6, first 2 shown]
	v_add_nc_u32_e32 v40, 0x80, v1
	v_cmp_lt_i32_e32 vcc_lo, v8, v9
	s_wait_loadcnt 0x1
	v_add_nc_u16 v44, v42, 1
	s_wait_loadcnt 0x0
	v_add_nc_u16 v43, v41, 1
	s_branch .LBB53_2
.LBB53_1:                               ;   in Loop: Header=BB53_2 Depth=1
	s_or_b32 exec_lo, exec_lo, s7
	s_wait_dscnt 0x0
	s_delay_alu instid0(VALU_DEP_1)
	v_bfe_i32 v43, v48, 0, 8
	v_bfe_i32 v51, v50, 0, 8
	v_cmp_le_i32_e64 s8, 0x80, v47
	v_cmp_gt_i32_e64 s7, 0x100, v44
	s_wait_loadcnt 0x0
	s_barrier_signal -1
	v_cmp_lt_i16_e64 s9, v51, v43
	s_barrier_wait -1
	global_inv scope:SCOPE_SE
	ds_store_b8 v1, v41
	ds_store_b8 v1, v42 offset:1
	s_wait_loadcnt_dscnt 0x0
	s_or_b32 s8, s8, s9
	s_barrier_signal -1
	s_and_b32 s7, s7, s8
	s_barrier_wait -1
	s_wait_alu 0xfffe
	v_cndmask_b32_e64 v42, v47, v44, s7
	global_inv scope:SCOPE_SE
	v_cndmask_b32_e64 v41, v48, v50, s7
	ds_load_u8 v44, v49
	ds_load_u8 v43, v42
	v_cndmask_b32_e64 v42, v45, v46, s6
	s_add_co_i32 s14, s14, 1
	s_delay_alu instid0(SALU_CYCLE_1)
	s_cmp_eq_u32 s14, 10
	s_cbranch_scc1 .LBB53_58
.LBB53_2:                               ; =>This Loop Header: Depth=1
                                        ;     Child Loop BB53_4 Depth 2
                                        ;     Child Loop BB53_12 Depth 2
	;; [unrolled: 1-line block ×7, first 2 shown]
	s_delay_alu instid0(VALU_DEP_1) | instskip(SKIP_4) | instid1(VALU_DEP_4)
	v_bfe_i32 v45, v42, 0, 8
	v_bfe_i32 v46, v41, 0, 8
	v_perm_b32 v47, v41, v42, 0xc0c0004
	v_perm_b32 v41, v42, v41, 0xc0c0004
	v_mov_b32_e32 v42, v34
	v_cmp_lt_i16_e64 s6, v46, v45
	s_barrier_signal -1
	s_barrier_wait -1
	global_inv scope:SCOPE_SE
	s_wait_alu 0xf1ff
	v_cndmask_b32_e64 v41, v41, v47, s6
	s_delay_alu instid0(VALU_DEP_1)
	v_lshrrev_b16 v45, 8, v41
	ds_store_b8 v1, v41
	ds_store_b8 v1, v45 offset:1
	s_wait_loadcnt_dscnt 0x0
	s_barrier_signal -1
	s_barrier_wait -1
	global_inv scope:SCOPE_SE
	s_and_saveexec_b32 s8, s0
	s_cbranch_execz .LBB53_6
; %bb.3:                                ;   in Loop: Header=BB53_2 Depth=1
	v_dual_mov_b32 v42, v34 :: v_dual_mov_b32 v41, v28
	s_mov_b32 s9, 0
.LBB53_4:                               ;   Parent Loop BB53_2 Depth=1
                                        ; =>  This Inner Loop Header: Depth=2
	s_delay_alu instid0(VALU_DEP_1) | instskip(NEXT) | instid1(VALU_DEP_1)
	v_sub_nc_u32_e32 v45, v41, v42
	v_lshrrev_b32_e32 v45, 1, v45
	s_delay_alu instid0(VALU_DEP_1) | instskip(NEXT) | instid1(VALU_DEP_1)
	v_add_nc_u32_e32 v45, v45, v42
	v_add_nc_u32_e32 v46, v2, v45
	v_xad_u32 v47, v45, -1, v22
	v_add_nc_u32_e32 v48, 1, v45
	ds_load_i8 v46, v46
	ds_load_i8 v47, v47
	s_wait_dscnt 0x0
	v_cmp_lt_i16_e64 s7, v47, v46
	s_wait_alu 0xf1ff
	s_delay_alu instid0(VALU_DEP_1) | instskip(SKIP_1) | instid1(VALU_DEP_1)
	v_cndmask_b32_e64 v41, v41, v45, s7
	v_cndmask_b32_e64 v42, v48, v42, s7
	v_cmp_ge_i32_e64 s7, v42, v41
	s_or_b32 s9, s7, s9
	s_delay_alu instid0(SALU_CYCLE_1)
	s_and_not1_b32 exec_lo, exec_lo, s9
	s_cbranch_execnz .LBB53_4
; %bb.5:                                ;   in Loop: Header=BB53_2 Depth=1
	s_or_b32 exec_lo, exec_lo, s9
.LBB53_6:                               ;   in Loop: Header=BB53_2 Depth=1
	s_delay_alu instid0(SALU_CYCLE_1)
	s_or_b32 exec_lo, exec_lo, s8
	v_add_nc_u32_e32 v41, v42, v2
	v_sub_nc_u32_e32 v47, v22, v42
	ds_load_u8 v42, v41
	ds_load_u8 v46, v47
	v_cmp_le_i32_e64 s7, v10, v41
	v_cmp_gt_i32_e64 s9, v11, v47
	s_wait_dscnt 0x1
	v_bfe_i32 v45, v42, 0, 8
	s_wait_dscnt 0x0
	v_bfe_i32 v46, v46, 0, 8
                                        ; implicit-def: $vgpr42
	s_delay_alu instid0(VALU_DEP_1)
	v_cmp_lt_i16_e64 s8, v46, v45
	s_or_b32 s7, s7, s8
	s_wait_alu 0xfffe
	s_and_b32 s7, s9, s7
	s_wait_alu 0xfffe
	s_xor_b32 s8, s7, -1
	s_delay_alu instid0(SALU_CYCLE_1) | instskip(NEXT) | instid1(SALU_CYCLE_1)
	s_and_saveexec_b32 s9, s8
	s_xor_b32 s8, exec_lo, s9
; %bb.7:                                ;   in Loop: Header=BB53_2 Depth=1
	ds_load_u8 v42, v41 offset:1
; %bb.8:                                ;   in Loop: Header=BB53_2 Depth=1
	s_or_saveexec_b32 s8, s8
	v_mov_b32_e32 v48, v46
	s_xor_b32 exec_lo, exec_lo, s8
	s_cbranch_execz .LBB53_10
; %bb.9:                                ;   in Loop: Header=BB53_2 Depth=1
	ds_load_u8 v48, v47 offset:1
	s_wait_dscnt 0x1
	v_mov_b32_e32 v42, v45
.LBB53_10:                              ;   in Loop: Header=BB53_2 Depth=1
	s_or_b32 exec_lo, exec_lo, s8
	v_add_nc_u32_e32 v49, 1, v41
	v_add_nc_u32_e32 v50, 1, v47
	s_wait_dscnt 0x0
	v_bfe_i32 v52, v42, 0, 8
	v_bfe_i32 v53, v48, 0, 8
	v_perm_b32 v51, v43, v44, 0xc0c0004
	v_cndmask_b32_e64 v49, v49, v41, s7
	v_perm_b32 v43, v44, v43, 0xc0c0004
	v_cndmask_b32_e64 v44, v47, v50, s7
	v_cmp_lt_i16_e64 s8, v53, v52
	v_cndmask_b32_e64 v41, v41, v47, s7
	v_cmp_ge_i32_e64 s9, v49, v10
	v_cndmask_b32_e64 v43, v43, v51, s6
	v_cmp_lt_i32_e64 s6, v44, v11
	s_wait_loadcnt 0x0
	s_barrier_signal -1
	s_or_b32 s8, s9, s8
	v_lshrrev_b16 v47, 8, v43
	s_and_b32 s6, s6, s8
	s_barrier_wait -1
	s_wait_alu 0xfffe
	v_cndmask_b32_e64 v48, v42, v48, s6
	v_cndmask_b32_e64 v42, v49, v44, s6
	global_inv scope:SCOPE_SE
	ds_store_b8 v1, v43
	ds_store_b8 v1, v47 offset:1
	s_wait_loadcnt_dscnt 0x0
	s_barrier_signal -1
	s_barrier_wait -1
	global_inv scope:SCOPE_SE
	ds_load_u8 v41, v41
	ds_load_u8 v42, v42
	v_cndmask_b32_e64 v43, v45, v46, s7
	s_wait_loadcnt_dscnt 0x0
	s_barrier_signal -1
	s_barrier_wait -1
	global_inv scope:SCOPE_SE
	ds_store_b8 v1, v43
	ds_store_b8 v1, v48 offset:1
	v_mov_b32_e32 v43, v35
	s_wait_loadcnt_dscnt 0x0
	s_barrier_signal -1
	s_barrier_wait -1
	global_inv scope:SCOPE_SE
	s_and_saveexec_b32 s7, s1
	s_cbranch_execz .LBB53_14
; %bb.11:                               ;   in Loop: Header=BB53_2 Depth=1
	v_dual_mov_b32 v43, v35 :: v_dual_mov_b32 v44, v29
	s_mov_b32 s8, 0
.LBB53_12:                              ;   Parent Loop BB53_2 Depth=1
                                        ; =>  This Inner Loop Header: Depth=2
	s_delay_alu instid0(VALU_DEP_1) | instskip(NEXT) | instid1(VALU_DEP_1)
	v_sub_nc_u32_e32 v45, v44, v43
	v_lshrrev_b32_e32 v45, 1, v45
	s_delay_alu instid0(VALU_DEP_1) | instskip(NEXT) | instid1(VALU_DEP_1)
	v_add_nc_u32_e32 v45, v45, v43
	v_add_nc_u32_e32 v46, v3, v45
	v_xad_u32 v47, v45, -1, v23
	v_add_nc_u32_e32 v48, 1, v45
	ds_load_i8 v46, v46
	ds_load_i8 v47, v47
	s_wait_dscnt 0x0
	v_cmp_lt_i16_e64 s6, v47, v46
	s_wait_alu 0xf1ff
	s_delay_alu instid0(VALU_DEP_1) | instskip(SKIP_1) | instid1(VALU_DEP_1)
	v_cndmask_b32_e64 v44, v44, v45, s6
	v_cndmask_b32_e64 v43, v48, v43, s6
	v_cmp_ge_i32_e64 s6, v43, v44
	s_or_b32 s8, s6, s8
	s_delay_alu instid0(SALU_CYCLE_1)
	s_and_not1_b32 exec_lo, exec_lo, s8
	s_cbranch_execnz .LBB53_12
; %bb.13:                               ;   in Loop: Header=BB53_2 Depth=1
	s_or_b32 exec_lo, exec_lo, s8
.LBB53_14:                              ;   in Loop: Header=BB53_2 Depth=1
	s_wait_alu 0xfffe
	s_or_b32 exec_lo, exec_lo, s7
	v_add_nc_u32_e32 v47, v43, v3
	v_sub_nc_u32_e32 v45, v23, v43
                                        ; implicit-def: $vgpr46
	ds_load_u8 v43, v47
	ds_load_u8 v44, v45
	v_cmp_le_i32_e64 s6, v12, v47
	v_cmp_gt_i32_e64 s8, v13, v45
	s_wait_dscnt 0x1
	v_bfe_i32 v43, v43, 0, 8
	s_wait_dscnt 0x0
	v_bfe_i32 v44, v44, 0, 8
	s_delay_alu instid0(VALU_DEP_1)
	v_cmp_lt_i16_e64 s7, v44, v43
	s_or_b32 s6, s6, s7
	s_wait_alu 0xfffe
	s_and_b32 s6, s8, s6
	s_wait_alu 0xfffe
	s_xor_b32 s7, s6, -1
	s_wait_alu 0xfffe
	s_and_saveexec_b32 s8, s7
	s_delay_alu instid0(SALU_CYCLE_1)
	s_xor_b32 s7, exec_lo, s8
; %bb.15:                               ;   in Loop: Header=BB53_2 Depth=1
	ds_load_u8 v46, v47 offset:1
; %bb.16:                               ;   in Loop: Header=BB53_2 Depth=1
	s_wait_alu 0xfffe
	s_or_saveexec_b32 s7, s7
	v_mov_b32_e32 v48, v44
	s_wait_alu 0xfffe
	s_xor_b32 exec_lo, exec_lo, s7
	s_cbranch_execz .LBB53_18
; %bb.17:                               ;   in Loop: Header=BB53_2 Depth=1
	ds_load_u8 v48, v45 offset:1
	s_wait_dscnt 0x1
	v_mov_b32_e32 v46, v43
.LBB53_18:                              ;   in Loop: Header=BB53_2 Depth=1
	s_or_b32 exec_lo, exec_lo, s7
	v_add_nc_u32_e32 v49, 1, v47
	v_add_nc_u32_e32 v50, 1, v45
	s_wait_dscnt 0x0
	v_bfe_i32 v51, v46, 0, 8
	v_bfe_i32 v52, v48, 0, 8
	s_wait_loadcnt 0x0
	v_cndmask_b32_e64 v49, v49, v47, s6
	v_cndmask_b32_e64 v47, v47, v45, s6
	;; [unrolled: 1-line block ×3, first 2 shown]
	v_cmp_lt_i16_e64 s7, v52, v51
	s_barrier_signal -1
	v_cmp_ge_i32_e64 s8, v49, v12
	s_barrier_wait -1
	v_cmp_lt_i32_e64 s9, v45, v13
	global_inv scope:SCOPE_SE
	ds_store_b8 v1, v41
	ds_store_b8 v1, v42 offset:1
	s_or_b32 s7, s8, s7
	s_wait_loadcnt_dscnt 0x0
	s_wait_alu 0xfffe
	s_and_b32 s7, s9, s7
	s_barrier_signal -1
	s_wait_alu 0xfffe
	v_cndmask_b32_e64 v42, v49, v45, s7
	s_barrier_wait -1
	global_inv scope:SCOPE_SE
	v_cndmask_b32_e64 v43, v43, v44, s6
	ds_load_u8 v41, v47
	ds_load_u8 v42, v42
	v_cndmask_b32_e64 v46, v46, v48, s7
	s_wait_loadcnt_dscnt 0x0
	s_barrier_signal -1
	s_barrier_wait -1
	global_inv scope:SCOPE_SE
	ds_store_b8 v1, v43
	ds_store_b8 v1, v46 offset:1
	v_mov_b32_e32 v43, v36
	s_wait_loadcnt_dscnt 0x0
	s_barrier_signal -1
	s_barrier_wait -1
	global_inv scope:SCOPE_SE
	s_and_saveexec_b32 s7, s2
	s_cbranch_execz .LBB53_22
; %bb.19:                               ;   in Loop: Header=BB53_2 Depth=1
	v_dual_mov_b32 v43, v36 :: v_dual_mov_b32 v44, v30
	s_mov_b32 s8, 0
.LBB53_20:                              ;   Parent Loop BB53_2 Depth=1
                                        ; =>  This Inner Loop Header: Depth=2
	s_delay_alu instid0(VALU_DEP_1) | instskip(NEXT) | instid1(VALU_DEP_1)
	v_sub_nc_u32_e32 v45, v44, v43
	v_lshrrev_b32_e32 v45, 1, v45
	s_delay_alu instid0(VALU_DEP_1) | instskip(NEXT) | instid1(VALU_DEP_1)
	v_add_nc_u32_e32 v45, v45, v43
	v_add_nc_u32_e32 v46, v4, v45
	v_xad_u32 v47, v45, -1, v24
	v_add_nc_u32_e32 v48, 1, v45
	ds_load_i8 v46, v46
	ds_load_i8 v47, v47
	s_wait_dscnt 0x0
	v_cmp_lt_i16_e64 s6, v47, v46
	s_wait_alu 0xf1ff
	s_delay_alu instid0(VALU_DEP_1) | instskip(SKIP_1) | instid1(VALU_DEP_1)
	v_cndmask_b32_e64 v44, v44, v45, s6
	v_cndmask_b32_e64 v43, v48, v43, s6
	v_cmp_ge_i32_e64 s6, v43, v44
	s_or_b32 s8, s6, s8
	s_delay_alu instid0(SALU_CYCLE_1)
	s_and_not1_b32 exec_lo, exec_lo, s8
	s_cbranch_execnz .LBB53_20
; %bb.21:                               ;   in Loop: Header=BB53_2 Depth=1
	s_or_b32 exec_lo, exec_lo, s8
.LBB53_22:                              ;   in Loop: Header=BB53_2 Depth=1
	s_wait_alu 0xfffe
	s_or_b32 exec_lo, exec_lo, s7
	v_add_nc_u32_e32 v47, v43, v4
	v_sub_nc_u32_e32 v45, v24, v43
                                        ; implicit-def: $vgpr46
	ds_load_u8 v43, v47
	ds_load_u8 v44, v45
	v_cmp_le_i32_e64 s6, v14, v47
	v_cmp_gt_i32_e64 s8, v15, v45
	s_wait_dscnt 0x1
	v_bfe_i32 v43, v43, 0, 8
	s_wait_dscnt 0x0
	v_bfe_i32 v44, v44, 0, 8
	s_delay_alu instid0(VALU_DEP_1)
	v_cmp_lt_i16_e64 s7, v44, v43
	s_or_b32 s6, s6, s7
	s_wait_alu 0xfffe
	s_and_b32 s6, s8, s6
	s_wait_alu 0xfffe
	s_xor_b32 s7, s6, -1
	s_wait_alu 0xfffe
	s_and_saveexec_b32 s8, s7
	s_delay_alu instid0(SALU_CYCLE_1)
	s_xor_b32 s7, exec_lo, s8
; %bb.23:                               ;   in Loop: Header=BB53_2 Depth=1
	ds_load_u8 v46, v47 offset:1
; %bb.24:                               ;   in Loop: Header=BB53_2 Depth=1
	s_wait_alu 0xfffe
	s_or_saveexec_b32 s7, s7
	v_mov_b32_e32 v48, v44
	s_wait_alu 0xfffe
	s_xor_b32 exec_lo, exec_lo, s7
	s_cbranch_execz .LBB53_26
; %bb.25:                               ;   in Loop: Header=BB53_2 Depth=1
	ds_load_u8 v48, v45 offset:1
	s_wait_dscnt 0x1
	v_mov_b32_e32 v46, v43
.LBB53_26:                              ;   in Loop: Header=BB53_2 Depth=1
	s_or_b32 exec_lo, exec_lo, s7
	v_add_nc_u32_e32 v49, 1, v47
	v_add_nc_u32_e32 v50, 1, v45
	s_wait_dscnt 0x0
	v_bfe_i32 v51, v46, 0, 8
	v_bfe_i32 v52, v48, 0, 8
	s_wait_loadcnt 0x0
	v_cndmask_b32_e64 v49, v49, v47, s6
	v_cndmask_b32_e64 v47, v47, v45, s6
	;; [unrolled: 1-line block ×3, first 2 shown]
	v_cmp_lt_i16_e64 s7, v52, v51
	s_barrier_signal -1
	v_cmp_ge_i32_e64 s8, v49, v14
	s_barrier_wait -1
	v_cmp_lt_i32_e64 s9, v45, v15
	global_inv scope:SCOPE_SE
	ds_store_b8 v1, v41
	ds_store_b8 v1, v42 offset:1
	s_or_b32 s7, s8, s7
	s_wait_loadcnt_dscnt 0x0
	s_wait_alu 0xfffe
	s_and_b32 s7, s9, s7
	s_barrier_signal -1
	s_wait_alu 0xfffe
	v_cndmask_b32_e64 v42, v49, v45, s7
	s_barrier_wait -1
	global_inv scope:SCOPE_SE
	v_cndmask_b32_e64 v43, v43, v44, s6
	ds_load_u8 v41, v47
	ds_load_u8 v42, v42
	v_cndmask_b32_e64 v46, v46, v48, s7
	s_wait_loadcnt_dscnt 0x0
	s_barrier_signal -1
	s_barrier_wait -1
	global_inv scope:SCOPE_SE
	ds_store_b8 v1, v43
	ds_store_b8 v1, v46 offset:1
	v_mov_b32_e32 v43, v37
	s_wait_loadcnt_dscnt 0x0
	s_barrier_signal -1
	s_barrier_wait -1
	global_inv scope:SCOPE_SE
	s_and_saveexec_b32 s7, s3
	s_cbranch_execz .LBB53_30
; %bb.27:                               ;   in Loop: Header=BB53_2 Depth=1
	v_dual_mov_b32 v43, v37 :: v_dual_mov_b32 v44, v31
	s_mov_b32 s8, 0
.LBB53_28:                              ;   Parent Loop BB53_2 Depth=1
                                        ; =>  This Inner Loop Header: Depth=2
	s_delay_alu instid0(VALU_DEP_1) | instskip(NEXT) | instid1(VALU_DEP_1)
	v_sub_nc_u32_e32 v45, v44, v43
	v_lshrrev_b32_e32 v45, 1, v45
	s_delay_alu instid0(VALU_DEP_1) | instskip(NEXT) | instid1(VALU_DEP_1)
	v_add_nc_u32_e32 v45, v45, v43
	v_add_nc_u32_e32 v46, v5, v45
	v_xad_u32 v47, v45, -1, v25
	v_add_nc_u32_e32 v48, 1, v45
	ds_load_i8 v46, v46
	ds_load_i8 v47, v47
	s_wait_dscnt 0x0
	v_cmp_lt_i16_e64 s6, v47, v46
	s_wait_alu 0xf1ff
	s_delay_alu instid0(VALU_DEP_1) | instskip(SKIP_1) | instid1(VALU_DEP_1)
	v_cndmask_b32_e64 v44, v44, v45, s6
	v_cndmask_b32_e64 v43, v48, v43, s6
	v_cmp_ge_i32_e64 s6, v43, v44
	s_or_b32 s8, s6, s8
	s_delay_alu instid0(SALU_CYCLE_1)
	s_and_not1_b32 exec_lo, exec_lo, s8
	s_cbranch_execnz .LBB53_28
; %bb.29:                               ;   in Loop: Header=BB53_2 Depth=1
	s_or_b32 exec_lo, exec_lo, s8
.LBB53_30:                              ;   in Loop: Header=BB53_2 Depth=1
	s_wait_alu 0xfffe
	s_or_b32 exec_lo, exec_lo, s7
	v_add_nc_u32_e32 v47, v43, v5
	v_sub_nc_u32_e32 v45, v25, v43
                                        ; implicit-def: $vgpr46
	ds_load_u8 v43, v47
	ds_load_u8 v44, v45
	v_cmp_le_i32_e64 s6, v16, v47
	v_cmp_gt_i32_e64 s8, v17, v45
	s_wait_dscnt 0x1
	v_bfe_i32 v43, v43, 0, 8
	s_wait_dscnt 0x0
	v_bfe_i32 v44, v44, 0, 8
	s_delay_alu instid0(VALU_DEP_1)
	v_cmp_lt_i16_e64 s7, v44, v43
	s_or_b32 s6, s6, s7
	s_wait_alu 0xfffe
	s_and_b32 s6, s8, s6
	s_wait_alu 0xfffe
	s_xor_b32 s7, s6, -1
	s_wait_alu 0xfffe
	s_and_saveexec_b32 s8, s7
	s_delay_alu instid0(SALU_CYCLE_1)
	s_xor_b32 s7, exec_lo, s8
; %bb.31:                               ;   in Loop: Header=BB53_2 Depth=1
	ds_load_u8 v46, v47 offset:1
; %bb.32:                               ;   in Loop: Header=BB53_2 Depth=1
	s_wait_alu 0xfffe
	s_or_saveexec_b32 s7, s7
	v_mov_b32_e32 v48, v44
	s_wait_alu 0xfffe
	s_xor_b32 exec_lo, exec_lo, s7
	s_cbranch_execz .LBB53_34
; %bb.33:                               ;   in Loop: Header=BB53_2 Depth=1
	ds_load_u8 v48, v45 offset:1
	s_wait_dscnt 0x1
	v_mov_b32_e32 v46, v43
.LBB53_34:                              ;   in Loop: Header=BB53_2 Depth=1
	s_or_b32 exec_lo, exec_lo, s7
	v_add_nc_u32_e32 v49, 1, v47
	v_add_nc_u32_e32 v50, 1, v45
	s_wait_dscnt 0x0
	v_bfe_i32 v51, v46, 0, 8
	v_bfe_i32 v52, v48, 0, 8
	s_wait_loadcnt 0x0
	v_cndmask_b32_e64 v49, v49, v47, s6
	v_cndmask_b32_e64 v47, v47, v45, s6
	;; [unrolled: 1-line block ×3, first 2 shown]
	v_cmp_lt_i16_e64 s7, v52, v51
	s_barrier_signal -1
	v_cmp_ge_i32_e64 s8, v49, v16
	s_barrier_wait -1
	v_cmp_lt_i32_e64 s9, v45, v17
	global_inv scope:SCOPE_SE
	ds_store_b8 v1, v41
	ds_store_b8 v1, v42 offset:1
	s_or_b32 s7, s8, s7
	s_wait_loadcnt_dscnt 0x0
	s_wait_alu 0xfffe
	s_and_b32 s7, s9, s7
	s_barrier_signal -1
	s_wait_alu 0xfffe
	v_cndmask_b32_e64 v42, v49, v45, s7
	s_barrier_wait -1
	global_inv scope:SCOPE_SE
	v_cndmask_b32_e64 v43, v43, v44, s6
	ds_load_u8 v41, v47
	ds_load_u8 v42, v42
	v_cndmask_b32_e64 v46, v46, v48, s7
	s_wait_loadcnt_dscnt 0x0
	s_barrier_signal -1
	s_barrier_wait -1
	global_inv scope:SCOPE_SE
	ds_store_b8 v1, v43
	ds_store_b8 v1, v46 offset:1
	v_mov_b32_e32 v43, v38
	s_wait_loadcnt_dscnt 0x0
	s_barrier_signal -1
	s_barrier_wait -1
	global_inv scope:SCOPE_SE
	s_and_saveexec_b32 s7, s4
	s_cbranch_execz .LBB53_38
; %bb.35:                               ;   in Loop: Header=BB53_2 Depth=1
	v_dual_mov_b32 v43, v38 :: v_dual_mov_b32 v44, v32
	s_mov_b32 s8, 0
.LBB53_36:                              ;   Parent Loop BB53_2 Depth=1
                                        ; =>  This Inner Loop Header: Depth=2
	s_delay_alu instid0(VALU_DEP_1) | instskip(NEXT) | instid1(VALU_DEP_1)
	v_sub_nc_u32_e32 v45, v44, v43
	v_lshrrev_b32_e32 v45, 1, v45
	s_delay_alu instid0(VALU_DEP_1) | instskip(NEXT) | instid1(VALU_DEP_1)
	v_add_nc_u32_e32 v45, v45, v43
	v_add_nc_u32_e32 v46, v6, v45
	v_xad_u32 v47, v45, -1, v26
	v_add_nc_u32_e32 v48, 1, v45
	ds_load_i8 v46, v46
	ds_load_i8 v47, v47
	s_wait_dscnt 0x0
	v_cmp_lt_i16_e64 s6, v47, v46
	s_wait_alu 0xf1ff
	s_delay_alu instid0(VALU_DEP_1) | instskip(SKIP_1) | instid1(VALU_DEP_1)
	v_cndmask_b32_e64 v44, v44, v45, s6
	v_cndmask_b32_e64 v43, v48, v43, s6
	v_cmp_ge_i32_e64 s6, v43, v44
	s_or_b32 s8, s6, s8
	s_delay_alu instid0(SALU_CYCLE_1)
	s_and_not1_b32 exec_lo, exec_lo, s8
	s_cbranch_execnz .LBB53_36
; %bb.37:                               ;   in Loop: Header=BB53_2 Depth=1
	s_or_b32 exec_lo, exec_lo, s8
.LBB53_38:                              ;   in Loop: Header=BB53_2 Depth=1
	s_wait_alu 0xfffe
	s_or_b32 exec_lo, exec_lo, s7
	v_add_nc_u32_e32 v47, v43, v6
	v_sub_nc_u32_e32 v45, v26, v43
                                        ; implicit-def: $vgpr46
	ds_load_u8 v43, v47
	ds_load_u8 v44, v45
	v_cmp_le_i32_e64 s6, v18, v47
	v_cmp_gt_i32_e64 s8, v19, v45
	s_wait_dscnt 0x1
	v_bfe_i32 v43, v43, 0, 8
	s_wait_dscnt 0x0
	v_bfe_i32 v44, v44, 0, 8
	s_delay_alu instid0(VALU_DEP_1)
	v_cmp_lt_i16_e64 s7, v44, v43
	s_or_b32 s6, s6, s7
	s_wait_alu 0xfffe
	s_and_b32 s6, s8, s6
	s_wait_alu 0xfffe
	s_xor_b32 s7, s6, -1
	s_wait_alu 0xfffe
	s_and_saveexec_b32 s8, s7
	s_delay_alu instid0(SALU_CYCLE_1)
	s_xor_b32 s7, exec_lo, s8
; %bb.39:                               ;   in Loop: Header=BB53_2 Depth=1
	ds_load_u8 v46, v47 offset:1
; %bb.40:                               ;   in Loop: Header=BB53_2 Depth=1
	s_wait_alu 0xfffe
	s_or_saveexec_b32 s7, s7
	v_mov_b32_e32 v48, v44
	s_wait_alu 0xfffe
	s_xor_b32 exec_lo, exec_lo, s7
	s_cbranch_execz .LBB53_42
; %bb.41:                               ;   in Loop: Header=BB53_2 Depth=1
	ds_load_u8 v48, v45 offset:1
	s_wait_dscnt 0x1
	v_mov_b32_e32 v46, v43
.LBB53_42:                              ;   in Loop: Header=BB53_2 Depth=1
	s_or_b32 exec_lo, exec_lo, s7
	v_add_nc_u32_e32 v49, 1, v47
	v_add_nc_u32_e32 v50, 1, v45
	s_wait_dscnt 0x0
	v_bfe_i32 v51, v46, 0, 8
	v_bfe_i32 v52, v48, 0, 8
	s_wait_loadcnt 0x0
	v_cndmask_b32_e64 v49, v49, v47, s6
	v_cndmask_b32_e64 v47, v47, v45, s6
	;; [unrolled: 1-line block ×3, first 2 shown]
	v_cmp_lt_i16_e64 s7, v52, v51
	s_barrier_signal -1
	v_cmp_ge_i32_e64 s8, v49, v18
	s_barrier_wait -1
	v_cmp_lt_i32_e64 s9, v45, v19
	global_inv scope:SCOPE_SE
	ds_store_b8 v1, v41
	ds_store_b8 v1, v42 offset:1
	s_or_b32 s7, s8, s7
	s_wait_loadcnt_dscnt 0x0
	s_wait_alu 0xfffe
	s_and_b32 s7, s9, s7
	s_barrier_signal -1
	s_wait_alu 0xfffe
	v_cndmask_b32_e64 v42, v49, v45, s7
	s_barrier_wait -1
	global_inv scope:SCOPE_SE
	v_cndmask_b32_e64 v43, v43, v44, s6
	ds_load_u8 v41, v47
	ds_load_u8 v42, v42
	v_cndmask_b32_e64 v46, v46, v48, s7
	s_wait_loadcnt_dscnt 0x0
	s_barrier_signal -1
	s_barrier_wait -1
	global_inv scope:SCOPE_SE
	ds_store_b8 v1, v43
	ds_store_b8 v1, v46 offset:1
	v_mov_b32_e32 v43, v39
	s_wait_loadcnt_dscnt 0x0
	s_barrier_signal -1
	s_barrier_wait -1
	global_inv scope:SCOPE_SE
	s_and_saveexec_b32 s7, s5
	s_cbranch_execz .LBB53_46
; %bb.43:                               ;   in Loop: Header=BB53_2 Depth=1
	v_dual_mov_b32 v43, v39 :: v_dual_mov_b32 v44, v33
	s_mov_b32 s8, 0
.LBB53_44:                              ;   Parent Loop BB53_2 Depth=1
                                        ; =>  This Inner Loop Header: Depth=2
	s_delay_alu instid0(VALU_DEP_1) | instskip(NEXT) | instid1(VALU_DEP_1)
	v_sub_nc_u32_e32 v45, v44, v43
	v_lshrrev_b32_e32 v45, 1, v45
	s_delay_alu instid0(VALU_DEP_1) | instskip(NEXT) | instid1(VALU_DEP_1)
	v_add_nc_u32_e32 v45, v45, v43
	v_add_nc_u32_e32 v46, v7, v45
	v_xad_u32 v47, v45, -1, v27
	v_add_nc_u32_e32 v48, 1, v45
	ds_load_i8 v46, v46
	ds_load_i8 v47, v47
	s_wait_dscnt 0x0
	v_cmp_lt_i16_e64 s6, v47, v46
	s_wait_alu 0xf1ff
	s_delay_alu instid0(VALU_DEP_1) | instskip(SKIP_1) | instid1(VALU_DEP_1)
	v_cndmask_b32_e64 v44, v44, v45, s6
	v_cndmask_b32_e64 v43, v48, v43, s6
	v_cmp_ge_i32_e64 s6, v43, v44
	s_or_b32 s8, s6, s8
	s_delay_alu instid0(SALU_CYCLE_1)
	s_and_not1_b32 exec_lo, exec_lo, s8
	s_cbranch_execnz .LBB53_44
; %bb.45:                               ;   in Loop: Header=BB53_2 Depth=1
	s_or_b32 exec_lo, exec_lo, s8
.LBB53_46:                              ;   in Loop: Header=BB53_2 Depth=1
	s_wait_alu 0xfffe
	s_or_b32 exec_lo, exec_lo, s7
	v_add_nc_u32_e32 v47, v43, v7
	v_sub_nc_u32_e32 v45, v27, v43
                                        ; implicit-def: $vgpr46
	ds_load_u8 v43, v47
	ds_load_u8 v44, v45
	v_cmp_le_i32_e64 s6, v20, v47
	v_cmp_gt_i32_e64 s8, v21, v45
	s_wait_dscnt 0x1
	v_bfe_i32 v43, v43, 0, 8
	s_wait_dscnt 0x0
	v_bfe_i32 v44, v44, 0, 8
	s_delay_alu instid0(VALU_DEP_1)
	v_cmp_lt_i16_e64 s7, v44, v43
	s_or_b32 s6, s6, s7
	s_wait_alu 0xfffe
	s_and_b32 s6, s8, s6
	s_wait_alu 0xfffe
	s_xor_b32 s7, s6, -1
	s_wait_alu 0xfffe
	s_and_saveexec_b32 s8, s7
	s_delay_alu instid0(SALU_CYCLE_1)
	s_xor_b32 s7, exec_lo, s8
; %bb.47:                               ;   in Loop: Header=BB53_2 Depth=1
	ds_load_u8 v46, v47 offset:1
; %bb.48:                               ;   in Loop: Header=BB53_2 Depth=1
	s_wait_alu 0xfffe
	s_or_saveexec_b32 s7, s7
	v_mov_b32_e32 v48, v44
	s_wait_alu 0xfffe
	s_xor_b32 exec_lo, exec_lo, s7
	s_cbranch_execz .LBB53_50
; %bb.49:                               ;   in Loop: Header=BB53_2 Depth=1
	ds_load_u8 v48, v45 offset:1
	s_wait_dscnt 0x1
	v_mov_b32_e32 v46, v43
.LBB53_50:                              ;   in Loop: Header=BB53_2 Depth=1
	s_or_b32 exec_lo, exec_lo, s7
	v_add_nc_u32_e32 v49, 1, v47
	v_add_nc_u32_e32 v50, 1, v45
	s_wait_dscnt 0x0
	v_bfe_i32 v51, v46, 0, 8
	v_bfe_i32 v52, v48, 0, 8
	s_wait_loadcnt 0x0
	v_cndmask_b32_e64 v49, v49, v47, s6
	v_cndmask_b32_e64 v47, v47, v45, s6
	;; [unrolled: 1-line block ×3, first 2 shown]
	v_cmp_lt_i16_e64 s7, v52, v51
	s_barrier_signal -1
	v_cmp_ge_i32_e64 s8, v49, v20
	s_barrier_wait -1
	v_cmp_lt_i32_e64 s9, v45, v21
	global_inv scope:SCOPE_SE
	ds_store_b8 v1, v41
	ds_store_b8 v1, v42 offset:1
	s_or_b32 s7, s8, s7
	s_wait_loadcnt_dscnt 0x0
	s_wait_alu 0xfffe
	s_and_b32 s7, s9, s7
	s_barrier_signal -1
	s_wait_alu 0xfffe
	v_cndmask_b32_e64 v42, v49, v45, s7
	s_barrier_wait -1
	global_inv scope:SCOPE_SE
	v_cndmask_b32_e64 v43, v43, v44, s6
	ds_load_u8 v41, v47
	ds_load_u8 v42, v42
	v_cndmask_b32_e64 v46, v46, v48, s7
	s_wait_loadcnt_dscnt 0x0
	s_barrier_signal -1
	s_barrier_wait -1
	global_inv scope:SCOPE_SE
	ds_store_b8 v1, v43
	ds_store_b8 v1, v46 offset:1
	v_mov_b32_e32 v43, v8
	s_wait_loadcnt_dscnt 0x0
	s_barrier_signal -1
	s_barrier_wait -1
	global_inv scope:SCOPE_SE
	s_and_saveexec_b32 s7, vcc_lo
	s_cbranch_execz .LBB53_54
; %bb.51:                               ;   in Loop: Header=BB53_2 Depth=1
	v_dual_mov_b32 v43, v8 :: v_dual_mov_b32 v44, v9
	s_mov_b32 s8, 0
.LBB53_52:                              ;   Parent Loop BB53_2 Depth=1
                                        ; =>  This Inner Loop Header: Depth=2
	s_delay_alu instid0(VALU_DEP_1) | instskip(NEXT) | instid1(VALU_DEP_1)
	v_sub_nc_u32_e32 v45, v44, v43
	v_lshrrev_b32_e32 v45, 1, v45
	s_delay_alu instid0(VALU_DEP_1) | instskip(NEXT) | instid1(VALU_DEP_1)
	v_add_nc_u32_e32 v45, v45, v43
	v_xad_u32 v46, v45, -1, v40
	v_add_nc_u32_e32 v48, 1, v45
	ds_load_i8 v47, v45
	ds_load_i8 v46, v46
	s_wait_dscnt 0x0
	v_cmp_lt_i16_e64 s6, v46, v47
	s_wait_alu 0xf1ff
	s_delay_alu instid0(VALU_DEP_1) | instskip(SKIP_1) | instid1(VALU_DEP_1)
	v_cndmask_b32_e64 v44, v44, v45, s6
	v_cndmask_b32_e64 v43, v48, v43, s6
	v_cmp_ge_i32_e64 s6, v43, v44
	s_or_b32 s8, s6, s8
	s_delay_alu instid0(SALU_CYCLE_1)
	s_and_not1_b32 exec_lo, exec_lo, s8
	s_cbranch_execnz .LBB53_52
; %bb.53:                               ;   in Loop: Header=BB53_2 Depth=1
	s_or_b32 exec_lo, exec_lo, s8
.LBB53_54:                              ;   in Loop: Header=BB53_2 Depth=1
	s_wait_alu 0xfffe
	s_or_b32 exec_lo, exec_lo, s7
	v_sub_nc_u32_e32 v44, v40, v43
	v_cmp_le_i32_e64 s6, 0x80, v43
                                        ; implicit-def: $vgpr48
                                        ; implicit-def: $vgpr47
	ds_load_u8 v45, v43
	ds_load_u8 v46, v44
	v_cmp_gt_i32_e64 s8, 0x100, v44
	s_wait_dscnt 0x1
	v_bfe_i32 v45, v45, 0, 8
	s_wait_dscnt 0x0
	v_bfe_i32 v46, v46, 0, 8
	s_delay_alu instid0(VALU_DEP_1)
	v_cmp_lt_i16_e64 s7, v46, v45
	s_or_b32 s6, s6, s7
	s_wait_alu 0xfffe
	s_and_b32 s6, s8, s6
	s_wait_alu 0xfffe
	s_xor_b32 s7, s6, -1
	s_wait_alu 0xfffe
	s_and_saveexec_b32 s8, s7
	s_delay_alu instid0(SALU_CYCLE_1)
	s_xor_b32 s7, exec_lo, s8
; %bb.55:                               ;   in Loop: Header=BB53_2 Depth=1
	ds_load_u8 v48, v43 offset:1
	v_add_nc_u32_e32 v47, 1, v43
; %bb.56:                               ;   in Loop: Header=BB53_2 Depth=1
	s_wait_alu 0xfffe
	s_or_saveexec_b32 s7, s7
	v_dual_mov_b32 v49, v43 :: v_dual_mov_b32 v50, v46
	s_wait_alu 0xfffe
	s_xor_b32 exec_lo, exec_lo, s7
	s_cbranch_execz .LBB53_1
; %bb.57:                               ;   in Loop: Header=BB53_2 Depth=1
	ds_load_u8 v50, v44 offset:1
	s_wait_dscnt 0x1
	v_dual_mov_b32 v49, v44 :: v_dual_add_nc_u32 v48, 1, v44
	s_delay_alu instid0(VALU_DEP_1)
	v_dual_mov_b32 v47, v43 :: v_dual_mov_b32 v44, v48
	v_mov_b32_e32 v48, v45
	s_branch .LBB53_1
.LBB53_58:
	s_add_nc_u64 s[0:1], s[10:11], s[12:13]
	s_wait_dscnt 0x1
	v_add_nc_u16 v2, v42, v44
	s_wait_alu 0xfffe
	v_add_co_u32 v0, s0, s0, v0
	s_wait_alu 0xf1ff
	v_add_co_ci_u32_e64 v1, null, s1, 0, s0
	s_wait_dscnt 0x0
	v_add_nc_u16 v3, v41, v43
	s_clause 0x1
	global_store_b8 v[0:1], v2, off
	global_store_b8 v[0:1], v3, off offset:128
	s_endpgm
	.section	.rodata,"a",@progbits
	.p2align	6, 0x0
	.amdhsa_kernel _Z17sort_pairs_kernelIaLj128ELj2EN10test_utils4lessELj10EEvPKT_PS2_T2_
		.amdhsa_group_segment_fixed_size 257
		.amdhsa_private_segment_fixed_size 0
		.amdhsa_kernarg_size 20
		.amdhsa_user_sgpr_count 2
		.amdhsa_user_sgpr_dispatch_ptr 0
		.amdhsa_user_sgpr_queue_ptr 0
		.amdhsa_user_sgpr_kernarg_segment_ptr 1
		.amdhsa_user_sgpr_dispatch_id 0
		.amdhsa_user_sgpr_private_segment_size 0
		.amdhsa_wavefront_size32 1
		.amdhsa_uses_dynamic_stack 0
		.amdhsa_enable_private_segment 0
		.amdhsa_system_sgpr_workgroup_id_x 1
		.amdhsa_system_sgpr_workgroup_id_y 0
		.amdhsa_system_sgpr_workgroup_id_z 0
		.amdhsa_system_sgpr_workgroup_info 0
		.amdhsa_system_vgpr_workitem_id 0
		.amdhsa_next_free_vgpr 54
		.amdhsa_next_free_sgpr 15
		.amdhsa_reserve_vcc 1
		.amdhsa_float_round_mode_32 0
		.amdhsa_float_round_mode_16_64 0
		.amdhsa_float_denorm_mode_32 3
		.amdhsa_float_denorm_mode_16_64 3
		.amdhsa_fp16_overflow 0
		.amdhsa_workgroup_processor_mode 1
		.amdhsa_memory_ordered 1
		.amdhsa_forward_progress 1
		.amdhsa_inst_pref_size 38
		.amdhsa_round_robin_scheduling 0
		.amdhsa_exception_fp_ieee_invalid_op 0
		.amdhsa_exception_fp_denorm_src 0
		.amdhsa_exception_fp_ieee_div_zero 0
		.amdhsa_exception_fp_ieee_overflow 0
		.amdhsa_exception_fp_ieee_underflow 0
		.amdhsa_exception_fp_ieee_inexact 0
		.amdhsa_exception_int_div_zero 0
	.end_amdhsa_kernel
	.section	.text._Z17sort_pairs_kernelIaLj128ELj2EN10test_utils4lessELj10EEvPKT_PS2_T2_,"axG",@progbits,_Z17sort_pairs_kernelIaLj128ELj2EN10test_utils4lessELj10EEvPKT_PS2_T2_,comdat
.Lfunc_end53:
	.size	_Z17sort_pairs_kernelIaLj128ELj2EN10test_utils4lessELj10EEvPKT_PS2_T2_, .Lfunc_end53-_Z17sort_pairs_kernelIaLj128ELj2EN10test_utils4lessELj10EEvPKT_PS2_T2_
                                        ; -- End function
	.set _Z17sort_pairs_kernelIaLj128ELj2EN10test_utils4lessELj10EEvPKT_PS2_T2_.num_vgpr, 54
	.set _Z17sort_pairs_kernelIaLj128ELj2EN10test_utils4lessELj10EEvPKT_PS2_T2_.num_agpr, 0
	.set _Z17sort_pairs_kernelIaLj128ELj2EN10test_utils4lessELj10EEvPKT_PS2_T2_.numbered_sgpr, 15
	.set _Z17sort_pairs_kernelIaLj128ELj2EN10test_utils4lessELj10EEvPKT_PS2_T2_.num_named_barrier, 0
	.set _Z17sort_pairs_kernelIaLj128ELj2EN10test_utils4lessELj10EEvPKT_PS2_T2_.private_seg_size, 0
	.set _Z17sort_pairs_kernelIaLj128ELj2EN10test_utils4lessELj10EEvPKT_PS2_T2_.uses_vcc, 1
	.set _Z17sort_pairs_kernelIaLj128ELj2EN10test_utils4lessELj10EEvPKT_PS2_T2_.uses_flat_scratch, 0
	.set _Z17sort_pairs_kernelIaLj128ELj2EN10test_utils4lessELj10EEvPKT_PS2_T2_.has_dyn_sized_stack, 0
	.set _Z17sort_pairs_kernelIaLj128ELj2EN10test_utils4lessELj10EEvPKT_PS2_T2_.has_recursion, 0
	.set _Z17sort_pairs_kernelIaLj128ELj2EN10test_utils4lessELj10EEvPKT_PS2_T2_.has_indirect_call, 0
	.section	.AMDGPU.csdata,"",@progbits
; Kernel info:
; codeLenInByte = 4744
; TotalNumSgprs: 17
; NumVgprs: 54
; ScratchSize: 0
; MemoryBound: 0
; FloatMode: 240
; IeeeMode: 1
; LDSByteSize: 257 bytes/workgroup (compile time only)
; SGPRBlocks: 0
; VGPRBlocks: 6
; NumSGPRsForWavesPerEU: 17
; NumVGPRsForWavesPerEU: 54
; Occupancy: 16
; WaveLimiterHint : 1
; COMPUTE_PGM_RSRC2:SCRATCH_EN: 0
; COMPUTE_PGM_RSRC2:USER_SGPR: 2
; COMPUTE_PGM_RSRC2:TRAP_HANDLER: 0
; COMPUTE_PGM_RSRC2:TGID_X_EN: 1
; COMPUTE_PGM_RSRC2:TGID_Y_EN: 0
; COMPUTE_PGM_RSRC2:TGID_Z_EN: 0
; COMPUTE_PGM_RSRC2:TIDIG_COMP_CNT: 0
	.section	.text._Z16sort_keys_kernelIaLj128ELj3EN10test_utils4lessELj10EEvPKT_PS2_T2_,"axG",@progbits,_Z16sort_keys_kernelIaLj128ELj3EN10test_utils4lessELj10EEvPKT_PS2_T2_,comdat
	.protected	_Z16sort_keys_kernelIaLj128ELj3EN10test_utils4lessELj10EEvPKT_PS2_T2_ ; -- Begin function _Z16sort_keys_kernelIaLj128ELj3EN10test_utils4lessELj10EEvPKT_PS2_T2_
	.globl	_Z16sort_keys_kernelIaLj128ELj3EN10test_utils4lessELj10EEvPKT_PS2_T2_
	.p2align	8
	.type	_Z16sort_keys_kernelIaLj128ELj3EN10test_utils4lessELj10EEvPKT_PS2_T2_,@function
_Z16sort_keys_kernelIaLj128ELj3EN10test_utils4lessELj10EEvPKT_PS2_T2_: ; @_Z16sort_keys_kernelIaLj128ELj3EN10test_utils4lessELj10EEvPKT_PS2_T2_
; %bb.0:
	s_load_b128 s[8:11], s[0:1], 0x0
	s_mul_i32 s12, ttmp9, 0x180
	s_mov_b32 s13, 0
	v_and_b32_e32 v3, 0x7e, v0
	v_and_b32_e32 v5, 0x7c, v0
	;; [unrolled: 1-line block ×5, first 2 shown]
	v_mul_u32_u24_e32 v10, 3, v3
	v_and_b32_e32 v8, 0x60, v0
	v_mul_u32_u24_e32 v11, 3, v5
	v_mul_u32_u24_e32 v12, 3, v6
	v_and_b32_e32 v9, 64, v0
	v_min_u32_e32 v23, 0x17d, v10
	v_min_u32_e32 v16, 0x17a, v10
	v_cmp_eq_u32_e32 vcc_lo, 1, v4
	v_mul_u32_u24_e32 v13, 3, v7
	v_mul_u32_u24_e32 v14, 3, v8
	v_min_u32_e32 v6, 0x180, v11
	v_min_u32_e32 v24, 0x17a, v11
	s_wait_kmcnt 0x0
	s_add_nc_u64 s[0:1], s[8:9], s[12:13]
	v_min_u32_e32 v17, 0x174, v11
	s_clause 0x2
	global_load_u8 v46, v0, s[0:1] offset:128
	global_load_u8 v47, v0, s[0:1] offset:256
	global_load_u8 v48, v0, s[0:1]
	v_min_u32_e32 v7, 0x180, v12
	v_min_u32_e32 v25, 0x174, v12
	;; [unrolled: 1-line block ×3, first 2 shown]
	v_add_nc_u32_e32 v11, 3, v23
	v_add_nc_u32_e32 v12, 6, v16
	v_and_b32_e32 v29, 3, v0
	v_cndmask_b32_e64 v40, 0, 3, vcc_lo
	v_mul_u32_u24_e32 v15, 3, v9
	v_min_u32_e32 v5, 0x180, v10
	v_min_u32_e32 v8, 0x180, v13
	;; [unrolled: 1-line block ×7, first 2 shown]
	v_add_nc_u32_e32 v13, 6, v24
	v_add_nc_u32_e32 v14, 12, v17
	v_sub_nc_u32_e32 v49, v12, v11
	v_and_b32_e32 v30, 7, v0
	v_mul_u32_u24_e32 v41, 3, v29
	v_min_u32_e32 v10, 0x180, v15
	v_min_u32_e32 v51, 0x120, v15
	v_min_u32_e32 v22, 0xc0, v15
	v_add_nc_u32_e32 v15, 12, v25
	v_add_nc_u32_e32 v16, 24, v18
	v_sub_nc_u32_e32 v34, v11, v5
	v_sub_nc_u32_e32 v52, v14, v13
	v_sub_nc_u32_e32 v57, v40, v49
	v_cmp_ge_i32_e64 s0, v40, v49
	v_and_b32_e32 v31, 15, v0
	v_mul_u32_u24_e32 v42, 3, v30
	v_add_nc_u32_e32 v17, 24, v26
	v_add_nc_u32_e32 v18, 48, v19
	;; [unrolled: 1-line block ×4, first 2 shown]
	v_sub_nc_u32_e32 v35, v13, v6
	v_sub_nc_u32_e32 v53, v16, v15
	v_min_i32_e32 v34, v40, v34
	v_sub_nc_u32_e32 v58, v41, v52
	v_cndmask_b32_e64 v40, 0, v57, s0
	v_cmp_ge_i32_e64 s0, v41, v52
	v_and_b32_e32 v32, 31, v0
	v_mul_u32_u24_e32 v43, 3, v31
	v_add_nc_u32_e32 v19, 48, v27
	v_add_nc_u32_e32 v20, 0x60, v20
	v_sub_nc_u32_e32 v36, v15, v7
	v_sub_nc_u32_e32 v54, v18, v17
	v_min_i32_e32 v35, v41, v35
	v_sub_nc_u32_e32 v59, v42, v53
	s_wait_alu 0xf1ff
	v_cndmask_b32_e64 v41, 0, v58, s0
	v_cmp_ge_i32_e64 s0, v42, v53
	v_and_b32_e32 v50, 63, v0
	v_mul_u32_u24_e32 v44, 3, v32
	v_add_nc_u32_e32 v21, 0x60, v51
	v_add_nc_u32_e32 v22, 0xc0, v22
	v_sub_nc_u32_e32 v37, v17, v8
	v_sub_nc_u32_e32 v55, v20, v19
	v_min_i32_e32 v36, v42, v36
	v_sub_nc_u32_e32 v60, v43, v54
	s_wait_alu 0xf1ff
	v_cndmask_b32_e64 v42, 0, v59, s0
	v_cmp_ge_i32_e64 s0, v43, v54
	v_mul_u32_u24_e32 v45, 3, v50
	v_sub_nc_u32_e32 v38, v19, v9
	v_sub_nc_u32_e32 v56, v22, v21
	v_min_i32_e32 v37, v43, v37
	v_sub_nc_u32_e32 v61, v44, v55
	s_wait_alu 0xf1ff
	v_cndmask_b32_e64 v43, 0, v60, s0
	v_cmp_ge_i32_e64 s0, v44, v55
	v_sub_nc_u32_e32 v39, v21, v10
	v_min_i32_e32 v38, v44, v38
	v_sub_nc_u32_e32 v62, v45, v56
	v_mul_u32_u24_e32 v1, 3, v0
	s_wait_alu 0xf1ff
	v_cndmask_b32_e64 v44, 0, v61, s0
	v_cmp_ge_i32_e64 s0, v45, v56
	v_min_i32_e32 v39, v45, v39
	v_mad_u32_u24 v2, v0, 3, 0xc0
	v_subrev_nc_u32_e64 v3, 0xc0, v1 clamp
	v_min_i32_e32 v4, 0xc0, v1
	s_wait_alu 0xf1ff
	v_cndmask_b32_e64 v45, 0, v62, s0
	v_mad_u32_u24 v24, v29, 3, v24
	v_mad_u32_u24 v25, v30, 3, v25
	;; [unrolled: 1-line block ×9, first 2 shown]
	v_cmp_lt_i32_e64 s0, v40, v34
	v_cmp_lt_i32_e64 s1, v41, v35
	;; [unrolled: 1-line block ×6, first 2 shown]
	s_mov_b32 s14, s13
	v_cmp_lt_i32_e32 vcc_lo, v3, v4
	s_wait_loadcnt 0x0
	v_perm_b32 v46, v48, v46, 0xc0c0004
	s_delay_alu instid0(VALU_DEP_1)
	v_lshl_or_b32 v49, v47, 16, v46
	v_mad_u32_u24 v46, v50, 3, v51
	s_branch .LBB54_2
.LBB54_1:                               ;   in Loop: Header=BB54_2 Depth=1
	s_or_b32 exec_lo, exec_lo, s8
	s_wait_dscnt 0x0
	v_bfe_i32 v54, v52, 0, 8
	v_bfe_i32 v56, v55, 0, 8
	v_cndmask_b32_e64 v50, v50, v51, s7
	v_cmp_le_i32_e64 s7, 0xc0, v53
	v_cndmask_b32_e64 v47, v47, v48, s6
	v_cmp_gt_i32_e64 s6, 0x180, v49
	v_cmp_lt_i16_e64 s8, v56, v54
	v_lshlrev_b16 v49, 8, v50
	s_add_co_i32 s14, s14, 1
	v_and_b32_e32 v51, 0xff, v47
	s_or_b32 s7, s7, s8
	s_wait_alu 0xfffe
	s_and_b32 s6, s6, s7
	s_delay_alu instid0(VALU_DEP_1) | instskip(SKIP_3) | instid1(VALU_DEP_2)
	v_or_b32_e32 v49, v51, v49
	s_wait_alu 0xfffe
	v_cndmask_b32_e64 v48, v52, v55, s6
	s_cmp_eq_u32 s14, 10
	v_and_b32_e32 v49, 0xffff, v49
	s_delay_alu instid0(VALU_DEP_2) | instskip(NEXT) | instid1(VALU_DEP_1)
	v_and_b32_e32 v51, 0xff, v48
	v_lshlrev_b32_e32 v51, 16, v51
	s_delay_alu instid0(VALU_DEP_1)
	v_or_b32_e32 v49, v49, v51
	s_cbranch_scc1 .LBB54_86
.LBB54_2:                               ; =>This Loop Header: Depth=1
                                        ;     Child Loop BB54_4 Depth 2
                                        ;     Child Loop BB54_16 Depth 2
	;; [unrolled: 1-line block ×7, first 2 shown]
	s_delay_alu instid0(VALU_DEP_1) | instskip(SKIP_3) | instid1(VALU_DEP_3)
	v_lshrrev_b32_e32 v47, 8, v49
	v_bfe_i32 v48, v49, 0, 8
	v_perm_b32 v50, v49, v49, 0x7060405
	s_barrier_signal -1
	v_bfe_i32 v47, v47, 0, 8
	s_barrier_wait -1
	global_inv scope:SCOPE_SE
	v_cmp_lt_i16_e64 s6, v47, v48
	v_max_i16 v51, v47, v48
	v_min_i16 v47, v47, v48
	s_wait_alu 0xf1ff
	s_delay_alu instid0(VALU_DEP_3) | instskip(NEXT) | instid1(VALU_DEP_2)
	v_cndmask_b32_e64 v49, v49, v50, s6
	v_lshlrev_b16 v52, 8, v47
	s_delay_alu instid0(VALU_DEP_2) | instskip(SKIP_1) | instid1(VALU_DEP_2)
	v_lshrrev_b32_e32 v50, 16, v49
	v_perm_b32 v53, v49, v51, 0x7000604
	v_bfe_i32 v50, v50, 0, 8
	s_delay_alu instid0(VALU_DEP_1) | instskip(SKIP_1) | instid1(VALU_DEP_2)
	v_min_i16 v48, v50, v51
	v_cmp_lt_i16_e64 s6, v50, v51
	v_and_b32_e32 v48, 0xff, v48
	s_wait_alu 0xf1ff
	s_delay_alu instid0(VALU_DEP_2) | instskip(SKIP_1) | instid1(VALU_DEP_3)
	v_cndmask_b32_e64 v49, v49, v53, s6
	v_cmp_lt_i16_e64 s6, v50, v47
	v_or_b32_e32 v48, v48, v52
	s_delay_alu instid0(VALU_DEP_1) | instskip(NEXT) | instid1(VALU_DEP_1)
	v_and_b32_e32 v48, 0xffff, v48
	v_and_or_b32 v48, 0xffff0000, v49, v48
	s_wait_alu 0xf1ff
	s_delay_alu instid0(VALU_DEP_1) | instskip(SKIP_1) | instid1(VALU_DEP_2)
	v_cndmask_b32_e64 v47, v49, v48, s6
	v_mov_b32_e32 v49, v40
	v_lshrrev_b32_e32 v48, 8, v47
	ds_store_b8 v1, v47
	ds_store_b8 v1, v48 offset:1
	ds_store_b8_d16_hi v1, v47 offset:2
	s_wait_loadcnt_dscnt 0x0
	s_barrier_signal -1
	s_barrier_wait -1
	global_inv scope:SCOPE_SE
	s_and_saveexec_b32 s7, s0
	s_cbranch_execz .LBB54_6
; %bb.3:                                ;   in Loop: Header=BB54_2 Depth=1
	v_mov_b32_e32 v49, v40
	v_mov_b32_e32 v47, v34
	s_mov_b32 s8, 0
.LBB54_4:                               ;   Parent Loop BB54_2 Depth=1
                                        ; =>  This Inner Loop Header: Depth=2
	s_delay_alu instid0(VALU_DEP_1) | instskip(NEXT) | instid1(VALU_DEP_1)
	v_sub_nc_u32_e32 v48, v47, v49
	v_lshrrev_b32_e32 v48, 1, v48
	s_delay_alu instid0(VALU_DEP_1) | instskip(NEXT) | instid1(VALU_DEP_1)
	v_add_nc_u32_e32 v48, v48, v49
	v_add_nc_u32_e32 v50, v5, v48
	v_xad_u32 v51, v48, -1, v23
	v_add_nc_u32_e32 v52, 1, v48
	ds_load_i8 v50, v50
	ds_load_i8 v51, v51 offset:3
	s_wait_dscnt 0x0
	v_cmp_lt_i16_e64 s6, v51, v50
	s_wait_alu 0xf1ff
	s_delay_alu instid0(VALU_DEP_1) | instskip(SKIP_1) | instid1(VALU_DEP_1)
	v_cndmask_b32_e64 v47, v47, v48, s6
	v_cndmask_b32_e64 v49, v52, v49, s6
	v_cmp_ge_i32_e64 s6, v49, v47
	s_or_b32 s8, s6, s8
	s_delay_alu instid0(SALU_CYCLE_1)
	s_and_not1_b32 exec_lo, exec_lo, s8
	s_cbranch_execnz .LBB54_4
; %bb.5:                                ;   in Loop: Header=BB54_2 Depth=1
	s_or_b32 exec_lo, exec_lo, s8
.LBB54_6:                               ;   in Loop: Header=BB54_2 Depth=1
	s_wait_alu 0xfffe
	s_or_b32 exec_lo, exec_lo, s7
	v_add_nc_u32_e32 v51, v49, v5
	v_sub_nc_u32_e32 v53, v23, v49
	v_sub_nc_u32_e32 v52, v28, v49
                                        ; implicit-def: $vgpr49
	ds_load_u8 v47, v51
	ds_load_u8 v48, v53 offset:3
	v_cmp_le_i32_e64 s6, v11, v51
	v_cmp_gt_i32_e64 s8, v12, v52
	s_wait_dscnt 0x1
	v_bfe_i32 v47, v47, 0, 8
	s_wait_dscnt 0x0
	v_bfe_i32 v48, v48, 0, 8
	s_delay_alu instid0(VALU_DEP_1)
	v_cmp_lt_i16_e64 s7, v48, v47
	s_or_b32 s6, s6, s7
	s_wait_alu 0xfffe
	s_and_b32 s6, s8, s6
	s_wait_alu 0xfffe
	s_xor_b32 s7, s6, -1
	s_wait_alu 0xfffe
	s_and_saveexec_b32 s8, s7
	s_delay_alu instid0(SALU_CYCLE_1)
	s_xor_b32 s7, exec_lo, s8
; %bb.7:                                ;   in Loop: Header=BB54_2 Depth=1
	ds_load_u8 v49, v51 offset:1
                                        ; implicit-def: $vgpr53
; %bb.8:                                ;   in Loop: Header=BB54_2 Depth=1
	s_wait_alu 0xfffe
	s_or_saveexec_b32 s7, s7
	v_mov_b32_e32 v50, v48
	s_wait_alu 0xfffe
	s_xor_b32 exec_lo, exec_lo, s7
	s_cbranch_execz .LBB54_10
; %bb.9:                                ;   in Loop: Header=BB54_2 Depth=1
	ds_load_u8 v50, v53 offset:4
	s_wait_dscnt 0x1
	v_mov_b32_e32 v49, v47
.LBB54_10:                              ;   in Loop: Header=BB54_2 Depth=1
	s_or_b32 exec_lo, exec_lo, s7
	v_add_nc_u32_e32 v53, 1, v51
	v_add_nc_u32_e32 v54, 1, v52
	s_wait_dscnt 0x0
	v_bfe_i32 v55, v49, 0, 8
	s_delay_alu instid0(VALU_DEP_3) | instskip(SKIP_2) | instid1(VALU_DEP_3)
	v_cndmask_b32_e64 v53, v53, v51, s6
	v_bfe_i32 v51, v50, 0, 8
	v_cndmask_b32_e64 v52, v52, v54, s6
	v_cmp_ge_i32_e64 s7, v53, v11
	s_delay_alu instid0(VALU_DEP_3) | instskip(NEXT) | instid1(VALU_DEP_3)
	v_cmp_lt_i16_e64 s8, v51, v55
	v_cmp_lt_i32_e64 s9, v52, v12
                                        ; implicit-def: $vgpr51
	s_or_b32 s7, s7, s8
	s_wait_alu 0xfffe
	s_and_b32 s7, s9, s7
	s_wait_alu 0xfffe
	s_xor_b32 s8, s7, -1
	s_delay_alu instid0(SALU_CYCLE_1) | instskip(NEXT) | instid1(SALU_CYCLE_1)
	s_and_saveexec_b32 s9, s8
	s_xor_b32 s8, exec_lo, s9
; %bb.11:                               ;   in Loop: Header=BB54_2 Depth=1
	ds_load_u8 v51, v53 offset:1
; %bb.12:                               ;   in Loop: Header=BB54_2 Depth=1
	s_or_saveexec_b32 s8, s8
	v_mov_b32_e32 v54, v50
	s_xor_b32 exec_lo, exec_lo, s8
	s_cbranch_execz .LBB54_14
; %bb.13:                               ;   in Loop: Header=BB54_2 Depth=1
	ds_load_u8 v54, v52 offset:1
	s_wait_dscnt 0x1
	v_mov_b32_e32 v51, v49
.LBB54_14:                              ;   in Loop: Header=BB54_2 Depth=1
	s_or_b32 exec_lo, exec_lo, s8
	v_add_nc_u32_e32 v55, 1, v53
	v_add_nc_u32_e32 v56, 1, v52
	s_wait_dscnt 0x0
	v_bfe_i32 v57, v51, 0, 8
	v_bfe_i32 v58, v54, 0, 8
	v_cndmask_b32_e64 v50, v49, v50, s7
	v_cndmask_b32_e64 v53, v55, v53, s7
	v_mov_b32_e32 v49, v41
	v_cndmask_b32_e64 v52, v52, v56, s7
	v_cmp_lt_i16_e64 s7, v58, v57
	v_cndmask_b32_e64 v47, v47, v48, s6
	v_cmp_ge_i32_e64 s8, v53, v11
	s_wait_loadcnt 0x0
	v_cmp_lt_i32_e64 s6, v52, v12
	s_barrier_signal -1
	s_barrier_wait -1
	s_or_b32 s7, s8, s7
	global_inv scope:SCOPE_SE
	s_wait_alu 0xfffe
	s_and_b32 s6, s6, s7
	s_wait_alu 0xfffe
	v_cndmask_b32_e64 v48, v51, v54, s6
	ds_store_b8 v1, v47
	ds_store_b8 v1, v50 offset:1
	ds_store_b8 v1, v48 offset:2
	s_wait_loadcnt_dscnt 0x0
	s_barrier_signal -1
	s_barrier_wait -1
	global_inv scope:SCOPE_SE
	s_and_saveexec_b32 s7, s1
	s_cbranch_execz .LBB54_18
; %bb.15:                               ;   in Loop: Header=BB54_2 Depth=1
	v_mov_b32_e32 v49, v41
	v_mov_b32_e32 v47, v35
	s_mov_b32 s8, 0
.LBB54_16:                              ;   Parent Loop BB54_2 Depth=1
                                        ; =>  This Inner Loop Header: Depth=2
	s_delay_alu instid0(VALU_DEP_1) | instskip(NEXT) | instid1(VALU_DEP_1)
	v_sub_nc_u32_e32 v48, v47, v49
	v_lshrrev_b32_e32 v48, 1, v48
	s_delay_alu instid0(VALU_DEP_1) | instskip(NEXT) | instid1(VALU_DEP_1)
	v_add_nc_u32_e32 v48, v48, v49
	v_add_nc_u32_e32 v50, v6, v48
	v_xad_u32 v51, v48, -1, v24
	v_add_nc_u32_e32 v52, 1, v48
	ds_load_i8 v50, v50
	ds_load_i8 v51, v51 offset:6
	s_wait_dscnt 0x0
	v_cmp_lt_i16_e64 s6, v51, v50
	s_wait_alu 0xf1ff
	s_delay_alu instid0(VALU_DEP_1) | instskip(SKIP_1) | instid1(VALU_DEP_1)
	v_cndmask_b32_e64 v47, v47, v48, s6
	v_cndmask_b32_e64 v49, v52, v49, s6
	v_cmp_ge_i32_e64 s6, v49, v47
	s_or_b32 s8, s6, s8
	s_delay_alu instid0(SALU_CYCLE_1)
	s_and_not1_b32 exec_lo, exec_lo, s8
	s_cbranch_execnz .LBB54_16
; %bb.17:                               ;   in Loop: Header=BB54_2 Depth=1
	s_or_b32 exec_lo, exec_lo, s8
.LBB54_18:                              ;   in Loop: Header=BB54_2 Depth=1
	s_wait_alu 0xfffe
	s_or_b32 exec_lo, exec_lo, s7
	v_add_nc_u32_e32 v51, v49, v6
	v_sub_nc_u32_e32 v53, v24, v49
	v_sub_nc_u32_e32 v52, v29, v49
                                        ; implicit-def: $vgpr49
	ds_load_u8 v47, v51
	ds_load_u8 v48, v53 offset:6
	v_cmp_le_i32_e64 s6, v13, v51
	v_cmp_gt_i32_e64 s8, v14, v52
	s_wait_dscnt 0x1
	v_bfe_i32 v47, v47, 0, 8
	s_wait_dscnt 0x0
	v_bfe_i32 v48, v48, 0, 8
	s_delay_alu instid0(VALU_DEP_1)
	v_cmp_lt_i16_e64 s7, v48, v47
	s_or_b32 s6, s6, s7
	s_wait_alu 0xfffe
	s_and_b32 s6, s8, s6
	s_wait_alu 0xfffe
	s_xor_b32 s7, s6, -1
	s_wait_alu 0xfffe
	s_and_saveexec_b32 s8, s7
	s_delay_alu instid0(SALU_CYCLE_1)
	s_xor_b32 s7, exec_lo, s8
; %bb.19:                               ;   in Loop: Header=BB54_2 Depth=1
	ds_load_u8 v49, v51 offset:1
                                        ; implicit-def: $vgpr53
; %bb.20:                               ;   in Loop: Header=BB54_2 Depth=1
	s_wait_alu 0xfffe
	s_or_saveexec_b32 s7, s7
	v_mov_b32_e32 v50, v48
	s_wait_alu 0xfffe
	s_xor_b32 exec_lo, exec_lo, s7
	s_cbranch_execz .LBB54_22
; %bb.21:                               ;   in Loop: Header=BB54_2 Depth=1
	ds_load_u8 v50, v53 offset:7
	s_wait_dscnt 0x1
	v_mov_b32_e32 v49, v47
.LBB54_22:                              ;   in Loop: Header=BB54_2 Depth=1
	s_or_b32 exec_lo, exec_lo, s7
	v_add_nc_u32_e32 v53, 1, v51
	v_add_nc_u32_e32 v54, 1, v52
	s_wait_dscnt 0x0
	v_bfe_i32 v55, v49, 0, 8
	s_delay_alu instid0(VALU_DEP_3) | instskip(SKIP_2) | instid1(VALU_DEP_3)
	v_cndmask_b32_e64 v53, v53, v51, s6
	v_bfe_i32 v51, v50, 0, 8
	v_cndmask_b32_e64 v52, v52, v54, s6
	v_cmp_ge_i32_e64 s7, v53, v13
	s_delay_alu instid0(VALU_DEP_3) | instskip(NEXT) | instid1(VALU_DEP_3)
	v_cmp_lt_i16_e64 s8, v51, v55
	v_cmp_lt_i32_e64 s9, v52, v14
                                        ; implicit-def: $vgpr51
	s_or_b32 s7, s7, s8
	s_wait_alu 0xfffe
	s_and_b32 s7, s9, s7
	s_wait_alu 0xfffe
	s_xor_b32 s8, s7, -1
	s_delay_alu instid0(SALU_CYCLE_1) | instskip(NEXT) | instid1(SALU_CYCLE_1)
	s_and_saveexec_b32 s9, s8
	s_xor_b32 s8, exec_lo, s9
; %bb.23:                               ;   in Loop: Header=BB54_2 Depth=1
	ds_load_u8 v51, v53 offset:1
; %bb.24:                               ;   in Loop: Header=BB54_2 Depth=1
	s_or_saveexec_b32 s8, s8
	v_mov_b32_e32 v54, v50
	s_xor_b32 exec_lo, exec_lo, s8
	s_cbranch_execz .LBB54_26
; %bb.25:                               ;   in Loop: Header=BB54_2 Depth=1
	ds_load_u8 v54, v52 offset:1
	s_wait_dscnt 0x1
	v_mov_b32_e32 v51, v49
.LBB54_26:                              ;   in Loop: Header=BB54_2 Depth=1
	s_or_b32 exec_lo, exec_lo, s8
	v_add_nc_u32_e32 v55, 1, v53
	v_add_nc_u32_e32 v56, 1, v52
	s_wait_dscnt 0x0
	v_bfe_i32 v57, v51, 0, 8
	v_bfe_i32 v58, v54, 0, 8
	v_cndmask_b32_e64 v50, v49, v50, s7
	v_cndmask_b32_e64 v53, v55, v53, s7
	v_mov_b32_e32 v49, v42
	v_cndmask_b32_e64 v52, v52, v56, s7
	v_cmp_lt_i16_e64 s7, v58, v57
	v_cndmask_b32_e64 v47, v47, v48, s6
	v_cmp_ge_i32_e64 s8, v53, v13
	s_wait_loadcnt 0x0
	v_cmp_lt_i32_e64 s6, v52, v14
	s_barrier_signal -1
	s_barrier_wait -1
	s_or_b32 s7, s8, s7
	global_inv scope:SCOPE_SE
	s_wait_alu 0xfffe
	s_and_b32 s6, s6, s7
	s_wait_alu 0xfffe
	v_cndmask_b32_e64 v48, v51, v54, s6
	ds_store_b8 v1, v47
	ds_store_b8 v1, v50 offset:1
	ds_store_b8 v1, v48 offset:2
	s_wait_loadcnt_dscnt 0x0
	s_barrier_signal -1
	s_barrier_wait -1
	global_inv scope:SCOPE_SE
	s_and_saveexec_b32 s7, s2
	s_cbranch_execz .LBB54_30
; %bb.27:                               ;   in Loop: Header=BB54_2 Depth=1
	v_mov_b32_e32 v49, v42
	v_mov_b32_e32 v47, v36
	s_mov_b32 s8, 0
.LBB54_28:                              ;   Parent Loop BB54_2 Depth=1
                                        ; =>  This Inner Loop Header: Depth=2
	s_delay_alu instid0(VALU_DEP_1) | instskip(NEXT) | instid1(VALU_DEP_1)
	v_sub_nc_u32_e32 v48, v47, v49
	v_lshrrev_b32_e32 v48, 1, v48
	s_delay_alu instid0(VALU_DEP_1) | instskip(NEXT) | instid1(VALU_DEP_1)
	v_add_nc_u32_e32 v48, v48, v49
	v_add_nc_u32_e32 v50, v7, v48
	v_xad_u32 v51, v48, -1, v25
	v_add_nc_u32_e32 v52, 1, v48
	ds_load_i8 v50, v50
	ds_load_i8 v51, v51 offset:12
	s_wait_dscnt 0x0
	v_cmp_lt_i16_e64 s6, v51, v50
	s_wait_alu 0xf1ff
	s_delay_alu instid0(VALU_DEP_1) | instskip(SKIP_1) | instid1(VALU_DEP_1)
	v_cndmask_b32_e64 v47, v47, v48, s6
	v_cndmask_b32_e64 v49, v52, v49, s6
	v_cmp_ge_i32_e64 s6, v49, v47
	s_or_b32 s8, s6, s8
	s_delay_alu instid0(SALU_CYCLE_1)
	s_and_not1_b32 exec_lo, exec_lo, s8
	s_cbranch_execnz .LBB54_28
; %bb.29:                               ;   in Loop: Header=BB54_2 Depth=1
	s_or_b32 exec_lo, exec_lo, s8
.LBB54_30:                              ;   in Loop: Header=BB54_2 Depth=1
	s_wait_alu 0xfffe
	s_or_b32 exec_lo, exec_lo, s7
	v_add_nc_u32_e32 v51, v49, v7
	v_sub_nc_u32_e32 v53, v25, v49
	v_sub_nc_u32_e32 v52, v30, v49
                                        ; implicit-def: $vgpr49
	ds_load_u8 v47, v51
	ds_load_u8 v48, v53 offset:12
	v_cmp_le_i32_e64 s6, v15, v51
	v_cmp_gt_i32_e64 s8, v16, v52
	s_wait_dscnt 0x1
	v_bfe_i32 v47, v47, 0, 8
	s_wait_dscnt 0x0
	v_bfe_i32 v48, v48, 0, 8
	s_delay_alu instid0(VALU_DEP_1)
	v_cmp_lt_i16_e64 s7, v48, v47
	s_or_b32 s6, s6, s7
	s_wait_alu 0xfffe
	s_and_b32 s6, s8, s6
	s_wait_alu 0xfffe
	s_xor_b32 s7, s6, -1
	s_wait_alu 0xfffe
	s_and_saveexec_b32 s8, s7
	s_delay_alu instid0(SALU_CYCLE_1)
	s_xor_b32 s7, exec_lo, s8
; %bb.31:                               ;   in Loop: Header=BB54_2 Depth=1
	ds_load_u8 v49, v51 offset:1
                                        ; implicit-def: $vgpr53
; %bb.32:                               ;   in Loop: Header=BB54_2 Depth=1
	s_wait_alu 0xfffe
	s_or_saveexec_b32 s7, s7
	v_mov_b32_e32 v50, v48
	s_wait_alu 0xfffe
	s_xor_b32 exec_lo, exec_lo, s7
	s_cbranch_execz .LBB54_34
; %bb.33:                               ;   in Loop: Header=BB54_2 Depth=1
	ds_load_u8 v50, v53 offset:13
	s_wait_dscnt 0x1
	v_mov_b32_e32 v49, v47
.LBB54_34:                              ;   in Loop: Header=BB54_2 Depth=1
	s_or_b32 exec_lo, exec_lo, s7
	v_add_nc_u32_e32 v53, 1, v51
	v_add_nc_u32_e32 v54, 1, v52
	s_wait_dscnt 0x0
	v_bfe_i32 v55, v49, 0, 8
	s_delay_alu instid0(VALU_DEP_3) | instskip(SKIP_2) | instid1(VALU_DEP_3)
	v_cndmask_b32_e64 v53, v53, v51, s6
	v_bfe_i32 v51, v50, 0, 8
	v_cndmask_b32_e64 v52, v52, v54, s6
	v_cmp_ge_i32_e64 s7, v53, v15
	s_delay_alu instid0(VALU_DEP_3) | instskip(NEXT) | instid1(VALU_DEP_3)
	v_cmp_lt_i16_e64 s8, v51, v55
	v_cmp_lt_i32_e64 s9, v52, v16
                                        ; implicit-def: $vgpr51
	s_or_b32 s7, s7, s8
	s_wait_alu 0xfffe
	s_and_b32 s7, s9, s7
	s_wait_alu 0xfffe
	s_xor_b32 s8, s7, -1
	s_delay_alu instid0(SALU_CYCLE_1) | instskip(NEXT) | instid1(SALU_CYCLE_1)
	s_and_saveexec_b32 s9, s8
	s_xor_b32 s8, exec_lo, s9
; %bb.35:                               ;   in Loop: Header=BB54_2 Depth=1
	ds_load_u8 v51, v53 offset:1
; %bb.36:                               ;   in Loop: Header=BB54_2 Depth=1
	s_or_saveexec_b32 s8, s8
	v_mov_b32_e32 v54, v50
	s_xor_b32 exec_lo, exec_lo, s8
	s_cbranch_execz .LBB54_38
; %bb.37:                               ;   in Loop: Header=BB54_2 Depth=1
	ds_load_u8 v54, v52 offset:1
	s_wait_dscnt 0x1
	v_mov_b32_e32 v51, v49
.LBB54_38:                              ;   in Loop: Header=BB54_2 Depth=1
	s_or_b32 exec_lo, exec_lo, s8
	v_add_nc_u32_e32 v55, 1, v53
	v_add_nc_u32_e32 v56, 1, v52
	s_wait_dscnt 0x0
	v_bfe_i32 v57, v51, 0, 8
	v_bfe_i32 v58, v54, 0, 8
	v_cndmask_b32_e64 v50, v49, v50, s7
	v_cndmask_b32_e64 v53, v55, v53, s7
	v_mov_b32_e32 v49, v43
	v_cndmask_b32_e64 v52, v52, v56, s7
	v_cmp_lt_i16_e64 s7, v58, v57
	v_cndmask_b32_e64 v47, v47, v48, s6
	v_cmp_ge_i32_e64 s8, v53, v15
	s_wait_loadcnt 0x0
	v_cmp_lt_i32_e64 s6, v52, v16
	s_barrier_signal -1
	s_barrier_wait -1
	s_or_b32 s7, s8, s7
	global_inv scope:SCOPE_SE
	s_wait_alu 0xfffe
	s_and_b32 s6, s6, s7
	s_wait_alu 0xfffe
	v_cndmask_b32_e64 v48, v51, v54, s6
	ds_store_b8 v1, v47
	ds_store_b8 v1, v50 offset:1
	ds_store_b8 v1, v48 offset:2
	s_wait_loadcnt_dscnt 0x0
	s_barrier_signal -1
	s_barrier_wait -1
	global_inv scope:SCOPE_SE
	s_and_saveexec_b32 s7, s3
	s_cbranch_execz .LBB54_42
; %bb.39:                               ;   in Loop: Header=BB54_2 Depth=1
	v_mov_b32_e32 v49, v43
	v_mov_b32_e32 v47, v37
	s_mov_b32 s8, 0
.LBB54_40:                              ;   Parent Loop BB54_2 Depth=1
                                        ; =>  This Inner Loop Header: Depth=2
	s_delay_alu instid0(VALU_DEP_1) | instskip(NEXT) | instid1(VALU_DEP_1)
	v_sub_nc_u32_e32 v48, v47, v49
	v_lshrrev_b32_e32 v48, 1, v48
	s_delay_alu instid0(VALU_DEP_1) | instskip(NEXT) | instid1(VALU_DEP_1)
	v_add_nc_u32_e32 v48, v48, v49
	v_add_nc_u32_e32 v50, v8, v48
	v_xad_u32 v51, v48, -1, v26
	v_add_nc_u32_e32 v52, 1, v48
	ds_load_i8 v50, v50
	ds_load_i8 v51, v51 offset:24
	s_wait_dscnt 0x0
	v_cmp_lt_i16_e64 s6, v51, v50
	s_wait_alu 0xf1ff
	s_delay_alu instid0(VALU_DEP_1) | instskip(SKIP_1) | instid1(VALU_DEP_1)
	v_cndmask_b32_e64 v47, v47, v48, s6
	v_cndmask_b32_e64 v49, v52, v49, s6
	v_cmp_ge_i32_e64 s6, v49, v47
	s_or_b32 s8, s6, s8
	s_delay_alu instid0(SALU_CYCLE_1)
	s_and_not1_b32 exec_lo, exec_lo, s8
	s_cbranch_execnz .LBB54_40
; %bb.41:                               ;   in Loop: Header=BB54_2 Depth=1
	s_or_b32 exec_lo, exec_lo, s8
.LBB54_42:                              ;   in Loop: Header=BB54_2 Depth=1
	s_wait_alu 0xfffe
	s_or_b32 exec_lo, exec_lo, s7
	v_add_nc_u32_e32 v51, v49, v8
	v_sub_nc_u32_e32 v53, v26, v49
	v_sub_nc_u32_e32 v52, v31, v49
                                        ; implicit-def: $vgpr49
	ds_load_u8 v47, v51
	ds_load_u8 v48, v53 offset:24
	v_cmp_le_i32_e64 s6, v17, v51
	v_cmp_gt_i32_e64 s8, v18, v52
	s_wait_dscnt 0x1
	v_bfe_i32 v47, v47, 0, 8
	s_wait_dscnt 0x0
	v_bfe_i32 v48, v48, 0, 8
	s_delay_alu instid0(VALU_DEP_1)
	v_cmp_lt_i16_e64 s7, v48, v47
	s_or_b32 s6, s6, s7
	s_wait_alu 0xfffe
	s_and_b32 s6, s8, s6
	s_wait_alu 0xfffe
	s_xor_b32 s7, s6, -1
	s_wait_alu 0xfffe
	s_and_saveexec_b32 s8, s7
	s_delay_alu instid0(SALU_CYCLE_1)
	s_xor_b32 s7, exec_lo, s8
; %bb.43:                               ;   in Loop: Header=BB54_2 Depth=1
	ds_load_u8 v49, v51 offset:1
                                        ; implicit-def: $vgpr53
; %bb.44:                               ;   in Loop: Header=BB54_2 Depth=1
	s_wait_alu 0xfffe
	s_or_saveexec_b32 s7, s7
	v_mov_b32_e32 v50, v48
	s_wait_alu 0xfffe
	s_xor_b32 exec_lo, exec_lo, s7
	s_cbranch_execz .LBB54_46
; %bb.45:                               ;   in Loop: Header=BB54_2 Depth=1
	ds_load_u8 v50, v53 offset:25
	s_wait_dscnt 0x1
	v_mov_b32_e32 v49, v47
.LBB54_46:                              ;   in Loop: Header=BB54_2 Depth=1
	s_or_b32 exec_lo, exec_lo, s7
	v_add_nc_u32_e32 v53, 1, v51
	v_add_nc_u32_e32 v54, 1, v52
	s_wait_dscnt 0x0
	v_bfe_i32 v55, v49, 0, 8
	s_delay_alu instid0(VALU_DEP_3) | instskip(SKIP_2) | instid1(VALU_DEP_3)
	v_cndmask_b32_e64 v53, v53, v51, s6
	v_bfe_i32 v51, v50, 0, 8
	v_cndmask_b32_e64 v52, v52, v54, s6
	v_cmp_ge_i32_e64 s7, v53, v17
	s_delay_alu instid0(VALU_DEP_3) | instskip(NEXT) | instid1(VALU_DEP_3)
	v_cmp_lt_i16_e64 s8, v51, v55
	v_cmp_lt_i32_e64 s9, v52, v18
                                        ; implicit-def: $vgpr51
	s_or_b32 s7, s7, s8
	s_wait_alu 0xfffe
	s_and_b32 s7, s9, s7
	s_wait_alu 0xfffe
	s_xor_b32 s8, s7, -1
	s_delay_alu instid0(SALU_CYCLE_1) | instskip(NEXT) | instid1(SALU_CYCLE_1)
	s_and_saveexec_b32 s9, s8
	s_xor_b32 s8, exec_lo, s9
; %bb.47:                               ;   in Loop: Header=BB54_2 Depth=1
	ds_load_u8 v51, v53 offset:1
; %bb.48:                               ;   in Loop: Header=BB54_2 Depth=1
	s_or_saveexec_b32 s8, s8
	v_mov_b32_e32 v54, v50
	s_xor_b32 exec_lo, exec_lo, s8
	s_cbranch_execz .LBB54_50
; %bb.49:                               ;   in Loop: Header=BB54_2 Depth=1
	ds_load_u8 v54, v52 offset:1
	s_wait_dscnt 0x1
	v_mov_b32_e32 v51, v49
.LBB54_50:                              ;   in Loop: Header=BB54_2 Depth=1
	s_or_b32 exec_lo, exec_lo, s8
	v_add_nc_u32_e32 v55, 1, v53
	v_add_nc_u32_e32 v56, 1, v52
	s_wait_dscnt 0x0
	v_bfe_i32 v57, v51, 0, 8
	v_bfe_i32 v58, v54, 0, 8
	v_cndmask_b32_e64 v50, v49, v50, s7
	v_cndmask_b32_e64 v53, v55, v53, s7
	v_mov_b32_e32 v49, v44
	v_cndmask_b32_e64 v52, v52, v56, s7
	v_cmp_lt_i16_e64 s7, v58, v57
	v_cndmask_b32_e64 v47, v47, v48, s6
	v_cmp_ge_i32_e64 s8, v53, v17
	s_wait_loadcnt 0x0
	v_cmp_lt_i32_e64 s6, v52, v18
	s_barrier_signal -1
	s_barrier_wait -1
	s_or_b32 s7, s8, s7
	global_inv scope:SCOPE_SE
	s_wait_alu 0xfffe
	s_and_b32 s6, s6, s7
	s_wait_alu 0xfffe
	v_cndmask_b32_e64 v48, v51, v54, s6
	ds_store_b8 v1, v47
	ds_store_b8 v1, v50 offset:1
	ds_store_b8 v1, v48 offset:2
	s_wait_loadcnt_dscnt 0x0
	s_barrier_signal -1
	s_barrier_wait -1
	global_inv scope:SCOPE_SE
	s_and_saveexec_b32 s7, s4
	s_cbranch_execz .LBB54_54
; %bb.51:                               ;   in Loop: Header=BB54_2 Depth=1
	v_mov_b32_e32 v49, v44
	v_mov_b32_e32 v47, v38
	s_mov_b32 s8, 0
.LBB54_52:                              ;   Parent Loop BB54_2 Depth=1
                                        ; =>  This Inner Loop Header: Depth=2
	s_delay_alu instid0(VALU_DEP_1) | instskip(NEXT) | instid1(VALU_DEP_1)
	v_sub_nc_u32_e32 v48, v47, v49
	v_lshrrev_b32_e32 v48, 1, v48
	s_delay_alu instid0(VALU_DEP_1) | instskip(NEXT) | instid1(VALU_DEP_1)
	v_add_nc_u32_e32 v48, v48, v49
	v_add_nc_u32_e32 v50, v9, v48
	v_xad_u32 v51, v48, -1, v27
	v_add_nc_u32_e32 v52, 1, v48
	ds_load_i8 v50, v50
	ds_load_i8 v51, v51 offset:48
	s_wait_dscnt 0x0
	v_cmp_lt_i16_e64 s6, v51, v50
	s_wait_alu 0xf1ff
	s_delay_alu instid0(VALU_DEP_1) | instskip(SKIP_1) | instid1(VALU_DEP_1)
	v_cndmask_b32_e64 v47, v47, v48, s6
	v_cndmask_b32_e64 v49, v52, v49, s6
	v_cmp_ge_i32_e64 s6, v49, v47
	s_or_b32 s8, s6, s8
	s_delay_alu instid0(SALU_CYCLE_1)
	s_and_not1_b32 exec_lo, exec_lo, s8
	s_cbranch_execnz .LBB54_52
; %bb.53:                               ;   in Loop: Header=BB54_2 Depth=1
	s_or_b32 exec_lo, exec_lo, s8
.LBB54_54:                              ;   in Loop: Header=BB54_2 Depth=1
	s_wait_alu 0xfffe
	s_or_b32 exec_lo, exec_lo, s7
	v_add_nc_u32_e32 v51, v49, v9
	v_sub_nc_u32_e32 v53, v27, v49
	v_sub_nc_u32_e32 v52, v32, v49
                                        ; implicit-def: $vgpr49
	ds_load_u8 v47, v51
	ds_load_u8 v48, v53 offset:48
	v_cmp_le_i32_e64 s6, v19, v51
	v_cmp_gt_i32_e64 s8, v20, v52
	s_wait_dscnt 0x1
	v_bfe_i32 v47, v47, 0, 8
	s_wait_dscnt 0x0
	v_bfe_i32 v48, v48, 0, 8
	s_delay_alu instid0(VALU_DEP_1)
	v_cmp_lt_i16_e64 s7, v48, v47
	s_or_b32 s6, s6, s7
	s_wait_alu 0xfffe
	s_and_b32 s6, s8, s6
	s_wait_alu 0xfffe
	s_xor_b32 s7, s6, -1
	s_wait_alu 0xfffe
	s_and_saveexec_b32 s8, s7
	s_delay_alu instid0(SALU_CYCLE_1)
	s_xor_b32 s7, exec_lo, s8
; %bb.55:                               ;   in Loop: Header=BB54_2 Depth=1
	ds_load_u8 v49, v51 offset:1
                                        ; implicit-def: $vgpr53
; %bb.56:                               ;   in Loop: Header=BB54_2 Depth=1
	s_wait_alu 0xfffe
	s_or_saveexec_b32 s7, s7
	v_mov_b32_e32 v50, v48
	s_wait_alu 0xfffe
	s_xor_b32 exec_lo, exec_lo, s7
	s_cbranch_execz .LBB54_58
; %bb.57:                               ;   in Loop: Header=BB54_2 Depth=1
	ds_load_u8 v50, v53 offset:49
	s_wait_dscnt 0x1
	v_mov_b32_e32 v49, v47
.LBB54_58:                              ;   in Loop: Header=BB54_2 Depth=1
	s_or_b32 exec_lo, exec_lo, s7
	v_add_nc_u32_e32 v53, 1, v51
	v_add_nc_u32_e32 v54, 1, v52
	s_wait_dscnt 0x0
	v_bfe_i32 v55, v49, 0, 8
	s_delay_alu instid0(VALU_DEP_3) | instskip(SKIP_2) | instid1(VALU_DEP_3)
	v_cndmask_b32_e64 v53, v53, v51, s6
	v_bfe_i32 v51, v50, 0, 8
	v_cndmask_b32_e64 v52, v52, v54, s6
	v_cmp_ge_i32_e64 s7, v53, v19
	s_delay_alu instid0(VALU_DEP_3) | instskip(NEXT) | instid1(VALU_DEP_3)
	v_cmp_lt_i16_e64 s8, v51, v55
	v_cmp_lt_i32_e64 s9, v52, v20
                                        ; implicit-def: $vgpr51
	s_or_b32 s7, s7, s8
	s_wait_alu 0xfffe
	s_and_b32 s7, s9, s7
	s_wait_alu 0xfffe
	s_xor_b32 s8, s7, -1
	s_delay_alu instid0(SALU_CYCLE_1) | instskip(NEXT) | instid1(SALU_CYCLE_1)
	s_and_saveexec_b32 s9, s8
	s_xor_b32 s8, exec_lo, s9
; %bb.59:                               ;   in Loop: Header=BB54_2 Depth=1
	ds_load_u8 v51, v53 offset:1
; %bb.60:                               ;   in Loop: Header=BB54_2 Depth=1
	s_or_saveexec_b32 s8, s8
	v_mov_b32_e32 v54, v50
	s_xor_b32 exec_lo, exec_lo, s8
	s_cbranch_execz .LBB54_62
; %bb.61:                               ;   in Loop: Header=BB54_2 Depth=1
	ds_load_u8 v54, v52 offset:1
	s_wait_dscnt 0x1
	v_mov_b32_e32 v51, v49
.LBB54_62:                              ;   in Loop: Header=BB54_2 Depth=1
	s_or_b32 exec_lo, exec_lo, s8
	v_add_nc_u32_e32 v55, 1, v53
	v_add_nc_u32_e32 v56, 1, v52
	s_wait_dscnt 0x0
	v_bfe_i32 v57, v51, 0, 8
	v_bfe_i32 v58, v54, 0, 8
	v_cndmask_b32_e64 v50, v49, v50, s7
	v_cndmask_b32_e64 v53, v55, v53, s7
	v_mov_b32_e32 v49, v45
	v_cndmask_b32_e64 v52, v52, v56, s7
	v_cmp_lt_i16_e64 s7, v58, v57
	v_cndmask_b32_e64 v47, v47, v48, s6
	v_cmp_ge_i32_e64 s8, v53, v19
	s_wait_loadcnt 0x0
	v_cmp_lt_i32_e64 s6, v52, v20
	s_barrier_signal -1
	s_barrier_wait -1
	s_or_b32 s7, s8, s7
	global_inv scope:SCOPE_SE
	s_wait_alu 0xfffe
	s_and_b32 s6, s6, s7
	s_wait_alu 0xfffe
	v_cndmask_b32_e64 v48, v51, v54, s6
	ds_store_b8 v1, v47
	ds_store_b8 v1, v50 offset:1
	ds_store_b8 v1, v48 offset:2
	s_wait_loadcnt_dscnt 0x0
	s_barrier_signal -1
	s_barrier_wait -1
	global_inv scope:SCOPE_SE
	s_and_saveexec_b32 s7, s5
	s_cbranch_execz .LBB54_66
; %bb.63:                               ;   in Loop: Header=BB54_2 Depth=1
	v_mov_b32_e32 v49, v45
	v_mov_b32_e32 v47, v39
	s_mov_b32 s8, 0
.LBB54_64:                              ;   Parent Loop BB54_2 Depth=1
                                        ; =>  This Inner Loop Header: Depth=2
	s_delay_alu instid0(VALU_DEP_1) | instskip(NEXT) | instid1(VALU_DEP_1)
	v_sub_nc_u32_e32 v48, v47, v49
	v_lshrrev_b32_e32 v48, 1, v48
	s_delay_alu instid0(VALU_DEP_1) | instskip(NEXT) | instid1(VALU_DEP_1)
	v_add_nc_u32_e32 v48, v48, v49
	v_add_nc_u32_e32 v50, v10, v48
	v_xad_u32 v51, v48, -1, v46
	v_add_nc_u32_e32 v52, 1, v48
	ds_load_i8 v50, v50
	ds_load_i8 v51, v51 offset:96
	s_wait_dscnt 0x0
	v_cmp_lt_i16_e64 s6, v51, v50
	s_wait_alu 0xf1ff
	s_delay_alu instid0(VALU_DEP_1) | instskip(SKIP_1) | instid1(VALU_DEP_1)
	v_cndmask_b32_e64 v47, v47, v48, s6
	v_cndmask_b32_e64 v49, v52, v49, s6
	v_cmp_ge_i32_e64 s6, v49, v47
	s_or_b32 s8, s6, s8
	s_delay_alu instid0(SALU_CYCLE_1)
	s_and_not1_b32 exec_lo, exec_lo, s8
	s_cbranch_execnz .LBB54_64
; %bb.65:                               ;   in Loop: Header=BB54_2 Depth=1
	s_or_b32 exec_lo, exec_lo, s8
.LBB54_66:                              ;   in Loop: Header=BB54_2 Depth=1
	s_wait_alu 0xfffe
	s_or_b32 exec_lo, exec_lo, s7
	v_add_nc_u32_e32 v51, v49, v10
	v_sub_nc_u32_e32 v53, v46, v49
	v_sub_nc_u32_e32 v52, v33, v49
                                        ; implicit-def: $vgpr49
	ds_load_u8 v47, v51
	ds_load_u8 v48, v53 offset:96
	v_cmp_le_i32_e64 s6, v21, v51
	v_cmp_gt_i32_e64 s8, v22, v52
	s_wait_dscnt 0x1
	v_bfe_i32 v47, v47, 0, 8
	s_wait_dscnt 0x0
	v_bfe_i32 v48, v48, 0, 8
	s_delay_alu instid0(VALU_DEP_1)
	v_cmp_lt_i16_e64 s7, v48, v47
	s_or_b32 s6, s6, s7
	s_wait_alu 0xfffe
	s_and_b32 s6, s8, s6
	s_wait_alu 0xfffe
	s_xor_b32 s7, s6, -1
	s_wait_alu 0xfffe
	s_and_saveexec_b32 s8, s7
	s_delay_alu instid0(SALU_CYCLE_1)
	s_xor_b32 s7, exec_lo, s8
; %bb.67:                               ;   in Loop: Header=BB54_2 Depth=1
	ds_load_u8 v49, v51 offset:1
                                        ; implicit-def: $vgpr53
; %bb.68:                               ;   in Loop: Header=BB54_2 Depth=1
	s_wait_alu 0xfffe
	s_or_saveexec_b32 s7, s7
	v_mov_b32_e32 v50, v48
	s_wait_alu 0xfffe
	s_xor_b32 exec_lo, exec_lo, s7
	s_cbranch_execz .LBB54_70
; %bb.69:                               ;   in Loop: Header=BB54_2 Depth=1
	ds_load_u8 v50, v53 offset:97
	s_wait_dscnt 0x1
	v_mov_b32_e32 v49, v47
.LBB54_70:                              ;   in Loop: Header=BB54_2 Depth=1
	s_or_b32 exec_lo, exec_lo, s7
	v_add_nc_u32_e32 v53, 1, v51
	v_add_nc_u32_e32 v54, 1, v52
	s_wait_dscnt 0x0
	v_bfe_i32 v55, v49, 0, 8
	s_delay_alu instid0(VALU_DEP_3) | instskip(SKIP_2) | instid1(VALU_DEP_3)
	v_cndmask_b32_e64 v53, v53, v51, s6
	v_bfe_i32 v51, v50, 0, 8
	v_cndmask_b32_e64 v52, v52, v54, s6
	v_cmp_ge_i32_e64 s7, v53, v21
	s_delay_alu instid0(VALU_DEP_3) | instskip(NEXT) | instid1(VALU_DEP_3)
	v_cmp_lt_i16_e64 s8, v51, v55
	v_cmp_lt_i32_e64 s9, v52, v22
                                        ; implicit-def: $vgpr51
	s_or_b32 s7, s7, s8
	s_wait_alu 0xfffe
	s_and_b32 s7, s9, s7
	s_wait_alu 0xfffe
	s_xor_b32 s8, s7, -1
	s_delay_alu instid0(SALU_CYCLE_1) | instskip(NEXT) | instid1(SALU_CYCLE_1)
	s_and_saveexec_b32 s9, s8
	s_xor_b32 s8, exec_lo, s9
; %bb.71:                               ;   in Loop: Header=BB54_2 Depth=1
	ds_load_u8 v51, v53 offset:1
; %bb.72:                               ;   in Loop: Header=BB54_2 Depth=1
	s_or_saveexec_b32 s8, s8
	v_mov_b32_e32 v54, v50
	s_xor_b32 exec_lo, exec_lo, s8
	s_cbranch_execz .LBB54_74
; %bb.73:                               ;   in Loop: Header=BB54_2 Depth=1
	ds_load_u8 v54, v52 offset:1
	s_wait_dscnt 0x1
	v_mov_b32_e32 v51, v49
.LBB54_74:                              ;   in Loop: Header=BB54_2 Depth=1
	s_or_b32 exec_lo, exec_lo, s8
	v_add_nc_u32_e32 v55, 1, v53
	v_add_nc_u32_e32 v56, 1, v52
	s_wait_dscnt 0x0
	v_bfe_i32 v57, v51, 0, 8
	v_bfe_i32 v58, v54, 0, 8
	v_cndmask_b32_e64 v50, v49, v50, s7
	v_cndmask_b32_e64 v53, v55, v53, s7
	v_mov_b32_e32 v49, v3
	v_cndmask_b32_e64 v52, v52, v56, s7
	v_cmp_lt_i16_e64 s7, v58, v57
	v_cndmask_b32_e64 v47, v47, v48, s6
	v_cmp_ge_i32_e64 s8, v53, v21
	s_wait_loadcnt 0x0
	v_cmp_lt_i32_e64 s6, v52, v22
	s_barrier_signal -1
	s_barrier_wait -1
	s_or_b32 s7, s8, s7
	global_inv scope:SCOPE_SE
	s_wait_alu 0xfffe
	s_and_b32 s6, s6, s7
	s_wait_alu 0xfffe
	v_cndmask_b32_e64 v48, v51, v54, s6
	ds_store_b8 v1, v47
	ds_store_b8 v1, v50 offset:1
	ds_store_b8 v1, v48 offset:2
	s_wait_loadcnt_dscnt 0x0
	s_barrier_signal -1
	s_barrier_wait -1
	global_inv scope:SCOPE_SE
	s_and_saveexec_b32 s7, vcc_lo
	s_cbranch_execz .LBB54_78
; %bb.75:                               ;   in Loop: Header=BB54_2 Depth=1
	v_mov_b32_e32 v49, v3
	v_mov_b32_e32 v47, v4
	s_mov_b32 s8, 0
.LBB54_76:                              ;   Parent Loop BB54_2 Depth=1
                                        ; =>  This Inner Loop Header: Depth=2
	s_delay_alu instid0(VALU_DEP_1) | instskip(NEXT) | instid1(VALU_DEP_1)
	v_sub_nc_u32_e32 v48, v47, v49
	v_lshrrev_b32_e32 v48, 1, v48
	s_delay_alu instid0(VALU_DEP_1) | instskip(NEXT) | instid1(VALU_DEP_1)
	v_add_nc_u32_e32 v48, v48, v49
	v_xad_u32 v50, v48, -1, v1
	v_add_nc_u32_e32 v52, 1, v48
	ds_load_i8 v51, v48
	ds_load_i8 v50, v50 offset:192
	s_wait_dscnt 0x0
	v_cmp_lt_i16_e64 s6, v50, v51
	s_wait_alu 0xf1ff
	s_delay_alu instid0(VALU_DEP_1) | instskip(SKIP_1) | instid1(VALU_DEP_1)
	v_cndmask_b32_e64 v47, v47, v48, s6
	v_cndmask_b32_e64 v49, v52, v49, s6
	v_cmp_ge_i32_e64 s6, v49, v47
	s_or_b32 s8, s6, s8
	s_delay_alu instid0(SALU_CYCLE_1)
	s_and_not1_b32 exec_lo, exec_lo, s8
	s_cbranch_execnz .LBB54_76
; %bb.77:                               ;   in Loop: Header=BB54_2 Depth=1
	s_or_b32 exec_lo, exec_lo, s8
.LBB54_78:                              ;   in Loop: Header=BB54_2 Depth=1
	s_wait_alu 0xfffe
	s_or_b32 exec_lo, exec_lo, s7
	v_sub_nc_u32_e32 v53, v1, v49
	v_sub_nc_u32_e32 v52, v2, v49
	v_cmp_le_i32_e64 s6, 0xc0, v49
                                        ; implicit-def: $vgpr50
	ds_load_u8 v47, v49
	ds_load_u8 v48, v53 offset:192
	v_cmp_gt_i32_e64 s8, 0x180, v52
	s_wait_dscnt 0x1
	v_bfe_i32 v47, v47, 0, 8
	s_wait_dscnt 0x0
	v_bfe_i32 v48, v48, 0, 8
	s_delay_alu instid0(VALU_DEP_1)
	v_cmp_lt_i16_e64 s7, v48, v47
	s_or_b32 s6, s6, s7
	s_wait_alu 0xfffe
	s_and_b32 s6, s8, s6
	s_wait_alu 0xfffe
	s_xor_b32 s7, s6, -1
	s_wait_alu 0xfffe
	s_and_saveexec_b32 s8, s7
	s_delay_alu instid0(SALU_CYCLE_1)
	s_xor_b32 s7, exec_lo, s8
; %bb.79:                               ;   in Loop: Header=BB54_2 Depth=1
	ds_load_u8 v50, v49 offset:1
                                        ; implicit-def: $vgpr53
; %bb.80:                               ;   in Loop: Header=BB54_2 Depth=1
	s_wait_alu 0xfffe
	s_or_saveexec_b32 s7, s7
	v_mov_b32_e32 v51, v48
	s_wait_alu 0xfffe
	s_xor_b32 exec_lo, exec_lo, s7
	s_cbranch_execz .LBB54_82
; %bb.81:                               ;   in Loop: Header=BB54_2 Depth=1
	ds_load_u8 v51, v53 offset:193
	s_wait_dscnt 0x1
	v_mov_b32_e32 v50, v47
.LBB54_82:                              ;   in Loop: Header=BB54_2 Depth=1
	s_or_b32 exec_lo, exec_lo, s7
	v_add_nc_u32_e32 v53, 1, v49
	v_add_nc_u32_e32 v55, 1, v52
	s_wait_dscnt 0x0
	v_bfe_i32 v56, v50, 0, 8
	s_delay_alu instid0(VALU_DEP_3) | instskip(SKIP_2) | instid1(VALU_DEP_3)
	v_cndmask_b32_e64 v54, v53, v49, s6
	v_bfe_i32 v53, v51, 0, 8
	v_cndmask_b32_e64 v49, v52, v55, s6
                                        ; implicit-def: $vgpr52
	v_cmp_le_i32_e64 s7, 0xc0, v54
	s_delay_alu instid0(VALU_DEP_3) | instskip(NEXT) | instid1(VALU_DEP_3)
	v_cmp_lt_i16_e64 s8, v53, v56
	v_cmp_gt_i32_e64 s9, 0x180, v49
                                        ; implicit-def: $vgpr53
	s_or_b32 s7, s7, s8
	s_wait_alu 0xfffe
	s_and_b32 s7, s9, s7
	s_wait_alu 0xfffe
	s_xor_b32 s8, s7, -1
	s_delay_alu instid0(SALU_CYCLE_1) | instskip(NEXT) | instid1(SALU_CYCLE_1)
	s_and_saveexec_b32 s9, s8
	s_xor_b32 s8, exec_lo, s9
; %bb.83:                               ;   in Loop: Header=BB54_2 Depth=1
	ds_load_u8 v52, v54 offset:1
	v_add_nc_u32_e32 v53, 1, v54
                                        ; implicit-def: $vgpr54
; %bb.84:                               ;   in Loop: Header=BB54_2 Depth=1
	s_or_saveexec_b32 s8, s8
	v_mov_b32_e32 v55, v51
	s_xor_b32 exec_lo, exec_lo, s8
	s_cbranch_execz .LBB54_1
; %bb.85:                               ;   in Loop: Header=BB54_2 Depth=1
	ds_load_u8 v55, v49 offset:1
	s_wait_dscnt 0x1
	v_dual_mov_b32 v52, v50 :: v_dual_add_nc_u32 v49, 1, v49
	v_mov_b32_e32 v53, v54
	s_branch .LBB54_1
.LBB54_86:
	s_add_nc_u64 s[0:1], s[10:11], s[12:13]
	s_wait_alu 0xfffe
	v_add_co_u32 v0, s0, s0, v0
	s_wait_alu 0xf1ff
	v_add_co_ci_u32_e64 v1, null, s1, 0, s0
	s_clause 0x2
	global_store_b8 v[0:1], v47, off
	global_store_b8 v[0:1], v50, off offset:128
	global_store_b8 v[0:1], v48, off offset:256
	s_endpgm
	.section	.rodata,"a",@progbits
	.p2align	6, 0x0
	.amdhsa_kernel _Z16sort_keys_kernelIaLj128ELj3EN10test_utils4lessELj10EEvPKT_PS2_T2_
		.amdhsa_group_segment_fixed_size 385
		.amdhsa_private_segment_fixed_size 0
		.amdhsa_kernarg_size 20
		.amdhsa_user_sgpr_count 2
		.amdhsa_user_sgpr_dispatch_ptr 0
		.amdhsa_user_sgpr_queue_ptr 0
		.amdhsa_user_sgpr_kernarg_segment_ptr 1
		.amdhsa_user_sgpr_dispatch_id 0
		.amdhsa_user_sgpr_private_segment_size 0
		.amdhsa_wavefront_size32 1
		.amdhsa_uses_dynamic_stack 0
		.amdhsa_enable_private_segment 0
		.amdhsa_system_sgpr_workgroup_id_x 1
		.amdhsa_system_sgpr_workgroup_id_y 0
		.amdhsa_system_sgpr_workgroup_id_z 0
		.amdhsa_system_sgpr_workgroup_info 0
		.amdhsa_system_vgpr_workitem_id 0
		.amdhsa_next_free_vgpr 63
		.amdhsa_next_free_sgpr 15
		.amdhsa_reserve_vcc 1
		.amdhsa_float_round_mode_32 0
		.amdhsa_float_round_mode_16_64 0
		.amdhsa_float_denorm_mode_32 3
		.amdhsa_float_denorm_mode_16_64 3
		.amdhsa_fp16_overflow 0
		.amdhsa_workgroup_processor_mode 1
		.amdhsa_memory_ordered 1
		.amdhsa_forward_progress 1
		.amdhsa_inst_pref_size 45
		.amdhsa_round_robin_scheduling 0
		.amdhsa_exception_fp_ieee_invalid_op 0
		.amdhsa_exception_fp_denorm_src 0
		.amdhsa_exception_fp_ieee_div_zero 0
		.amdhsa_exception_fp_ieee_overflow 0
		.amdhsa_exception_fp_ieee_underflow 0
		.amdhsa_exception_fp_ieee_inexact 0
		.amdhsa_exception_int_div_zero 0
	.end_amdhsa_kernel
	.section	.text._Z16sort_keys_kernelIaLj128ELj3EN10test_utils4lessELj10EEvPKT_PS2_T2_,"axG",@progbits,_Z16sort_keys_kernelIaLj128ELj3EN10test_utils4lessELj10EEvPKT_PS2_T2_,comdat
.Lfunc_end54:
	.size	_Z16sort_keys_kernelIaLj128ELj3EN10test_utils4lessELj10EEvPKT_PS2_T2_, .Lfunc_end54-_Z16sort_keys_kernelIaLj128ELj3EN10test_utils4lessELj10EEvPKT_PS2_T2_
                                        ; -- End function
	.set _Z16sort_keys_kernelIaLj128ELj3EN10test_utils4lessELj10EEvPKT_PS2_T2_.num_vgpr, 63
	.set _Z16sort_keys_kernelIaLj128ELj3EN10test_utils4lessELj10EEvPKT_PS2_T2_.num_agpr, 0
	.set _Z16sort_keys_kernelIaLj128ELj3EN10test_utils4lessELj10EEvPKT_PS2_T2_.numbered_sgpr, 15
	.set _Z16sort_keys_kernelIaLj128ELj3EN10test_utils4lessELj10EEvPKT_PS2_T2_.num_named_barrier, 0
	.set _Z16sort_keys_kernelIaLj128ELj3EN10test_utils4lessELj10EEvPKT_PS2_T2_.private_seg_size, 0
	.set _Z16sort_keys_kernelIaLj128ELj3EN10test_utils4lessELj10EEvPKT_PS2_T2_.uses_vcc, 1
	.set _Z16sort_keys_kernelIaLj128ELj3EN10test_utils4lessELj10EEvPKT_PS2_T2_.uses_flat_scratch, 0
	.set _Z16sort_keys_kernelIaLj128ELj3EN10test_utils4lessELj10EEvPKT_PS2_T2_.has_dyn_sized_stack, 0
	.set _Z16sort_keys_kernelIaLj128ELj3EN10test_utils4lessELj10EEvPKT_PS2_T2_.has_recursion, 0
	.set _Z16sort_keys_kernelIaLj128ELj3EN10test_utils4lessELj10EEvPKT_PS2_T2_.has_indirect_call, 0
	.section	.AMDGPU.csdata,"",@progbits
; Kernel info:
; codeLenInByte = 5712
; TotalNumSgprs: 17
; NumVgprs: 63
; ScratchSize: 0
; MemoryBound: 0
; FloatMode: 240
; IeeeMode: 1
; LDSByteSize: 385 bytes/workgroup (compile time only)
; SGPRBlocks: 0
; VGPRBlocks: 7
; NumSGPRsForWavesPerEU: 17
; NumVGPRsForWavesPerEU: 63
; Occupancy: 16
; WaveLimiterHint : 1
; COMPUTE_PGM_RSRC2:SCRATCH_EN: 0
; COMPUTE_PGM_RSRC2:USER_SGPR: 2
; COMPUTE_PGM_RSRC2:TRAP_HANDLER: 0
; COMPUTE_PGM_RSRC2:TGID_X_EN: 1
; COMPUTE_PGM_RSRC2:TGID_Y_EN: 0
; COMPUTE_PGM_RSRC2:TGID_Z_EN: 0
; COMPUTE_PGM_RSRC2:TIDIG_COMP_CNT: 0
	.section	.text._Z17sort_pairs_kernelIaLj128ELj3EN10test_utils4lessELj10EEvPKT_PS2_T2_,"axG",@progbits,_Z17sort_pairs_kernelIaLj128ELj3EN10test_utils4lessELj10EEvPKT_PS2_T2_,comdat
	.protected	_Z17sort_pairs_kernelIaLj128ELj3EN10test_utils4lessELj10EEvPKT_PS2_T2_ ; -- Begin function _Z17sort_pairs_kernelIaLj128ELj3EN10test_utils4lessELj10EEvPKT_PS2_T2_
	.globl	_Z17sort_pairs_kernelIaLj128ELj3EN10test_utils4lessELj10EEvPKT_PS2_T2_
	.p2align	8
	.type	_Z17sort_pairs_kernelIaLj128ELj3EN10test_utils4lessELj10EEvPKT_PS2_T2_,@function
_Z17sort_pairs_kernelIaLj128ELj3EN10test_utils4lessELj10EEvPKT_PS2_T2_: ; @_Z17sort_pairs_kernelIaLj128ELj3EN10test_utils4lessELj10EEvPKT_PS2_T2_
; %bb.0:
	s_load_b128 s[12:15], s[0:1], 0x0
	s_mul_i32 s16, ttmp9, 0x180
	s_mov_b32 s17, 0
	v_and_b32_e32 v3, 0x7e, v0
	v_and_b32_e32 v5, 0x7c, v0
	v_and_b32_e32 v6, 0x78, v0
	v_and_b32_e32 v4, 1, v0
	v_and_b32_e32 v7, 0x70, v0
	v_mul_u32_u24_e32 v10, 3, v3
	v_and_b32_e32 v8, 0x60, v0
	v_mul_u32_u24_e32 v11, 3, v5
	v_mul_u32_u24_e32 v12, 3, v6
	v_and_b32_e32 v9, 64, v0
	v_min_u32_e32 v23, 0x17d, v10
	v_min_u32_e32 v16, 0x17a, v10
	v_cmp_eq_u32_e32 vcc_lo, 1, v4
	v_mul_u32_u24_e32 v13, 3, v7
	v_mul_u32_u24_e32 v14, 3, v8
	v_min_u32_e32 v6, 0x180, v11
	v_min_u32_e32 v24, 0x17a, v11
	s_wait_kmcnt 0x0
	s_add_nc_u64 s[0:1], s[12:13], s[16:17]
	v_min_u32_e32 v17, 0x174, v11
	s_clause 0x2
	global_load_u8 v46, v0, s[0:1]
	global_load_u8 v47, v0, s[0:1] offset:128
	global_load_u8 v50, v0, s[0:1] offset:256
	v_min_u32_e32 v7, 0x180, v12
	v_min_u32_e32 v25, 0x174, v12
	;; [unrolled: 1-line block ×3, first 2 shown]
	v_add_nc_u32_e32 v11, 3, v23
	v_add_nc_u32_e32 v12, 6, v16
	v_and_b32_e32 v29, 3, v0
	v_cndmask_b32_e64 v40, 0, 3, vcc_lo
	v_mul_u32_u24_e32 v15, 3, v9
	v_min_u32_e32 v5, 0x180, v10
	v_min_u32_e32 v8, 0x180, v13
	;; [unrolled: 1-line block ×7, first 2 shown]
	v_add_nc_u32_e32 v13, 6, v24
	v_add_nc_u32_e32 v14, 12, v17
	v_sub_nc_u32_e32 v48, v12, v11
	v_and_b32_e32 v30, 7, v0
	v_mul_u32_u24_e32 v41, 3, v29
	v_min_u32_e32 v10, 0x180, v15
	v_min_u32_e32 v53, 0x120, v15
	;; [unrolled: 1-line block ×3, first 2 shown]
	v_add_nc_u32_e32 v15, 12, v25
	v_add_nc_u32_e32 v16, 24, v18
	v_sub_nc_u32_e32 v34, v11, v5
	v_sub_nc_u32_e32 v49, v14, v13
	v_sub_nc_u32_e32 v57, v40, v48
	v_cmp_ge_i32_e64 s0, v40, v48
	v_and_b32_e32 v31, 15, v0
	v_mul_u32_u24_e32 v42, 3, v30
	v_add_nc_u32_e32 v17, 24, v26
	v_add_nc_u32_e32 v18, 48, v19
	;; [unrolled: 1-line block ×4, first 2 shown]
	v_sub_nc_u32_e32 v35, v13, v6
	v_sub_nc_u32_e32 v51, v16, v15
	v_min_i32_e32 v34, v40, v34
	v_sub_nc_u32_e32 v58, v41, v49
	v_cndmask_b32_e64 v40, 0, v57, s0
	v_cmp_ge_i32_e64 s0, v41, v49
	v_and_b32_e32 v32, 31, v0
	v_mul_u32_u24_e32 v43, 3, v31
	v_add_nc_u32_e32 v19, 48, v27
	v_add_nc_u32_e32 v20, 0x60, v20
	v_sub_nc_u32_e32 v36, v15, v7
	v_sub_nc_u32_e32 v54, v18, v17
	v_min_i32_e32 v35, v41, v35
	v_sub_nc_u32_e32 v59, v42, v51
	s_wait_alu 0xf1ff
	v_cndmask_b32_e64 v41, 0, v58, s0
	v_cmp_ge_i32_e64 s0, v42, v51
	v_and_b32_e32 v52, 63, v0
	v_mul_u32_u24_e32 v44, 3, v32
	v_add_nc_u32_e32 v21, 0x60, v53
	v_add_nc_u32_e32 v22, 0xc0, v22
	v_sub_nc_u32_e32 v37, v17, v8
	v_sub_nc_u32_e32 v55, v20, v19
	v_min_i32_e32 v36, v42, v36
	v_sub_nc_u32_e32 v60, v43, v54
	s_wait_alu 0xf1ff
	v_cndmask_b32_e64 v42, 0, v59, s0
	v_cmp_ge_i32_e64 s0, v43, v54
	v_mul_u32_u24_e32 v45, 3, v52
	v_sub_nc_u32_e32 v38, v19, v9
	v_sub_nc_u32_e32 v56, v22, v21
	v_min_i32_e32 v37, v43, v37
	v_sub_nc_u32_e32 v61, v44, v55
	s_wait_alu 0xf1ff
	v_cndmask_b32_e64 v43, 0, v60, s0
	v_cmp_ge_i32_e64 s0, v44, v55
	v_sub_nc_u32_e32 v39, v21, v10
	v_min_i32_e32 v38, v44, v38
	v_sub_nc_u32_e32 v62, v45, v56
	v_mul_u32_u24_e32 v1, 3, v0
	s_wait_alu 0xf1ff
	v_cndmask_b32_e64 v44, 0, v61, s0
	v_cmp_ge_i32_e64 s0, v45, v56
	v_min_i32_e32 v39, v45, v39
	v_mad_u32_u24 v2, v0, 3, 0xc0
	v_subrev_nc_u32_e64 v3, 0xc0, v1 clamp
	v_min_i32_e32 v4, 0xc0, v1
	s_wait_alu 0xf1ff
	v_cndmask_b32_e64 v45, 0, v62, s0
	v_mad_u32_u24 v24, v29, 3, v24
	v_mad_u32_u24 v25, v30, 3, v25
	;; [unrolled: 1-line block ×9, first 2 shown]
	v_cmp_lt_i32_e64 s0, v40, v34
	v_cmp_lt_i32_e64 s1, v41, v35
	;; [unrolled: 1-line block ×6, first 2 shown]
	s_mov_b32 s13, s17
	v_cmp_lt_i32_e32 vcc_lo, v3, v4
	s_wait_loadcnt 0x2
	v_add_nc_u16 v49, v46, 1
	s_wait_loadcnt 0x1
	v_perm_b32 v51, v46, v47, 0xc0c0004
	s_wait_loadcnt 0x0
	v_lshlrev_b32_e32 v54, 16, v50
	v_add_nc_u16 v48, v47, 1
	v_add_nc_u16 v47, v50, 1
	v_mad_u32_u24 v46, v52, 3, v53
	s_delay_alu instid0(VALU_DEP_4)
	v_or_b32_e32 v51, v51, v54
	s_branch .LBB55_2
.LBB55_1:                               ;   in Loop: Header=BB55_2 Depth=1
	s_or_b32 exec_lo, exec_lo, s8
	s_wait_dscnt 0x0
	s_delay_alu instid0(VALU_DEP_1)
	v_bfe_i32 v61, v59, 0, 8
	v_bfe_i32 v62, v60, 0, 8
	v_cndmask_b32_e64 v53, v52, v53, s6
	v_cndmask_b32_e64 v52, v54, v55, s7
	v_cmp_le_i32_e64 s7, 0xc0, v57
	v_cndmask_b32_e64 v51, v50, v51, s6
	v_cmp_lt_i16_e64 s8, v62, v61
	v_cmp_gt_i32_e64 s6, 0x180, v56
	s_wait_loadcnt 0x0
	s_barrier_signal -1
	s_barrier_wait -1
	s_or_b32 s7, s7, s8
	global_inv scope:SCOPE_SE
	s_wait_alu 0xfffe
	s_and_b32 s6, s6, s7
	ds_store_b8 v1, v47
	ds_store_b8 v1, v49 offset:1
	ds_store_b8 v1, v48 offset:2
	s_wait_alu 0xfffe
	v_cndmask_b32_e64 v56, v57, v56, s6
	s_wait_loadcnt_dscnt 0x0
	s_barrier_signal -1
	s_barrier_wait -1
	global_inv scope:SCOPE_SE
	ds_load_u8 v49, v51
	ds_load_u8 v48, v58
	;; [unrolled: 1-line block ×3, first 2 shown]
	v_lshlrev_b16 v54, 8, v52
	v_and_b32_e32 v55, 0xff, v53
	v_cndmask_b32_e64 v50, v59, v60, s6
	s_add_co_i32 s13, s13, 1
	s_delay_alu instid0(SALU_CYCLE_1) | instskip(NEXT) | instid1(VALU_DEP_2)
	s_cmp_eq_u32 s13, 10
	v_or_b32_e32 v51, v55, v54
	s_delay_alu instid0(VALU_DEP_2) | instskip(NEXT) | instid1(VALU_DEP_2)
	v_and_b32_e32 v54, 0xff, v50
	v_and_b32_e32 v51, 0xffff, v51
	s_delay_alu instid0(VALU_DEP_2) | instskip(NEXT) | instid1(VALU_DEP_1)
	v_lshlrev_b32_e32 v54, 16, v54
	v_or_b32_e32 v51, v51, v54
	s_cbranch_scc1 .LBB55_86
.LBB55_2:                               ; =>This Loop Header: Depth=1
                                        ;     Child Loop BB55_4 Depth 2
                                        ;     Child Loop BB55_16 Depth 2
	;; [unrolled: 1-line block ×7, first 2 shown]
	s_delay_alu instid0(VALU_DEP_1) | instskip(SKIP_3) | instid1(VALU_DEP_3)
	v_lshrrev_b32_e32 v50, 8, v51
	v_bfe_i32 v52, v51, 0, 8
	v_perm_b32 v53, v51, v51, 0x7060405
	s_barrier_signal -1
	v_bfe_i32 v50, v50, 0, 8
	s_barrier_wait -1
	global_inv scope:SCOPE_SE
	v_cmp_lt_i16_e64 s8, v50, v52
	v_max_i16 v50, v50, v52
	s_wait_alu 0xf1ff
	s_delay_alu instid0(VALU_DEP_2) | instskip(NEXT) | instid1(VALU_DEP_1)
	v_cndmask_b32_e64 v51, v51, v53, s8
	v_lshrrev_b32_e32 v53, 16, v51
	s_delay_alu instid0(VALU_DEP_1) | instskip(SKIP_1) | instid1(VALU_DEP_2)
	v_bfe_i32 v52, v53, 0, 8
	v_perm_b32 v53, v51, v50, 0x7000604
	v_cmp_lt_i16_e64 s7, v52, v50
	v_min_i16 v50, v52, v50
	s_wait_alu 0xf1ff
	s_delay_alu instid0(VALU_DEP_2) | instskip(NEXT) | instid1(VALU_DEP_2)
	v_cndmask_b32_e64 v51, v51, v53, s7
	v_and_b32_e32 v53, 0xff, v50
	s_delay_alu instid0(VALU_DEP_2) | instskip(NEXT) | instid1(VALU_DEP_1)
	v_lshlrev_b16 v52, 8, v51
	v_or_b32_e32 v52, v53, v52
	v_bfe_i32 v53, v51, 0, 8
	s_delay_alu instid0(VALU_DEP_2) | instskip(NEXT) | instid1(VALU_DEP_2)
	v_and_b32_e32 v52, 0xffff, v52
	v_cmp_lt_i16_e64 s6, v50, v53
	s_delay_alu instid0(VALU_DEP_2) | instskip(SKIP_1) | instid1(VALU_DEP_1)
	v_and_or_b32 v52, 0xffff0000, v51, v52
	s_wait_alu 0xf1ff
	v_cndmask_b32_e64 v50, v51, v52, s6
	v_mov_b32_e32 v52, v40
	s_delay_alu instid0(VALU_DEP_2)
	v_lshrrev_b32_e32 v51, 8, v50
	ds_store_b8 v1, v50
	ds_store_b8 v1, v51 offset:1
	ds_store_b8_d16_hi v1, v50 offset:2
	s_wait_loadcnt_dscnt 0x0
	s_barrier_signal -1
	s_barrier_wait -1
	global_inv scope:SCOPE_SE
	s_and_saveexec_b32 s10, s0
	s_cbranch_execz .LBB55_6
; %bb.3:                                ;   in Loop: Header=BB55_2 Depth=1
	v_mov_b32_e32 v52, v40
	v_mov_b32_e32 v50, v34
	s_mov_b32 s11, 0
.LBB55_4:                               ;   Parent Loop BB55_2 Depth=1
                                        ; =>  This Inner Loop Header: Depth=2
	s_delay_alu instid0(VALU_DEP_1) | instskip(NEXT) | instid1(VALU_DEP_1)
	v_sub_nc_u32_e32 v51, v50, v52
	v_lshrrev_b32_e32 v51, 1, v51
	s_delay_alu instid0(VALU_DEP_1) | instskip(NEXT) | instid1(VALU_DEP_1)
	v_add_nc_u32_e32 v51, v51, v52
	v_add_nc_u32_e32 v53, v5, v51
	v_xad_u32 v54, v51, -1, v23
	v_add_nc_u32_e32 v55, 1, v51
	ds_load_i8 v53, v53
	ds_load_i8 v54, v54 offset:3
	s_wait_dscnt 0x0
	v_cmp_lt_i16_e64 s9, v54, v53
	s_wait_alu 0xf1ff
	s_delay_alu instid0(VALU_DEP_1) | instskip(SKIP_1) | instid1(VALU_DEP_1)
	v_cndmask_b32_e64 v50, v50, v51, s9
	v_cndmask_b32_e64 v52, v55, v52, s9
	v_cmp_ge_i32_e64 s9, v52, v50
	s_wait_alu 0xfffe
	s_or_b32 s11, s9, s11
	s_wait_alu 0xfffe
	s_and_not1_b32 exec_lo, exec_lo, s11
	s_cbranch_execnz .LBB55_4
; %bb.5:                                ;   in Loop: Header=BB55_2 Depth=1
	s_or_b32 exec_lo, exec_lo, s11
.LBB55_6:                               ;   in Loop: Header=BB55_2 Depth=1
	s_wait_alu 0xfffe
	s_or_b32 exec_lo, exec_lo, s10
	v_add_nc_u32_e32 v54, v52, v5
	v_sub_nc_u32_e32 v56, v23, v52
	v_sub_nc_u32_e32 v55, v28, v52
                                        ; implicit-def: $vgpr52
	ds_load_u8 v50, v54
	ds_load_u8 v51, v56 offset:3
	v_cmp_le_i32_e64 s9, v11, v54
	v_cmp_gt_i32_e64 s11, v12, v55
	s_wait_dscnt 0x1
	v_bfe_i32 v50, v50, 0, 8
	s_wait_dscnt 0x0
	v_bfe_i32 v51, v51, 0, 8
	s_delay_alu instid0(VALU_DEP_1)
	v_cmp_lt_i16_e64 s10, v51, v50
	s_or_b32 s9, s9, s10
	s_wait_alu 0xfffe
	s_and_b32 s9, s11, s9
	s_wait_alu 0xfffe
	s_xor_b32 s10, s9, -1
	s_wait_alu 0xfffe
	s_and_saveexec_b32 s11, s10
	s_wait_alu 0xfffe
	s_xor_b32 s10, exec_lo, s11
; %bb.7:                                ;   in Loop: Header=BB55_2 Depth=1
	ds_load_u8 v52, v54 offset:1
                                        ; implicit-def: $vgpr56
; %bb.8:                                ;   in Loop: Header=BB55_2 Depth=1
	s_wait_alu 0xfffe
	s_or_saveexec_b32 s10, s10
	v_mov_b32_e32 v53, v51
	s_wait_alu 0xfffe
	s_xor_b32 exec_lo, exec_lo, s10
	s_cbranch_execz .LBB55_10
; %bb.9:                                ;   in Loop: Header=BB55_2 Depth=1
	ds_load_u8 v53, v56 offset:4
	s_wait_dscnt 0x1
	v_mov_b32_e32 v52, v50
.LBB55_10:                              ;   in Loop: Header=BB55_2 Depth=1
	s_or_b32 exec_lo, exec_lo, s10
	v_add_nc_u32_e32 v56, 1, v54
	v_add_nc_u32_e32 v57, 1, v55
	s_wait_dscnt 0x0
	v_bfe_i32 v59, v52, 0, 8
	s_delay_alu instid0(VALU_DEP_3) | instskip(SKIP_2) | instid1(VALU_DEP_3)
	v_cndmask_b32_e64 v58, v56, v54, s9
	v_bfe_i32 v56, v53, 0, 8
	v_cndmask_b32_e64 v57, v55, v57, s9
	v_cmp_ge_i32_e64 s10, v58, v11
	s_delay_alu instid0(VALU_DEP_3) | instskip(NEXT) | instid1(VALU_DEP_3)
	v_cmp_lt_i16_e64 s11, v56, v59
	v_cmp_lt_i32_e64 s12, v57, v12
                                        ; implicit-def: $vgpr56
	s_or_b32 s10, s10, s11
	s_wait_alu 0xfffe
	s_and_b32 s10, s12, s10
	s_wait_alu 0xfffe
	s_xor_b32 s11, s10, -1
	s_wait_alu 0xfffe
	s_and_saveexec_b32 s12, s11
	s_delay_alu instid0(SALU_CYCLE_1)
	s_xor_b32 s11, exec_lo, s12
; %bb.11:                               ;   in Loop: Header=BB55_2 Depth=1
	ds_load_u8 v56, v58 offset:1
; %bb.12:                               ;   in Loop: Header=BB55_2 Depth=1
	s_wait_alu 0xfffe
	s_or_saveexec_b32 s11, s11
	v_mov_b32_e32 v59, v53
	s_wait_alu 0xfffe
	s_xor_b32 exec_lo, exec_lo, s11
	s_cbranch_execz .LBB55_14
; %bb.13:                               ;   in Loop: Header=BB55_2 Depth=1
	ds_load_u8 v59, v57 offset:1
	s_wait_dscnt 0x1
	v_mov_b32_e32 v56, v52
.LBB55_14:                              ;   in Loop: Header=BB55_2 Depth=1
	s_or_b32 exec_lo, exec_lo, s11
	v_perm_b32 v60, v48, v49, 0xc0c0004
	v_perm_b32 v48, v49, v48, 0xc0c0004
	v_and_b32_e32 v49, 0xff, v47
	v_cndmask_b32_e64 v54, v54, v55, s9
	s_wait_dscnt 0x0
	v_bfe_i32 v61, v56, 0, 8
	v_bfe_i32 v62, v59, 0, 8
	v_cndmask_b32_e64 v48, v48, v60, s8
	v_lshlrev_b32_e32 v49, 16, v49
	s_wait_loadcnt 0x0
	s_barrier_signal -1
	s_barrier_wait -1
	v_lshrrev_b16 v60, 8, v48
	v_perm_b32 v47, v48, v47, 0xc0c0004
	v_or_b32_e32 v48, v48, v49
	v_add_nc_u32_e32 v49, 1, v58
	global_inv scope:SCOPE_SE
	v_lshlrev_b32_e32 v60, 16, v60
	v_cndmask_b32_e64 v50, v50, v51, s9
	v_cndmask_b32_e64 v52, v52, v53, s10
	;; [unrolled: 1-line block ×3, first 2 shown]
	s_delay_alu instid0(VALU_DEP_4) | instskip(SKIP_1) | instid1(VALU_DEP_3)
	v_or_b32_e32 v47, v47, v60
	v_cndmask_b32_e64 v60, v58, v57, s10
	v_cmp_ge_i32_e64 s8, v49, v11
	s_delay_alu instid0(VALU_DEP_3) | instskip(SKIP_2) | instid1(VALU_DEP_3)
	v_cndmask_b32_e64 v47, v48, v47, s7
	v_add_nc_u32_e32 v48, 1, v57
	v_cmp_lt_i16_e64 s7, v62, v61
	v_perm_b32 v55, 0, v47, 0xc0c0001
	s_delay_alu instid0(VALU_DEP_3) | instskip(SKIP_1) | instid1(VALU_DEP_2)
	v_cndmask_b32_e64 v48, v57, v48, s10
	s_or_b32 s7, s8, s7
	v_and_or_b32 v55, 0xff0000, v47, v55
	s_delay_alu instid0(VALU_DEP_1) | instskip(NEXT) | instid1(VALU_DEP_3)
	v_cndmask_b32_e64 v47, v47, v55, s6
	v_cmp_lt_i32_e64 s6, v48, v12
	s_delay_alu instid0(VALU_DEP_2)
	v_lshrrev_b32_e32 v55, 8, v47
	s_wait_alu 0xfffe
	s_and_b32 s6, s6, s7
	ds_store_b8 v1, v47
	ds_store_b8 v1, v55 offset:1
	ds_store_b8_d16_hi v1, v47 offset:2
	s_wait_alu 0xfffe
	v_cndmask_b32_e64 v48, v49, v48, s6
	s_wait_loadcnt_dscnt 0x0
	s_barrier_signal -1
	s_barrier_wait -1
	global_inv scope:SCOPE_SE
	ds_load_u8 v47, v54
	ds_load_u8 v48, v48
	;; [unrolled: 1-line block ×3, first 2 shown]
	v_cndmask_b32_e64 v56, v56, v59, s6
	s_wait_loadcnt_dscnt 0x0
	s_barrier_signal -1
	s_barrier_wait -1
	global_inv scope:SCOPE_SE
	ds_store_b8 v1, v50
	ds_store_b8 v1, v52 offset:1
	ds_store_b8 v1, v56 offset:2
	v_mov_b32_e32 v52, v41
	s_wait_loadcnt_dscnt 0x0
	s_barrier_signal -1
	s_barrier_wait -1
	global_inv scope:SCOPE_SE
	s_and_saveexec_b32 s7, s1
	s_cbranch_execz .LBB55_18
; %bb.15:                               ;   in Loop: Header=BB55_2 Depth=1
	v_mov_b32_e32 v52, v41
	v_mov_b32_e32 v50, v35
	s_mov_b32 s8, 0
.LBB55_16:                              ;   Parent Loop BB55_2 Depth=1
                                        ; =>  This Inner Loop Header: Depth=2
	s_delay_alu instid0(VALU_DEP_1) | instskip(NEXT) | instid1(VALU_DEP_1)
	v_sub_nc_u32_e32 v51, v50, v52
	v_lshrrev_b32_e32 v51, 1, v51
	s_delay_alu instid0(VALU_DEP_1) | instskip(NEXT) | instid1(VALU_DEP_1)
	v_add_nc_u32_e32 v51, v51, v52
	v_add_nc_u32_e32 v53, v6, v51
	v_xad_u32 v54, v51, -1, v24
	v_add_nc_u32_e32 v55, 1, v51
	ds_load_i8 v53, v53
	ds_load_i8 v54, v54 offset:6
	s_wait_dscnt 0x0
	v_cmp_lt_i16_e64 s6, v54, v53
	s_wait_alu 0xf1ff
	s_delay_alu instid0(VALU_DEP_1) | instskip(SKIP_1) | instid1(VALU_DEP_1)
	v_cndmask_b32_e64 v50, v50, v51, s6
	v_cndmask_b32_e64 v52, v55, v52, s6
	v_cmp_ge_i32_e64 s6, v52, v50
	s_wait_alu 0xfffe
	s_or_b32 s8, s6, s8
	s_wait_alu 0xfffe
	s_and_not1_b32 exec_lo, exec_lo, s8
	s_cbranch_execnz .LBB55_16
; %bb.17:                               ;   in Loop: Header=BB55_2 Depth=1
	s_or_b32 exec_lo, exec_lo, s8
.LBB55_18:                              ;   in Loop: Header=BB55_2 Depth=1
	s_wait_alu 0xfffe
	s_or_b32 exec_lo, exec_lo, s7
	v_add_nc_u32_e32 v53, v52, v6
	v_sub_nc_u32_e32 v56, v24, v52
	v_sub_nc_u32_e32 v55, v29, v52
                                        ; implicit-def: $vgpr52
	ds_load_u8 v50, v53
	ds_load_u8 v51, v56 offset:6
	v_cmp_le_i32_e64 s6, v13, v53
	v_cmp_gt_i32_e64 s8, v14, v55
	s_wait_dscnt 0x1
	v_bfe_i32 v50, v50, 0, 8
	s_wait_dscnt 0x0
	v_bfe_i32 v51, v51, 0, 8
	s_delay_alu instid0(VALU_DEP_1)
	v_cmp_lt_i16_e64 s7, v51, v50
	s_or_b32 s6, s6, s7
	s_wait_alu 0xfffe
	s_and_b32 s6, s8, s6
	s_wait_alu 0xfffe
	s_xor_b32 s7, s6, -1
	s_wait_alu 0xfffe
	s_and_saveexec_b32 s8, s7
	s_wait_alu 0xfffe
	s_xor_b32 s7, exec_lo, s8
; %bb.19:                               ;   in Loop: Header=BB55_2 Depth=1
	ds_load_u8 v52, v53 offset:1
                                        ; implicit-def: $vgpr56
; %bb.20:                               ;   in Loop: Header=BB55_2 Depth=1
	s_wait_alu 0xfffe
	s_or_saveexec_b32 s7, s7
	v_mov_b32_e32 v54, v51
	s_wait_alu 0xfffe
	s_xor_b32 exec_lo, exec_lo, s7
	s_cbranch_execz .LBB55_22
; %bb.21:                               ;   in Loop: Header=BB55_2 Depth=1
	ds_load_u8 v54, v56 offset:7
	s_wait_dscnt 0x1
	v_mov_b32_e32 v52, v50
.LBB55_22:                              ;   in Loop: Header=BB55_2 Depth=1
	s_or_b32 exec_lo, exec_lo, s7
	v_add_nc_u32_e32 v56, 1, v53
	v_add_nc_u32_e32 v58, 1, v55
	s_wait_dscnt 0x0
	v_bfe_i32 v59, v52, 0, 8
	s_delay_alu instid0(VALU_DEP_3) | instskip(SKIP_2) | instid1(VALU_DEP_3)
	v_cndmask_b32_e64 v57, v56, v53, s6
	v_bfe_i32 v56, v54, 0, 8
	v_cndmask_b32_e64 v58, v55, v58, s6
	v_cmp_ge_i32_e64 s7, v57, v13
	s_delay_alu instid0(VALU_DEP_3) | instskip(NEXT) | instid1(VALU_DEP_3)
	v_cmp_lt_i16_e64 s8, v56, v59
	v_cmp_lt_i32_e64 s9, v58, v14
                                        ; implicit-def: $vgpr56
	s_or_b32 s7, s7, s8
	s_wait_alu 0xfffe
	s_and_b32 s7, s9, s7
	s_wait_alu 0xfffe
	s_xor_b32 s8, s7, -1
	s_wait_alu 0xfffe
	s_and_saveexec_b32 s9, s8
	s_wait_alu 0xfffe
	s_xor_b32 s8, exec_lo, s9
; %bb.23:                               ;   in Loop: Header=BB55_2 Depth=1
	ds_load_u8 v56, v57 offset:1
; %bb.24:                               ;   in Loop: Header=BB55_2 Depth=1
	s_wait_alu 0xfffe
	s_or_saveexec_b32 s8, s8
	v_mov_b32_e32 v59, v54
	s_wait_alu 0xfffe
	s_xor_b32 exec_lo, exec_lo, s8
	s_cbranch_execz .LBB55_26
; %bb.25:                               ;   in Loop: Header=BB55_2 Depth=1
	ds_load_u8 v59, v58 offset:1
	s_wait_dscnt 0x1
	v_mov_b32_e32 v56, v52
.LBB55_26:                              ;   in Loop: Header=BB55_2 Depth=1
	s_or_b32 exec_lo, exec_lo, s8
	v_add_nc_u32_e32 v60, 1, v57
	v_add_nc_u32_e32 v61, 1, v58
	s_wait_dscnt 0x0
	v_bfe_i32 v62, v56, 0, 8
	v_bfe_i32 v63, v59, 0, 8
	v_cndmask_b32_e64 v53, v53, v55, s6
	v_cndmask_b32_e64 v60, v60, v57, s7
	;; [unrolled: 1-line block ×4, first 2 shown]
	v_cmp_lt_i16_e64 s8, v63, v62
	s_wait_loadcnt 0x0
	v_cmp_ge_i32_e64 s9, v60, v13
	s_barrier_signal -1
	v_cmp_lt_i32_e64 s10, v58, v14
	s_barrier_wait -1
	global_inv scope:SCOPE_SE
	s_or_b32 s8, s9, s8
	ds_store_b8 v1, v47
	ds_store_b8 v1, v49 offset:1
	ds_store_b8 v1, v48 offset:2
	s_wait_alu 0xfffe
	s_and_b32 s8, s10, s8
	s_wait_loadcnt_dscnt 0x0
	s_wait_alu 0xfffe
	v_cndmask_b32_e64 v55, v56, v59, s8
	v_cndmask_b32_e64 v56, v60, v58, s8
	s_barrier_signal -1
	s_barrier_wait -1
	global_inv scope:SCOPE_SE
	ds_load_u8 v47, v53
	ds_load_u8 v48, v56
	;; [unrolled: 1-line block ×3, first 2 shown]
	v_cndmask_b32_e64 v50, v50, v51, s6
	v_cndmask_b32_e64 v52, v52, v54, s7
	s_wait_loadcnt_dscnt 0x0
	s_barrier_signal -1
	s_barrier_wait -1
	global_inv scope:SCOPE_SE
	ds_store_b8 v1, v50
	ds_store_b8 v1, v52 offset:1
	ds_store_b8 v1, v55 offset:2
	v_mov_b32_e32 v52, v42
	s_wait_loadcnt_dscnt 0x0
	s_barrier_signal -1
	s_barrier_wait -1
	global_inv scope:SCOPE_SE
	s_and_saveexec_b32 s7, s2
	s_cbranch_execz .LBB55_30
; %bb.27:                               ;   in Loop: Header=BB55_2 Depth=1
	v_mov_b32_e32 v52, v42
	v_mov_b32_e32 v50, v36
	s_mov_b32 s8, 0
.LBB55_28:                              ;   Parent Loop BB55_2 Depth=1
                                        ; =>  This Inner Loop Header: Depth=2
	s_delay_alu instid0(VALU_DEP_1) | instskip(NEXT) | instid1(VALU_DEP_1)
	v_sub_nc_u32_e32 v51, v50, v52
	v_lshrrev_b32_e32 v51, 1, v51
	s_delay_alu instid0(VALU_DEP_1) | instskip(NEXT) | instid1(VALU_DEP_1)
	v_add_nc_u32_e32 v51, v51, v52
	v_add_nc_u32_e32 v53, v7, v51
	v_xad_u32 v54, v51, -1, v25
	v_add_nc_u32_e32 v55, 1, v51
	ds_load_i8 v53, v53
	ds_load_i8 v54, v54 offset:12
	s_wait_dscnt 0x0
	v_cmp_lt_i16_e64 s6, v54, v53
	s_wait_alu 0xf1ff
	s_delay_alu instid0(VALU_DEP_1) | instskip(SKIP_1) | instid1(VALU_DEP_1)
	v_cndmask_b32_e64 v50, v50, v51, s6
	v_cndmask_b32_e64 v52, v55, v52, s6
	v_cmp_ge_i32_e64 s6, v52, v50
	s_wait_alu 0xfffe
	s_or_b32 s8, s6, s8
	s_wait_alu 0xfffe
	s_and_not1_b32 exec_lo, exec_lo, s8
	s_cbranch_execnz .LBB55_28
; %bb.29:                               ;   in Loop: Header=BB55_2 Depth=1
	s_or_b32 exec_lo, exec_lo, s8
.LBB55_30:                              ;   in Loop: Header=BB55_2 Depth=1
	s_wait_alu 0xfffe
	s_or_b32 exec_lo, exec_lo, s7
	v_add_nc_u32_e32 v53, v52, v7
	v_sub_nc_u32_e32 v56, v25, v52
	v_sub_nc_u32_e32 v55, v30, v52
                                        ; implicit-def: $vgpr52
	ds_load_u8 v50, v53
	ds_load_u8 v51, v56 offset:12
	v_cmp_le_i32_e64 s6, v15, v53
	v_cmp_gt_i32_e64 s8, v16, v55
	s_wait_dscnt 0x1
	v_bfe_i32 v50, v50, 0, 8
	s_wait_dscnt 0x0
	v_bfe_i32 v51, v51, 0, 8
	s_delay_alu instid0(VALU_DEP_1)
	v_cmp_lt_i16_e64 s7, v51, v50
	s_or_b32 s6, s6, s7
	s_wait_alu 0xfffe
	s_and_b32 s6, s8, s6
	s_wait_alu 0xfffe
	s_xor_b32 s7, s6, -1
	s_wait_alu 0xfffe
	s_and_saveexec_b32 s8, s7
	s_wait_alu 0xfffe
	s_xor_b32 s7, exec_lo, s8
; %bb.31:                               ;   in Loop: Header=BB55_2 Depth=1
	ds_load_u8 v52, v53 offset:1
                                        ; implicit-def: $vgpr56
; %bb.32:                               ;   in Loop: Header=BB55_2 Depth=1
	s_wait_alu 0xfffe
	s_or_saveexec_b32 s7, s7
	v_mov_b32_e32 v54, v51
	s_wait_alu 0xfffe
	s_xor_b32 exec_lo, exec_lo, s7
	s_cbranch_execz .LBB55_34
; %bb.33:                               ;   in Loop: Header=BB55_2 Depth=1
	ds_load_u8 v54, v56 offset:13
	s_wait_dscnt 0x1
	v_mov_b32_e32 v52, v50
.LBB55_34:                              ;   in Loop: Header=BB55_2 Depth=1
	s_or_b32 exec_lo, exec_lo, s7
	v_add_nc_u32_e32 v56, 1, v53
	v_add_nc_u32_e32 v58, 1, v55
	s_wait_dscnt 0x0
	v_bfe_i32 v59, v52, 0, 8
	s_delay_alu instid0(VALU_DEP_3) | instskip(SKIP_2) | instid1(VALU_DEP_3)
	v_cndmask_b32_e64 v57, v56, v53, s6
	v_bfe_i32 v56, v54, 0, 8
	v_cndmask_b32_e64 v58, v55, v58, s6
	v_cmp_ge_i32_e64 s7, v57, v15
	s_delay_alu instid0(VALU_DEP_3) | instskip(NEXT) | instid1(VALU_DEP_3)
	v_cmp_lt_i16_e64 s8, v56, v59
	v_cmp_lt_i32_e64 s9, v58, v16
                                        ; implicit-def: $vgpr56
	s_or_b32 s7, s7, s8
	s_wait_alu 0xfffe
	s_and_b32 s7, s9, s7
	s_wait_alu 0xfffe
	s_xor_b32 s8, s7, -1
	s_wait_alu 0xfffe
	s_and_saveexec_b32 s9, s8
	s_wait_alu 0xfffe
	s_xor_b32 s8, exec_lo, s9
; %bb.35:                               ;   in Loop: Header=BB55_2 Depth=1
	ds_load_u8 v56, v57 offset:1
; %bb.36:                               ;   in Loop: Header=BB55_2 Depth=1
	s_wait_alu 0xfffe
	s_or_saveexec_b32 s8, s8
	v_mov_b32_e32 v59, v54
	s_wait_alu 0xfffe
	s_xor_b32 exec_lo, exec_lo, s8
	s_cbranch_execz .LBB55_38
; %bb.37:                               ;   in Loop: Header=BB55_2 Depth=1
	ds_load_u8 v59, v58 offset:1
	s_wait_dscnt 0x1
	v_mov_b32_e32 v56, v52
.LBB55_38:                              ;   in Loop: Header=BB55_2 Depth=1
	s_or_b32 exec_lo, exec_lo, s8
	v_add_nc_u32_e32 v60, 1, v57
	v_add_nc_u32_e32 v61, 1, v58
	s_wait_dscnt 0x0
	v_bfe_i32 v62, v56, 0, 8
	v_bfe_i32 v63, v59, 0, 8
	v_cndmask_b32_e64 v53, v53, v55, s6
	v_cndmask_b32_e64 v60, v60, v57, s7
	;; [unrolled: 1-line block ×4, first 2 shown]
	v_cmp_lt_i16_e64 s8, v63, v62
	s_wait_loadcnt 0x0
	v_cmp_ge_i32_e64 s9, v60, v15
	s_barrier_signal -1
	v_cmp_lt_i32_e64 s10, v58, v16
	s_barrier_wait -1
	global_inv scope:SCOPE_SE
	s_or_b32 s8, s9, s8
	ds_store_b8 v1, v47
	ds_store_b8 v1, v49 offset:1
	ds_store_b8 v1, v48 offset:2
	s_wait_alu 0xfffe
	s_and_b32 s8, s10, s8
	s_wait_loadcnt_dscnt 0x0
	s_wait_alu 0xfffe
	v_cndmask_b32_e64 v55, v56, v59, s8
	v_cndmask_b32_e64 v56, v60, v58, s8
	s_barrier_signal -1
	s_barrier_wait -1
	global_inv scope:SCOPE_SE
	ds_load_u8 v47, v53
	ds_load_u8 v48, v56
	;; [unrolled: 1-line block ×3, first 2 shown]
	v_cndmask_b32_e64 v50, v50, v51, s6
	v_cndmask_b32_e64 v52, v52, v54, s7
	s_wait_loadcnt_dscnt 0x0
	s_barrier_signal -1
	s_barrier_wait -1
	global_inv scope:SCOPE_SE
	ds_store_b8 v1, v50
	ds_store_b8 v1, v52 offset:1
	ds_store_b8 v1, v55 offset:2
	v_mov_b32_e32 v52, v43
	s_wait_loadcnt_dscnt 0x0
	s_barrier_signal -1
	s_barrier_wait -1
	global_inv scope:SCOPE_SE
	s_and_saveexec_b32 s7, s3
	s_cbranch_execz .LBB55_42
; %bb.39:                               ;   in Loop: Header=BB55_2 Depth=1
	v_mov_b32_e32 v52, v43
	v_mov_b32_e32 v50, v37
	s_mov_b32 s8, 0
.LBB55_40:                              ;   Parent Loop BB55_2 Depth=1
                                        ; =>  This Inner Loop Header: Depth=2
	s_delay_alu instid0(VALU_DEP_1) | instskip(NEXT) | instid1(VALU_DEP_1)
	v_sub_nc_u32_e32 v51, v50, v52
	v_lshrrev_b32_e32 v51, 1, v51
	s_delay_alu instid0(VALU_DEP_1) | instskip(NEXT) | instid1(VALU_DEP_1)
	v_add_nc_u32_e32 v51, v51, v52
	v_add_nc_u32_e32 v53, v8, v51
	v_xad_u32 v54, v51, -1, v26
	v_add_nc_u32_e32 v55, 1, v51
	ds_load_i8 v53, v53
	ds_load_i8 v54, v54 offset:24
	s_wait_dscnt 0x0
	v_cmp_lt_i16_e64 s6, v54, v53
	s_wait_alu 0xf1ff
	s_delay_alu instid0(VALU_DEP_1) | instskip(SKIP_1) | instid1(VALU_DEP_1)
	v_cndmask_b32_e64 v50, v50, v51, s6
	v_cndmask_b32_e64 v52, v55, v52, s6
	v_cmp_ge_i32_e64 s6, v52, v50
	s_wait_alu 0xfffe
	s_or_b32 s8, s6, s8
	s_wait_alu 0xfffe
	s_and_not1_b32 exec_lo, exec_lo, s8
	s_cbranch_execnz .LBB55_40
; %bb.41:                               ;   in Loop: Header=BB55_2 Depth=1
	s_or_b32 exec_lo, exec_lo, s8
.LBB55_42:                              ;   in Loop: Header=BB55_2 Depth=1
	s_wait_alu 0xfffe
	s_or_b32 exec_lo, exec_lo, s7
	v_add_nc_u32_e32 v53, v52, v8
	v_sub_nc_u32_e32 v56, v26, v52
	v_sub_nc_u32_e32 v55, v31, v52
                                        ; implicit-def: $vgpr52
	ds_load_u8 v50, v53
	ds_load_u8 v51, v56 offset:24
	v_cmp_le_i32_e64 s6, v17, v53
	v_cmp_gt_i32_e64 s8, v18, v55
	s_wait_dscnt 0x1
	v_bfe_i32 v50, v50, 0, 8
	s_wait_dscnt 0x0
	v_bfe_i32 v51, v51, 0, 8
	s_delay_alu instid0(VALU_DEP_1)
	v_cmp_lt_i16_e64 s7, v51, v50
	s_or_b32 s6, s6, s7
	s_wait_alu 0xfffe
	s_and_b32 s6, s8, s6
	s_wait_alu 0xfffe
	s_xor_b32 s7, s6, -1
	s_wait_alu 0xfffe
	s_and_saveexec_b32 s8, s7
	s_wait_alu 0xfffe
	s_xor_b32 s7, exec_lo, s8
; %bb.43:                               ;   in Loop: Header=BB55_2 Depth=1
	ds_load_u8 v52, v53 offset:1
                                        ; implicit-def: $vgpr56
; %bb.44:                               ;   in Loop: Header=BB55_2 Depth=1
	s_wait_alu 0xfffe
	s_or_saveexec_b32 s7, s7
	v_mov_b32_e32 v54, v51
	s_wait_alu 0xfffe
	s_xor_b32 exec_lo, exec_lo, s7
	s_cbranch_execz .LBB55_46
; %bb.45:                               ;   in Loop: Header=BB55_2 Depth=1
	ds_load_u8 v54, v56 offset:25
	s_wait_dscnt 0x1
	v_mov_b32_e32 v52, v50
.LBB55_46:                              ;   in Loop: Header=BB55_2 Depth=1
	s_or_b32 exec_lo, exec_lo, s7
	v_add_nc_u32_e32 v56, 1, v53
	v_add_nc_u32_e32 v58, 1, v55
	s_wait_dscnt 0x0
	v_bfe_i32 v59, v52, 0, 8
	s_delay_alu instid0(VALU_DEP_3) | instskip(SKIP_2) | instid1(VALU_DEP_3)
	v_cndmask_b32_e64 v57, v56, v53, s6
	v_bfe_i32 v56, v54, 0, 8
	v_cndmask_b32_e64 v58, v55, v58, s6
	v_cmp_ge_i32_e64 s7, v57, v17
	s_delay_alu instid0(VALU_DEP_3) | instskip(NEXT) | instid1(VALU_DEP_3)
	v_cmp_lt_i16_e64 s8, v56, v59
	v_cmp_lt_i32_e64 s9, v58, v18
                                        ; implicit-def: $vgpr56
	s_or_b32 s7, s7, s8
	s_wait_alu 0xfffe
	s_and_b32 s7, s9, s7
	s_wait_alu 0xfffe
	s_xor_b32 s8, s7, -1
	s_wait_alu 0xfffe
	s_and_saveexec_b32 s9, s8
	s_wait_alu 0xfffe
	s_xor_b32 s8, exec_lo, s9
; %bb.47:                               ;   in Loop: Header=BB55_2 Depth=1
	ds_load_u8 v56, v57 offset:1
; %bb.48:                               ;   in Loop: Header=BB55_2 Depth=1
	s_wait_alu 0xfffe
	s_or_saveexec_b32 s8, s8
	v_mov_b32_e32 v59, v54
	s_wait_alu 0xfffe
	s_xor_b32 exec_lo, exec_lo, s8
	s_cbranch_execz .LBB55_50
; %bb.49:                               ;   in Loop: Header=BB55_2 Depth=1
	ds_load_u8 v59, v58 offset:1
	s_wait_dscnt 0x1
	v_mov_b32_e32 v56, v52
.LBB55_50:                              ;   in Loop: Header=BB55_2 Depth=1
	s_or_b32 exec_lo, exec_lo, s8
	v_add_nc_u32_e32 v60, 1, v57
	v_add_nc_u32_e32 v61, 1, v58
	s_wait_dscnt 0x0
	v_bfe_i32 v62, v56, 0, 8
	v_bfe_i32 v63, v59, 0, 8
	v_cndmask_b32_e64 v53, v53, v55, s6
	v_cndmask_b32_e64 v60, v60, v57, s7
	;; [unrolled: 1-line block ×4, first 2 shown]
	v_cmp_lt_i16_e64 s8, v63, v62
	s_wait_loadcnt 0x0
	v_cmp_ge_i32_e64 s9, v60, v17
	s_barrier_signal -1
	v_cmp_lt_i32_e64 s10, v58, v18
	s_barrier_wait -1
	global_inv scope:SCOPE_SE
	s_or_b32 s8, s9, s8
	ds_store_b8 v1, v47
	ds_store_b8 v1, v49 offset:1
	ds_store_b8 v1, v48 offset:2
	s_wait_alu 0xfffe
	s_and_b32 s8, s10, s8
	s_wait_loadcnt_dscnt 0x0
	s_wait_alu 0xfffe
	v_cndmask_b32_e64 v55, v56, v59, s8
	v_cndmask_b32_e64 v56, v60, v58, s8
	s_barrier_signal -1
	s_barrier_wait -1
	global_inv scope:SCOPE_SE
	ds_load_u8 v47, v53
	ds_load_u8 v48, v56
	;; [unrolled: 1-line block ×3, first 2 shown]
	v_cndmask_b32_e64 v50, v50, v51, s6
	v_cndmask_b32_e64 v52, v52, v54, s7
	s_wait_loadcnt_dscnt 0x0
	s_barrier_signal -1
	s_barrier_wait -1
	global_inv scope:SCOPE_SE
	ds_store_b8 v1, v50
	ds_store_b8 v1, v52 offset:1
	ds_store_b8 v1, v55 offset:2
	v_mov_b32_e32 v52, v44
	s_wait_loadcnt_dscnt 0x0
	s_barrier_signal -1
	s_barrier_wait -1
	global_inv scope:SCOPE_SE
	s_and_saveexec_b32 s7, s4
	s_cbranch_execz .LBB55_54
; %bb.51:                               ;   in Loop: Header=BB55_2 Depth=1
	v_mov_b32_e32 v52, v44
	v_mov_b32_e32 v50, v38
	s_mov_b32 s8, 0
.LBB55_52:                              ;   Parent Loop BB55_2 Depth=1
                                        ; =>  This Inner Loop Header: Depth=2
	s_delay_alu instid0(VALU_DEP_1) | instskip(NEXT) | instid1(VALU_DEP_1)
	v_sub_nc_u32_e32 v51, v50, v52
	v_lshrrev_b32_e32 v51, 1, v51
	s_delay_alu instid0(VALU_DEP_1) | instskip(NEXT) | instid1(VALU_DEP_1)
	v_add_nc_u32_e32 v51, v51, v52
	v_add_nc_u32_e32 v53, v9, v51
	v_xad_u32 v54, v51, -1, v27
	v_add_nc_u32_e32 v55, 1, v51
	ds_load_i8 v53, v53
	ds_load_i8 v54, v54 offset:48
	s_wait_dscnt 0x0
	v_cmp_lt_i16_e64 s6, v54, v53
	s_wait_alu 0xf1ff
	s_delay_alu instid0(VALU_DEP_1) | instskip(SKIP_1) | instid1(VALU_DEP_1)
	v_cndmask_b32_e64 v50, v50, v51, s6
	v_cndmask_b32_e64 v52, v55, v52, s6
	v_cmp_ge_i32_e64 s6, v52, v50
	s_wait_alu 0xfffe
	s_or_b32 s8, s6, s8
	s_wait_alu 0xfffe
	s_and_not1_b32 exec_lo, exec_lo, s8
	s_cbranch_execnz .LBB55_52
; %bb.53:                               ;   in Loop: Header=BB55_2 Depth=1
	s_or_b32 exec_lo, exec_lo, s8
.LBB55_54:                              ;   in Loop: Header=BB55_2 Depth=1
	s_wait_alu 0xfffe
	s_or_b32 exec_lo, exec_lo, s7
	v_add_nc_u32_e32 v53, v52, v9
	v_sub_nc_u32_e32 v56, v27, v52
	v_sub_nc_u32_e32 v55, v32, v52
                                        ; implicit-def: $vgpr52
	ds_load_u8 v50, v53
	ds_load_u8 v51, v56 offset:48
	v_cmp_le_i32_e64 s6, v19, v53
	v_cmp_gt_i32_e64 s8, v20, v55
	s_wait_dscnt 0x1
	v_bfe_i32 v50, v50, 0, 8
	s_wait_dscnt 0x0
	v_bfe_i32 v51, v51, 0, 8
	s_delay_alu instid0(VALU_DEP_1)
	v_cmp_lt_i16_e64 s7, v51, v50
	s_or_b32 s6, s6, s7
	s_wait_alu 0xfffe
	s_and_b32 s6, s8, s6
	s_wait_alu 0xfffe
	s_xor_b32 s7, s6, -1
	s_wait_alu 0xfffe
	s_and_saveexec_b32 s8, s7
	s_wait_alu 0xfffe
	s_xor_b32 s7, exec_lo, s8
; %bb.55:                               ;   in Loop: Header=BB55_2 Depth=1
	ds_load_u8 v52, v53 offset:1
                                        ; implicit-def: $vgpr56
; %bb.56:                               ;   in Loop: Header=BB55_2 Depth=1
	s_wait_alu 0xfffe
	s_or_saveexec_b32 s7, s7
	v_mov_b32_e32 v54, v51
	s_wait_alu 0xfffe
	s_xor_b32 exec_lo, exec_lo, s7
	s_cbranch_execz .LBB55_58
; %bb.57:                               ;   in Loop: Header=BB55_2 Depth=1
	ds_load_u8 v54, v56 offset:49
	s_wait_dscnt 0x1
	v_mov_b32_e32 v52, v50
.LBB55_58:                              ;   in Loop: Header=BB55_2 Depth=1
	s_or_b32 exec_lo, exec_lo, s7
	v_add_nc_u32_e32 v56, 1, v53
	v_add_nc_u32_e32 v58, 1, v55
	s_wait_dscnt 0x0
	v_bfe_i32 v59, v52, 0, 8
	s_delay_alu instid0(VALU_DEP_3) | instskip(SKIP_2) | instid1(VALU_DEP_3)
	v_cndmask_b32_e64 v57, v56, v53, s6
	v_bfe_i32 v56, v54, 0, 8
	v_cndmask_b32_e64 v58, v55, v58, s6
	v_cmp_ge_i32_e64 s7, v57, v19
	s_delay_alu instid0(VALU_DEP_3) | instskip(NEXT) | instid1(VALU_DEP_3)
	v_cmp_lt_i16_e64 s8, v56, v59
	v_cmp_lt_i32_e64 s9, v58, v20
                                        ; implicit-def: $vgpr56
	s_or_b32 s7, s7, s8
	s_wait_alu 0xfffe
	s_and_b32 s7, s9, s7
	s_wait_alu 0xfffe
	s_xor_b32 s8, s7, -1
	s_wait_alu 0xfffe
	s_and_saveexec_b32 s9, s8
	s_wait_alu 0xfffe
	s_xor_b32 s8, exec_lo, s9
; %bb.59:                               ;   in Loop: Header=BB55_2 Depth=1
	ds_load_u8 v56, v57 offset:1
; %bb.60:                               ;   in Loop: Header=BB55_2 Depth=1
	s_wait_alu 0xfffe
	s_or_saveexec_b32 s8, s8
	v_mov_b32_e32 v59, v54
	s_wait_alu 0xfffe
	s_xor_b32 exec_lo, exec_lo, s8
	s_cbranch_execz .LBB55_62
; %bb.61:                               ;   in Loop: Header=BB55_2 Depth=1
	ds_load_u8 v59, v58 offset:1
	s_wait_dscnt 0x1
	v_mov_b32_e32 v56, v52
.LBB55_62:                              ;   in Loop: Header=BB55_2 Depth=1
	s_or_b32 exec_lo, exec_lo, s8
	v_add_nc_u32_e32 v60, 1, v57
	v_add_nc_u32_e32 v61, 1, v58
	s_wait_dscnt 0x0
	v_bfe_i32 v62, v56, 0, 8
	v_bfe_i32 v63, v59, 0, 8
	v_cndmask_b32_e64 v53, v53, v55, s6
	v_cndmask_b32_e64 v60, v60, v57, s7
	;; [unrolled: 1-line block ×4, first 2 shown]
	v_cmp_lt_i16_e64 s8, v63, v62
	s_wait_loadcnt 0x0
	v_cmp_ge_i32_e64 s9, v60, v19
	s_barrier_signal -1
	v_cmp_lt_i32_e64 s10, v58, v20
	s_barrier_wait -1
	global_inv scope:SCOPE_SE
	s_or_b32 s8, s9, s8
	ds_store_b8 v1, v47
	ds_store_b8 v1, v49 offset:1
	ds_store_b8 v1, v48 offset:2
	s_wait_alu 0xfffe
	s_and_b32 s8, s10, s8
	s_wait_loadcnt_dscnt 0x0
	s_wait_alu 0xfffe
	v_cndmask_b32_e64 v55, v56, v59, s8
	v_cndmask_b32_e64 v56, v60, v58, s8
	s_barrier_signal -1
	s_barrier_wait -1
	global_inv scope:SCOPE_SE
	ds_load_u8 v47, v53
	ds_load_u8 v48, v56
	;; [unrolled: 1-line block ×3, first 2 shown]
	v_cndmask_b32_e64 v50, v50, v51, s6
	v_cndmask_b32_e64 v52, v52, v54, s7
	s_wait_loadcnt_dscnt 0x0
	s_barrier_signal -1
	s_barrier_wait -1
	global_inv scope:SCOPE_SE
	ds_store_b8 v1, v50
	ds_store_b8 v1, v52 offset:1
	ds_store_b8 v1, v55 offset:2
	v_mov_b32_e32 v52, v45
	s_wait_loadcnt_dscnt 0x0
	s_barrier_signal -1
	s_barrier_wait -1
	global_inv scope:SCOPE_SE
	s_and_saveexec_b32 s7, s5
	s_cbranch_execz .LBB55_66
; %bb.63:                               ;   in Loop: Header=BB55_2 Depth=1
	v_mov_b32_e32 v52, v45
	v_mov_b32_e32 v50, v39
	s_mov_b32 s8, 0
.LBB55_64:                              ;   Parent Loop BB55_2 Depth=1
                                        ; =>  This Inner Loop Header: Depth=2
	s_delay_alu instid0(VALU_DEP_1) | instskip(NEXT) | instid1(VALU_DEP_1)
	v_sub_nc_u32_e32 v51, v50, v52
	v_lshrrev_b32_e32 v51, 1, v51
	s_delay_alu instid0(VALU_DEP_1) | instskip(NEXT) | instid1(VALU_DEP_1)
	v_add_nc_u32_e32 v51, v51, v52
	v_add_nc_u32_e32 v53, v10, v51
	v_xad_u32 v54, v51, -1, v46
	v_add_nc_u32_e32 v55, 1, v51
	ds_load_i8 v53, v53
	ds_load_i8 v54, v54 offset:96
	s_wait_dscnt 0x0
	v_cmp_lt_i16_e64 s6, v54, v53
	s_wait_alu 0xf1ff
	s_delay_alu instid0(VALU_DEP_1) | instskip(SKIP_1) | instid1(VALU_DEP_1)
	v_cndmask_b32_e64 v50, v50, v51, s6
	v_cndmask_b32_e64 v52, v55, v52, s6
	v_cmp_ge_i32_e64 s6, v52, v50
	s_wait_alu 0xfffe
	s_or_b32 s8, s6, s8
	s_wait_alu 0xfffe
	s_and_not1_b32 exec_lo, exec_lo, s8
	s_cbranch_execnz .LBB55_64
; %bb.65:                               ;   in Loop: Header=BB55_2 Depth=1
	s_or_b32 exec_lo, exec_lo, s8
.LBB55_66:                              ;   in Loop: Header=BB55_2 Depth=1
	s_wait_alu 0xfffe
	s_or_b32 exec_lo, exec_lo, s7
	v_add_nc_u32_e32 v53, v52, v10
	v_sub_nc_u32_e32 v56, v46, v52
	v_sub_nc_u32_e32 v55, v33, v52
                                        ; implicit-def: $vgpr52
	ds_load_u8 v50, v53
	ds_load_u8 v51, v56 offset:96
	v_cmp_le_i32_e64 s6, v21, v53
	v_cmp_gt_i32_e64 s8, v22, v55
	s_wait_dscnt 0x1
	v_bfe_i32 v50, v50, 0, 8
	s_wait_dscnt 0x0
	v_bfe_i32 v51, v51, 0, 8
	s_delay_alu instid0(VALU_DEP_1)
	v_cmp_lt_i16_e64 s7, v51, v50
	s_or_b32 s6, s6, s7
	s_wait_alu 0xfffe
	s_and_b32 s6, s8, s6
	s_wait_alu 0xfffe
	s_xor_b32 s7, s6, -1
	s_wait_alu 0xfffe
	s_and_saveexec_b32 s8, s7
	s_wait_alu 0xfffe
	s_xor_b32 s7, exec_lo, s8
; %bb.67:                               ;   in Loop: Header=BB55_2 Depth=1
	ds_load_u8 v52, v53 offset:1
                                        ; implicit-def: $vgpr56
; %bb.68:                               ;   in Loop: Header=BB55_2 Depth=1
	s_wait_alu 0xfffe
	s_or_saveexec_b32 s7, s7
	v_mov_b32_e32 v54, v51
	s_wait_alu 0xfffe
	s_xor_b32 exec_lo, exec_lo, s7
	s_cbranch_execz .LBB55_70
; %bb.69:                               ;   in Loop: Header=BB55_2 Depth=1
	ds_load_u8 v54, v56 offset:97
	s_wait_dscnt 0x1
	v_mov_b32_e32 v52, v50
.LBB55_70:                              ;   in Loop: Header=BB55_2 Depth=1
	s_or_b32 exec_lo, exec_lo, s7
	v_add_nc_u32_e32 v56, 1, v53
	v_add_nc_u32_e32 v58, 1, v55
	s_wait_dscnt 0x0
	v_bfe_i32 v59, v52, 0, 8
	s_delay_alu instid0(VALU_DEP_3) | instskip(SKIP_2) | instid1(VALU_DEP_3)
	v_cndmask_b32_e64 v57, v56, v53, s6
	v_bfe_i32 v56, v54, 0, 8
	v_cndmask_b32_e64 v58, v55, v58, s6
	v_cmp_ge_i32_e64 s7, v57, v21
	s_delay_alu instid0(VALU_DEP_3) | instskip(NEXT) | instid1(VALU_DEP_3)
	v_cmp_lt_i16_e64 s8, v56, v59
	v_cmp_lt_i32_e64 s9, v58, v22
                                        ; implicit-def: $vgpr56
	s_or_b32 s7, s7, s8
	s_wait_alu 0xfffe
	s_and_b32 s7, s9, s7
	s_wait_alu 0xfffe
	s_xor_b32 s8, s7, -1
	s_wait_alu 0xfffe
	s_and_saveexec_b32 s9, s8
	s_wait_alu 0xfffe
	s_xor_b32 s8, exec_lo, s9
; %bb.71:                               ;   in Loop: Header=BB55_2 Depth=1
	ds_load_u8 v56, v57 offset:1
; %bb.72:                               ;   in Loop: Header=BB55_2 Depth=1
	s_wait_alu 0xfffe
	s_or_saveexec_b32 s8, s8
	v_mov_b32_e32 v59, v54
	s_wait_alu 0xfffe
	s_xor_b32 exec_lo, exec_lo, s8
	s_cbranch_execz .LBB55_74
; %bb.73:                               ;   in Loop: Header=BB55_2 Depth=1
	ds_load_u8 v59, v58 offset:1
	s_wait_dscnt 0x1
	v_mov_b32_e32 v56, v52
.LBB55_74:                              ;   in Loop: Header=BB55_2 Depth=1
	s_or_b32 exec_lo, exec_lo, s8
	v_add_nc_u32_e32 v60, 1, v57
	v_add_nc_u32_e32 v61, 1, v58
	s_wait_dscnt 0x0
	v_bfe_i32 v62, v56, 0, 8
	v_bfe_i32 v63, v59, 0, 8
	v_cndmask_b32_e64 v53, v53, v55, s6
	v_cndmask_b32_e64 v60, v60, v57, s7
	;; [unrolled: 1-line block ×4, first 2 shown]
	v_cmp_lt_i16_e64 s8, v63, v62
	s_wait_loadcnt 0x0
	v_cmp_ge_i32_e64 s9, v60, v21
	s_barrier_signal -1
	v_cmp_lt_i32_e64 s10, v58, v22
	s_barrier_wait -1
	global_inv scope:SCOPE_SE
	s_or_b32 s8, s9, s8
	ds_store_b8 v1, v47
	ds_store_b8 v1, v49 offset:1
	ds_store_b8 v1, v48 offset:2
	s_wait_alu 0xfffe
	s_and_b32 s8, s10, s8
	s_wait_loadcnt_dscnt 0x0
	s_wait_alu 0xfffe
	v_cndmask_b32_e64 v55, v56, v59, s8
	v_cndmask_b32_e64 v56, v60, v58, s8
	s_barrier_signal -1
	s_barrier_wait -1
	global_inv scope:SCOPE_SE
	ds_load_u8 v47, v53
	ds_load_u8 v48, v56
	;; [unrolled: 1-line block ×3, first 2 shown]
	v_cndmask_b32_e64 v50, v50, v51, s6
	v_cndmask_b32_e64 v52, v52, v54, s7
	s_wait_loadcnt_dscnt 0x0
	s_barrier_signal -1
	s_barrier_wait -1
	global_inv scope:SCOPE_SE
	ds_store_b8 v1, v50
	ds_store_b8 v1, v52 offset:1
	ds_store_b8 v1, v55 offset:2
	v_mov_b32_e32 v50, v3
	s_wait_loadcnt_dscnt 0x0
	s_barrier_signal -1
	s_barrier_wait -1
	global_inv scope:SCOPE_SE
	s_and_saveexec_b32 s7, vcc_lo
	s_cbranch_execz .LBB55_78
; %bb.75:                               ;   in Loop: Header=BB55_2 Depth=1
	v_dual_mov_b32 v50, v3 :: v_dual_mov_b32 v51, v4
	s_mov_b32 s8, 0
.LBB55_76:                              ;   Parent Loop BB55_2 Depth=1
                                        ; =>  This Inner Loop Header: Depth=2
	s_delay_alu instid0(VALU_DEP_1) | instskip(NEXT) | instid1(VALU_DEP_1)
	v_sub_nc_u32_e32 v52, v51, v50
	v_lshrrev_b32_e32 v52, 1, v52
	s_delay_alu instid0(VALU_DEP_1) | instskip(NEXT) | instid1(VALU_DEP_1)
	v_add_nc_u32_e32 v52, v52, v50
	v_xad_u32 v53, v52, -1, v1
	v_add_nc_u32_e32 v55, 1, v52
	ds_load_i8 v54, v52
	ds_load_i8 v53, v53 offset:192
	s_wait_dscnt 0x0
	v_cmp_lt_i16_e64 s6, v53, v54
	s_wait_alu 0xf1ff
	s_delay_alu instid0(VALU_DEP_1) | instskip(SKIP_1) | instid1(VALU_DEP_1)
	v_cndmask_b32_e64 v51, v51, v52, s6
	v_cndmask_b32_e64 v50, v55, v50, s6
	v_cmp_ge_i32_e64 s6, v50, v51
	s_wait_alu 0xfffe
	s_or_b32 s8, s6, s8
	s_wait_alu 0xfffe
	s_and_not1_b32 exec_lo, exec_lo, s8
	s_cbranch_execnz .LBB55_76
; %bb.77:                               ;   in Loop: Header=BB55_2 Depth=1
	s_or_b32 exec_lo, exec_lo, s8
.LBB55_78:                              ;   in Loop: Header=BB55_2 Depth=1
	s_wait_alu 0xfffe
	s_or_b32 exec_lo, exec_lo, s7
	v_sub_nc_u32_e32 v56, v1, v50
	v_cmp_le_i32_e64 s6, 0xc0, v50
                                        ; implicit-def: $vgpr54
	ds_load_u8 v51, v50
	ds_load_u8 v53, v56 offset:192
	s_wait_dscnt 0x1
	v_bfe_i32 v52, v51, 0, 8
	s_wait_dscnt 0x0
	v_bfe_i32 v53, v53, 0, 8
	v_sub_nc_u32_e32 v51, v2, v50
	s_delay_alu instid0(VALU_DEP_2) | instskip(NEXT) | instid1(VALU_DEP_2)
	v_cmp_lt_i16_e64 s7, v53, v52
	v_cmp_gt_i32_e64 s8, 0x180, v51
	s_or_b32 s6, s6, s7
	s_wait_alu 0xfffe
	s_and_b32 s6, s8, s6
	s_wait_alu 0xfffe
	s_xor_b32 s7, s6, -1
	s_wait_alu 0xfffe
	s_and_saveexec_b32 s8, s7
	s_wait_alu 0xfffe
	s_xor_b32 s7, exec_lo, s8
; %bb.79:                               ;   in Loop: Header=BB55_2 Depth=1
	ds_load_u8 v54, v50 offset:1
                                        ; implicit-def: $vgpr56
; %bb.80:                               ;   in Loop: Header=BB55_2 Depth=1
	s_wait_alu 0xfffe
	s_or_saveexec_b32 s7, s7
	v_mov_b32_e32 v55, v53
	s_wait_alu 0xfffe
	s_xor_b32 exec_lo, exec_lo, s7
	s_cbranch_execz .LBB55_82
; %bb.81:                               ;   in Loop: Header=BB55_2 Depth=1
	ds_load_u8 v55, v56 offset:193
	s_wait_dscnt 0x1
	v_mov_b32_e32 v54, v52
.LBB55_82:                              ;   in Loop: Header=BB55_2 Depth=1
	s_or_b32 exec_lo, exec_lo, s7
	v_add_nc_u32_e32 v56, 1, v50
	v_add_nc_u32_e32 v57, 1, v51
	s_wait_dscnt 0x0
	v_bfe_i32 v58, v54, 0, 8
	v_bfe_i32 v59, v55, 0, 8
	v_cndmask_b32_e64 v61, v56, v50, s6
	v_cndmask_b32_e64 v56, v51, v57, s6
                                        ; implicit-def: $vgpr57
	s_delay_alu instid0(VALU_DEP_3) | instskip(NEXT) | instid1(VALU_DEP_3)
	v_cmp_lt_i16_e64 s8, v59, v58
                                        ; implicit-def: $vgpr59
	v_cmp_le_i32_e64 s7, 0xc0, v61
	s_delay_alu instid0(VALU_DEP_3)
	v_cmp_gt_i32_e64 s9, 0x180, v56
	s_or_b32 s7, s7, s8
	s_wait_alu 0xfffe
	s_and_b32 s7, s9, s7
	s_wait_alu 0xfffe
	s_xor_b32 s8, s7, -1
	s_wait_alu 0xfffe
	s_and_saveexec_b32 s9, s8
	s_wait_alu 0xfffe
	s_xor_b32 s8, exec_lo, s9
; %bb.83:                               ;   in Loop: Header=BB55_2 Depth=1
	ds_load_u8 v59, v61 offset:1
	v_add_nc_u32_e32 v57, 1, v61
; %bb.84:                               ;   in Loop: Header=BB55_2 Depth=1
	s_wait_alu 0xfffe
	s_or_saveexec_b32 s8, s8
	v_mov_b32_e32 v58, v61
	v_mov_b32_e32 v60, v55
	s_wait_alu 0xfffe
	s_xor_b32 exec_lo, exec_lo, s8
	s_cbranch_execz .LBB55_1
; %bb.85:                               ;   in Loop: Header=BB55_2 Depth=1
	ds_load_u8 v60, v56 offset:1
	s_wait_dscnt 0x1
	v_dual_mov_b32 v58, v56 :: v_dual_add_nc_u32 v59, 1, v56
	s_delay_alu instid0(VALU_DEP_1)
	v_dual_mov_b32 v57, v61 :: v_dual_mov_b32 v56, v59
	v_mov_b32_e32 v59, v54
	s_branch .LBB55_1
.LBB55_86:
	s_add_nc_u64 s[0:1], s[14:15], s[16:17]
	s_wait_dscnt 0x2
	v_add_nc_u16 v2, v53, v49
	s_wait_alu 0xfffe
	v_add_co_u32 v0, s0, s0, v0
	s_wait_alu 0xf1ff
	v_add_co_ci_u32_e64 v1, null, s1, 0, s0
	s_wait_dscnt 0x1
	v_add_nc_u16 v3, v52, v48
	s_wait_dscnt 0x0
	v_add_nc_u16 v4, v50, v47
	s_clause 0x2
	global_store_b8 v[0:1], v2, off
	global_store_b8 v[0:1], v3, off offset:128
	global_store_b8 v[0:1], v4, off offset:256
	s_endpgm
	.section	.rodata,"a",@progbits
	.p2align	6, 0x0
	.amdhsa_kernel _Z17sort_pairs_kernelIaLj128ELj3EN10test_utils4lessELj10EEvPKT_PS2_T2_
		.amdhsa_group_segment_fixed_size 385
		.amdhsa_private_segment_fixed_size 0
		.amdhsa_kernarg_size 20
		.amdhsa_user_sgpr_count 2
		.amdhsa_user_sgpr_dispatch_ptr 0
		.amdhsa_user_sgpr_queue_ptr 0
		.amdhsa_user_sgpr_kernarg_segment_ptr 1
		.amdhsa_user_sgpr_dispatch_id 0
		.amdhsa_user_sgpr_private_segment_size 0
		.amdhsa_wavefront_size32 1
		.amdhsa_uses_dynamic_stack 0
		.amdhsa_enable_private_segment 0
		.amdhsa_system_sgpr_workgroup_id_x 1
		.amdhsa_system_sgpr_workgroup_id_y 0
		.amdhsa_system_sgpr_workgroup_id_z 0
		.amdhsa_system_sgpr_workgroup_info 0
		.amdhsa_system_vgpr_workitem_id 0
		.amdhsa_next_free_vgpr 64
		.amdhsa_next_free_sgpr 18
		.amdhsa_reserve_vcc 1
		.amdhsa_float_round_mode_32 0
		.amdhsa_float_round_mode_16_64 0
		.amdhsa_float_denorm_mode_32 3
		.amdhsa_float_denorm_mode_16_64 3
		.amdhsa_fp16_overflow 0
		.amdhsa_workgroup_processor_mode 1
		.amdhsa_memory_ordered 1
		.amdhsa_forward_progress 1
		.amdhsa_inst_pref_size 54
		.amdhsa_round_robin_scheduling 0
		.amdhsa_exception_fp_ieee_invalid_op 0
		.amdhsa_exception_fp_denorm_src 0
		.amdhsa_exception_fp_ieee_div_zero 0
		.amdhsa_exception_fp_ieee_overflow 0
		.amdhsa_exception_fp_ieee_underflow 0
		.amdhsa_exception_fp_ieee_inexact 0
		.amdhsa_exception_int_div_zero 0
	.end_amdhsa_kernel
	.section	.text._Z17sort_pairs_kernelIaLj128ELj3EN10test_utils4lessELj10EEvPKT_PS2_T2_,"axG",@progbits,_Z17sort_pairs_kernelIaLj128ELj3EN10test_utils4lessELj10EEvPKT_PS2_T2_,comdat
.Lfunc_end55:
	.size	_Z17sort_pairs_kernelIaLj128ELj3EN10test_utils4lessELj10EEvPKT_PS2_T2_, .Lfunc_end55-_Z17sort_pairs_kernelIaLj128ELj3EN10test_utils4lessELj10EEvPKT_PS2_T2_
                                        ; -- End function
	.set _Z17sort_pairs_kernelIaLj128ELj3EN10test_utils4lessELj10EEvPKT_PS2_T2_.num_vgpr, 64
	.set _Z17sort_pairs_kernelIaLj128ELj3EN10test_utils4lessELj10EEvPKT_PS2_T2_.num_agpr, 0
	.set _Z17sort_pairs_kernelIaLj128ELj3EN10test_utils4lessELj10EEvPKT_PS2_T2_.numbered_sgpr, 18
	.set _Z17sort_pairs_kernelIaLj128ELj3EN10test_utils4lessELj10EEvPKT_PS2_T2_.num_named_barrier, 0
	.set _Z17sort_pairs_kernelIaLj128ELj3EN10test_utils4lessELj10EEvPKT_PS2_T2_.private_seg_size, 0
	.set _Z17sort_pairs_kernelIaLj128ELj3EN10test_utils4lessELj10EEvPKT_PS2_T2_.uses_vcc, 1
	.set _Z17sort_pairs_kernelIaLj128ELj3EN10test_utils4lessELj10EEvPKT_PS2_T2_.uses_flat_scratch, 0
	.set _Z17sort_pairs_kernelIaLj128ELj3EN10test_utils4lessELj10EEvPKT_PS2_T2_.has_dyn_sized_stack, 0
	.set _Z17sort_pairs_kernelIaLj128ELj3EN10test_utils4lessELj10EEvPKT_PS2_T2_.has_recursion, 0
	.set _Z17sort_pairs_kernelIaLj128ELj3EN10test_utils4lessELj10EEvPKT_PS2_T2_.has_indirect_call, 0
	.section	.AMDGPU.csdata,"",@progbits
; Kernel info:
; codeLenInByte = 6888
; TotalNumSgprs: 20
; NumVgprs: 64
; ScratchSize: 0
; MemoryBound: 0
; FloatMode: 240
; IeeeMode: 1
; LDSByteSize: 385 bytes/workgroup (compile time only)
; SGPRBlocks: 0
; VGPRBlocks: 7
; NumSGPRsForWavesPerEU: 20
; NumVGPRsForWavesPerEU: 64
; Occupancy: 16
; WaveLimiterHint : 1
; COMPUTE_PGM_RSRC2:SCRATCH_EN: 0
; COMPUTE_PGM_RSRC2:USER_SGPR: 2
; COMPUTE_PGM_RSRC2:TRAP_HANDLER: 0
; COMPUTE_PGM_RSRC2:TGID_X_EN: 1
; COMPUTE_PGM_RSRC2:TGID_Y_EN: 0
; COMPUTE_PGM_RSRC2:TGID_Z_EN: 0
; COMPUTE_PGM_RSRC2:TIDIG_COMP_CNT: 0
	.section	.text._Z16sort_keys_kernelIaLj128ELj4EN10test_utils4lessELj10EEvPKT_PS2_T2_,"axG",@progbits,_Z16sort_keys_kernelIaLj128ELj4EN10test_utils4lessELj10EEvPKT_PS2_T2_,comdat
	.protected	_Z16sort_keys_kernelIaLj128ELj4EN10test_utils4lessELj10EEvPKT_PS2_T2_ ; -- Begin function _Z16sort_keys_kernelIaLj128ELj4EN10test_utils4lessELj10EEvPKT_PS2_T2_
	.globl	_Z16sort_keys_kernelIaLj128ELj4EN10test_utils4lessELj10EEvPKT_PS2_T2_
	.p2align	8
	.type	_Z16sort_keys_kernelIaLj128ELj4EN10test_utils4lessELj10EEvPKT_PS2_T2_,@function
_Z16sort_keys_kernelIaLj128ELj4EN10test_utils4lessELj10EEvPKT_PS2_T2_: ; @_Z16sort_keys_kernelIaLj128ELj4EN10test_utils4lessELj10EEvPKT_PS2_T2_
; %bb.0:
	s_load_b128 s[12:15], s[0:1], 0x0
	s_lshl_b32 s16, ttmp9, 9
	s_mov_b32 s17, 0
	v_lshlrev_b32_e32 v1, 2, v0
	s_delay_alu instid0(VALU_DEP_1)
	v_and_b32_e32 v2, 0x1f8, v1
	v_and_b32_e32 v3, 0x1f0, v1
	;; [unrolled: 1-line block ×5, first 2 shown]
	v_or_b32_e32 v10, 4, v2
	v_add_nc_u32_e32 v11, 8, v2
	v_or_b32_e32 v12, 8, v3
	v_add_nc_u32_e32 v13, 16, v3
	v_and_b32_e32 v5, 0x1c0, v1
	v_or_b32_e32 v14, 16, v4
	v_sub_nc_u32_e32 v44, v11, v10
	s_wait_kmcnt 0x0
	s_add_nc_u64 s[0:1], s[12:13], s[16:17]
	v_add_nc_u32_e32 v15, 32, v4
	s_clause 0x3
	global_load_u8 v40, v0, s[0:1] offset:128
	global_load_u8 v41, v0, s[0:1] offset:256
	global_load_u8 v42, v0, s[0:1]
	global_load_u8 v43, v0, s[0:1] offset:384
	v_sub_nc_u32_e32 v28, v10, v2
	v_sub_nc_u32_e32 v45, v13, v12
	;; [unrolled: 1-line block ×3, first 2 shown]
	v_cmp_ge_i32_e64 s0, v34, v44
	v_and_b32_e32 v36, 28, v1
	v_and_b32_e32 v6, 0x180, v1
	v_or_b32_e32 v16, 32, v5
	v_add_nc_u32_e32 v17, 64, v5
	v_add_nc_u32_e32 v22, v10, v34
	v_sub_nc_u32_e32 v29, v12, v3
	v_sub_nc_u32_e32 v46, v15, v14
	v_min_i32_e32 v28, v34, v28
	v_sub_nc_u32_e32 v51, v35, v45
	v_cndmask_b32_e64 v34, 0, v50, s0
	v_cmp_ge_i32_e64 s0, v35, v45
	v_and_b32_e32 v37, 60, v1
	v_and_b32_e32 v7, 0x100, v1
	v_or_b32_e32 v18, 64, v6
	v_add_nc_u32_e32 v19, 0x80, v6
	v_add_nc_u32_e32 v23, v12, v35
	v_sub_nc_u32_e32 v30, v14, v4
	v_sub_nc_u32_e32 v47, v17, v16
	v_min_i32_e32 v29, v35, v29
	v_sub_nc_u32_e32 v52, v36, v46
	s_wait_alu 0xf1ff
	v_cndmask_b32_e64 v35, 0, v51, s0
	v_cmp_ge_i32_e64 s0, v36, v46
	v_and_b32_e32 v38, 0x7c, v1
	v_or_b32_e32 v20, 0x80, v7
	v_add_nc_u32_e32 v21, 0x100, v7
	v_add_nc_u32_e32 v24, v14, v36
	v_sub_nc_u32_e32 v31, v16, v5
	v_sub_nc_u32_e32 v48, v19, v18
	v_min_i32_e32 v30, v36, v30
	v_sub_nc_u32_e32 v53, v37, v47
	s_wait_alu 0xf1ff
	v_cndmask_b32_e64 v36, 0, v52, s0
	v_cmp_ge_i32_e64 s0, v37, v47
	v_and_b32_e32 v39, 0xfc, v1
	v_add_nc_u32_e32 v25, v16, v37
	v_sub_nc_u32_e32 v32, v18, v6
	v_sub_nc_u32_e32 v49, v21, v20
	v_min_i32_e32 v31, v37, v31
	v_sub_nc_u32_e32 v54, v38, v48
	s_wait_alu 0xf1ff
	v_cndmask_b32_e64 v37, 0, v53, s0
	v_cmp_ge_i32_e64 s0, v38, v48
	v_add_nc_u32_e32 v26, v18, v38
	v_sub_nc_u32_e32 v33, v20, v7
	v_min_i32_e32 v32, v38, v32
	v_sub_nc_u32_e32 v55, v39, v49
	s_wait_alu 0xf1ff
	v_cndmask_b32_e64 v38, 0, v54, s0
	v_cmp_ge_i32_e64 s0, v39, v49
	v_add_nc_u32_e32 v27, v20, v39
	v_min_i32_e32 v33, v39, v33
	v_subrev_nc_u32_e64 v8, 0x100, v1 clamp
	v_min_i32_e32 v9, 0x100, v1
	s_wait_alu 0xf1ff
	v_cndmask_b32_e64 v39, 0, v55, s0
	v_cmp_lt_i32_e64 s0, v34, v28
	v_cmp_lt_i32_e64 s1, v35, v29
	;; [unrolled: 1-line block ×6, first 2 shown]
	s_mov_b32 s12, s17
	v_cmp_lt_i32_e32 vcc_lo, v8, v9
	s_wait_loadcnt 0x1
	v_perm_b32 v40, v42, v40, 0xc0c0004
	s_wait_loadcnt 0x0
	v_perm_b32 v41, v41, v43, 0xc0c0004
	s_delay_alu instid0(VALU_DEP_1)
	v_lshl_or_b32 v45, v41, 16, v40
	v_add_nc_u32_e32 v40, 0x100, v1
	s_branch .LBB56_2
.LBB56_1:                               ;   in Loop: Header=BB56_2 Depth=1
	s_or_b32 exec_lo, exec_lo, s9
	s_wait_dscnt 0x0
	v_bfe_i32 v50, v48, 0, 8
	v_bfe_i32 v52, v51, 0, 8
	v_cmp_le_i32_e64 s9, 0x100, v49
	v_cmp_gt_i32_e64 s11, 0x200, v47
	v_cndmask_b32_e64 v41, v41, v42, s6
	v_cndmask_b32_e64 v42, v43, v44, s7
	v_cmp_lt_i16_e64 s10, v52, v50
	v_cndmask_b32_e64 v43, v45, v46, s8
	s_add_co_i32 s12, s12, 1
	v_and_b32_e32 v46, 0xff, v41
	v_lshlrev_b16 v45, 8, v42
	s_or_b32 s6, s9, s10
	v_and_b32_e32 v47, 0xff, v43
	s_wait_alu 0xfffe
	s_and_b32 s6, s11, s6
	s_cmp_eq_u32 s12, 10
	s_wait_alu 0xfffe
	v_cndmask_b32_e64 v44, v48, v51, s6
	v_or_b32_e32 v45, v46, v45
	s_delay_alu instid0(VALU_DEP_2) | instskip(NEXT) | instid1(VALU_DEP_2)
	v_lshlrev_b16 v48, 8, v44
	v_and_b32_e32 v45, 0xffff, v45
	s_delay_alu instid0(VALU_DEP_2) | instskip(NEXT) | instid1(VALU_DEP_1)
	v_or_b32_e32 v46, v47, v48
	v_lshlrev_b32_e32 v46, 16, v46
	s_delay_alu instid0(VALU_DEP_1)
	v_or_b32_e32 v45, v45, v46
	s_cbranch_scc1 .LBB56_114
.LBB56_2:                               ; =>This Loop Header: Depth=1
                                        ;     Child Loop BB56_4 Depth 2
                                        ;     Child Loop BB56_20 Depth 2
	;; [unrolled: 1-line block ×7, first 2 shown]
	s_delay_alu instid0(VALU_DEP_1) | instskip(SKIP_3) | instid1(VALU_DEP_3)
	v_lshrrev_b32_e32 v41, 8, v45
	v_bfe_i32 v42, v45, 0, 8
	v_perm_b32 v43, v45, v45, 0x7060405
	s_barrier_signal -1
	v_bfe_i32 v41, v41, 0, 8
	s_barrier_wait -1
	global_inv scope:SCOPE_SE
	v_cmp_lt_i16_e64 s6, v41, v42
	s_wait_alu 0xf1ff
	s_delay_alu instid0(VALU_DEP_1) | instskip(NEXT) | instid1(VALU_DEP_1)
	v_cndmask_b32_e64 v43, v45, v43, s6
	v_lshrrev_b32_e32 v44, 16, v43
	v_lshrrev_b32_e32 v46, 24, v43
	s_delay_alu instid0(VALU_DEP_2) | instskip(NEXT) | instid1(VALU_DEP_2)
	v_perm_b32 v45, 0, v44, 0xc0c0001
	v_bfe_i32 v46, v46, 0, 8
	v_bfe_i32 v44, v44, 0, 8
	s_delay_alu instid0(VALU_DEP_3) | instskip(NEXT) | instid1(VALU_DEP_2)
	v_lshlrev_b32_e32 v45, 16, v45
	v_cmp_lt_i16_e64 s6, v46, v44
	v_min_i16 v47, v46, v44
	v_max_i16 v44, v46, v44
	s_delay_alu instid0(VALU_DEP_4) | instskip(NEXT) | instid1(VALU_DEP_3)
	v_and_or_b32 v45, 0xffff, v43, v45
	v_lshlrev_b16 v48, 8, v47
	s_wait_alu 0xf1ff
	s_delay_alu instid0(VALU_DEP_2) | instskip(SKIP_2) | instid1(VALU_DEP_3)
	v_cndmask_b32_e64 v43, v43, v45, s6
	v_max_i16 v45, v41, v42
	v_min_i16 v41, v41, v42
	v_and_b32_e32 v49, 0xff, v43
	s_delay_alu instid0(VALU_DEP_3)
	v_min_i16 v42, v47, v45
	v_perm_b32 v51, v45, v43, 0xc0c0304
	v_max_i16 v46, v47, v45
	v_cmp_lt_i16_e64 s6, v47, v45
	v_or_b32_e32 v48, v49, v48
	v_lshlrev_b16 v49, 8, v41
	v_and_b32_e32 v50, 0xff, v42
	v_cmp_gt_i16_e64 s7, v45, v44
	s_delay_alu instid0(VALU_DEP_4) | instskip(NEXT) | instid1(VALU_DEP_3)
	v_and_b32_e32 v48, 0xffff, v48
	v_or_b32_e32 v49, v50, v49
	v_and_b32_e32 v50, 0xff, v44
	s_wait_alu 0xf1ff
	v_cndmask_b32_e64 v44, v46, v44, s7
	v_lshl_or_b32 v48, v51, 16, v48
	v_lshlrev_b16 v51, 8, v46
	v_and_b32_e32 v49, 0xffff, v49
	s_delay_alu instid0(VALU_DEP_4) | instskip(NEXT) | instid1(VALU_DEP_4)
	v_lshlrev_b16 v46, 8, v44
	v_cndmask_b32_e64 v43, v43, v48, s6
	s_delay_alu instid0(VALU_DEP_4) | instskip(SKIP_1) | instid1(VALU_DEP_3)
	v_or_b32_e32 v48, v50, v51
	v_cmp_lt_i16_e64 s6, v47, v41
	v_and_or_b32 v49, 0xffff0000, v43, v49
	s_delay_alu instid0(VALU_DEP_3) | instskip(SKIP_1) | instid1(VALU_DEP_3)
	v_lshlrev_b32_e32 v48, 16, v48
	s_wait_alu 0xf1ff
	v_cndmask_b32_e64 v41, v42, v41, s6
	s_delay_alu instid0(VALU_DEP_3) | instskip(NEXT) | instid1(VALU_DEP_2)
	v_cndmask_b32_e64 v43, v43, v49, s6
	v_cmp_lt_i16_e64 s6, v44, v41
	s_delay_alu instid0(VALU_DEP_2) | instskip(NEXT) | instid1(VALU_DEP_1)
	v_and_or_b32 v47, 0xffff, v43, v48
	v_cndmask_b32_e64 v43, v43, v47, s7
	s_delay_alu instid0(VALU_DEP_1) | instskip(NEXT) | instid1(VALU_DEP_1)
	v_and_b32_e32 v45, 0xff, v43
	v_or_b32_e32 v42, v45, v46
	v_perm_b32 v45, v41, v43, 0xc0c0304
	s_delay_alu instid0(VALU_DEP_2) | instskip(NEXT) | instid1(VALU_DEP_1)
	v_dual_mov_b32 v41, v34 :: v_dual_and_b32 v42, 0xffff, v42
	v_lshl_or_b32 v42, v45, 16, v42
	s_wait_alu 0xf1ff
	s_delay_alu instid0(VALU_DEP_1)
	v_cndmask_b32_e64 v42, v43, v42, s6
	ds_store_b32 v1, v42
	s_wait_loadcnt_dscnt 0x0
	s_barrier_signal -1
	s_barrier_wait -1
	global_inv scope:SCOPE_SE
	s_and_saveexec_b32 s7, s0
	s_cbranch_execz .LBB56_6
; %bb.3:                                ;   in Loop: Header=BB56_2 Depth=1
	v_dual_mov_b32 v41, v34 :: v_dual_mov_b32 v42, v28
	s_mov_b32 s8, 0
.LBB56_4:                               ;   Parent Loop BB56_2 Depth=1
                                        ; =>  This Inner Loop Header: Depth=2
	s_delay_alu instid0(VALU_DEP_1) | instskip(NEXT) | instid1(VALU_DEP_1)
	v_sub_nc_u32_e32 v43, v42, v41
	v_lshrrev_b32_e32 v43, 1, v43
	s_delay_alu instid0(VALU_DEP_1) | instskip(NEXT) | instid1(VALU_DEP_1)
	v_add_nc_u32_e32 v43, v43, v41
	v_add_nc_u32_e32 v44, v2, v43
	v_xad_u32 v45, v43, -1, v22
	v_add_nc_u32_e32 v46, 1, v43
	ds_load_i8 v44, v44
	ds_load_i8 v45, v45
	s_wait_dscnt 0x0
	v_cmp_lt_i16_e64 s6, v45, v44
	s_wait_alu 0xf1ff
	s_delay_alu instid0(VALU_DEP_1) | instskip(SKIP_1) | instid1(VALU_DEP_1)
	v_cndmask_b32_e64 v42, v42, v43, s6
	v_cndmask_b32_e64 v41, v46, v41, s6
	v_cmp_ge_i32_e64 s6, v41, v42
	s_wait_alu 0xfffe
	s_or_b32 s8, s6, s8
	s_wait_alu 0xfffe
	s_and_not1_b32 exec_lo, exec_lo, s8
	s_cbranch_execnz .LBB56_4
; %bb.5:                                ;   in Loop: Header=BB56_2 Depth=1
	s_or_b32 exec_lo, exec_lo, s8
.LBB56_6:                               ;   in Loop: Header=BB56_2 Depth=1
	s_wait_alu 0xfffe
	s_or_b32 exec_lo, exec_lo, s7
	v_add_nc_u32_e32 v46, v41, v2
	v_sub_nc_u32_e32 v45, v22, v41
                                        ; implicit-def: $vgpr43
	ds_load_u8 v41, v46
	ds_load_u8 v42, v45
	v_cmp_le_i32_e64 s6, v10, v46
	v_cmp_gt_i32_e64 s8, v11, v45
	s_wait_dscnt 0x1
	v_bfe_i32 v41, v41, 0, 8
	s_wait_dscnt 0x0
	v_bfe_i32 v42, v42, 0, 8
	s_delay_alu instid0(VALU_DEP_1)
	v_cmp_lt_i16_e64 s7, v42, v41
	s_or_b32 s6, s6, s7
	s_wait_alu 0xfffe
	s_and_b32 s6, s8, s6
	s_wait_alu 0xfffe
	s_xor_b32 s7, s6, -1
	s_wait_alu 0xfffe
	s_and_saveexec_b32 s8, s7
	s_wait_alu 0xfffe
	s_xor_b32 s7, exec_lo, s8
; %bb.7:                                ;   in Loop: Header=BB56_2 Depth=1
	ds_load_u8 v43, v46 offset:1
; %bb.8:                                ;   in Loop: Header=BB56_2 Depth=1
	s_wait_alu 0xfffe
	s_or_saveexec_b32 s7, s7
	v_mov_b32_e32 v44, v42
	s_wait_alu 0xfffe
	s_xor_b32 exec_lo, exec_lo, s7
	s_cbranch_execz .LBB56_10
; %bb.9:                                ;   in Loop: Header=BB56_2 Depth=1
	ds_load_u8 v44, v45 offset:1
	s_wait_dscnt 0x1
	v_mov_b32_e32 v43, v41
.LBB56_10:                              ;   in Loop: Header=BB56_2 Depth=1
	s_or_b32 exec_lo, exec_lo, s7
	v_add_nc_u32_e32 v47, 1, v46
	v_add_nc_u32_e32 v49, 1, v45
	s_wait_dscnt 0x0
	v_bfe_i32 v50, v43, 0, 8
	s_delay_alu instid0(VALU_DEP_3) | instskip(SKIP_2) | instid1(VALU_DEP_3)
	v_cndmask_b32_e64 v48, v47, v46, s6
	v_bfe_i32 v46, v44, 0, 8
	v_cndmask_b32_e64 v47, v45, v49, s6
                                        ; implicit-def: $vgpr45
	v_cmp_ge_i32_e64 s7, v48, v10
	s_delay_alu instid0(VALU_DEP_3) | instskip(NEXT) | instid1(VALU_DEP_3)
	v_cmp_lt_i16_e64 s8, v46, v50
	v_cmp_lt_i32_e64 s9, v47, v11
	s_or_b32 s7, s7, s8
	s_wait_alu 0xfffe
	s_and_b32 s7, s9, s7
	s_wait_alu 0xfffe
	s_xor_b32 s8, s7, -1
	s_wait_alu 0xfffe
	s_and_saveexec_b32 s9, s8
	s_wait_alu 0xfffe
	s_xor_b32 s8, exec_lo, s9
; %bb.11:                               ;   in Loop: Header=BB56_2 Depth=1
	ds_load_u8 v45, v48 offset:1
; %bb.12:                               ;   in Loop: Header=BB56_2 Depth=1
	s_wait_alu 0xfffe
	s_or_saveexec_b32 s8, s8
	v_mov_b32_e32 v46, v44
	s_wait_alu 0xfffe
	s_xor_b32 exec_lo, exec_lo, s8
	s_cbranch_execz .LBB56_14
; %bb.13:                               ;   in Loop: Header=BB56_2 Depth=1
	ds_load_u8 v46, v47 offset:1
	s_wait_dscnt 0x1
	v_mov_b32_e32 v45, v43
.LBB56_14:                              ;   in Loop: Header=BB56_2 Depth=1
	s_or_b32 exec_lo, exec_lo, s8
	v_add_nc_u32_e32 v49, 1, v48
	v_add_nc_u32_e32 v50, 1, v47
	s_wait_dscnt 0x0
	v_bfe_i32 v51, v45, 0, 8
	v_bfe_i32 v52, v46, 0, 8
	v_cndmask_b32_e64 v49, v49, v48, s7
	v_cndmask_b32_e64 v48, v47, v50, s7
                                        ; implicit-def: $vgpr47
	s_delay_alu instid0(VALU_DEP_3) | instskip(NEXT) | instid1(VALU_DEP_3)
	v_cmp_lt_i16_e64 s9, v52, v51
	v_cmp_ge_i32_e64 s8, v49, v10
	s_delay_alu instid0(VALU_DEP_3)
	v_cmp_lt_i32_e64 s10, v48, v11
	s_or_b32 s8, s8, s9
	s_wait_alu 0xfffe
	s_and_b32 s8, s10, s8
	s_wait_alu 0xfffe
	s_xor_b32 s9, s8, -1
	s_wait_alu 0xfffe
	s_and_saveexec_b32 s10, s9
	s_delay_alu instid0(SALU_CYCLE_1)
	s_xor_b32 s9, exec_lo, s10
; %bb.15:                               ;   in Loop: Header=BB56_2 Depth=1
	ds_load_u8 v47, v49 offset:1
; %bb.16:                               ;   in Loop: Header=BB56_2 Depth=1
	s_wait_alu 0xfffe
	s_or_saveexec_b32 s9, s9
	v_mov_b32_e32 v50, v46
	s_wait_alu 0xfffe
	s_xor_b32 exec_lo, exec_lo, s9
	s_cbranch_execz .LBB56_18
; %bb.17:                               ;   in Loop: Header=BB56_2 Depth=1
	ds_load_u8 v50, v48 offset:1
	s_wait_dscnt 0x1
	v_mov_b32_e32 v47, v45
.LBB56_18:                              ;   in Loop: Header=BB56_2 Depth=1
	s_or_b32 exec_lo, exec_lo, s9
	v_add_nc_u32_e32 v51, 1, v49
	v_add_nc_u32_e32 v52, 1, v48
	s_wait_dscnt 0x0
	v_bfe_i32 v53, v47, 0, 8
	v_bfe_i32 v54, v50, 0, 8
	v_cndmask_b32_e64 v45, v45, v46, s8
	v_cndmask_b32_e64 v49, v51, v49, s8
	;; [unrolled: 1-line block ×4, first 2 shown]
	v_cmp_lt_i16_e64 s7, v54, v53
	v_cndmask_b32_e64 v41, v41, v42, s6
	v_cmp_ge_i32_e64 s8, v49, v10
	v_cmp_lt_i32_e64 s6, v46, v11
	s_wait_loadcnt 0x0
	s_barrier_signal -1
	s_barrier_wait -1
	s_or_b32 s7, s8, s7
	global_inv scope:SCOPE_SE
	s_wait_alu 0xfffe
	s_and_b32 s6, s6, s7
	s_wait_alu 0xfffe
	v_cndmask_b32_e64 v42, v47, v50, s6
	ds_store_b8 v1, v41
	ds_store_b8 v1, v43 offset:1
	ds_store_b8 v1, v45 offset:2
	;; [unrolled: 1-line block ×3, first 2 shown]
	v_mov_b32_e32 v41, v35
	s_wait_loadcnt_dscnt 0x0
	s_barrier_signal -1
	s_barrier_wait -1
	global_inv scope:SCOPE_SE
	s_and_saveexec_b32 s7, s1
	s_cbranch_execz .LBB56_22
; %bb.19:                               ;   in Loop: Header=BB56_2 Depth=1
	v_dual_mov_b32 v41, v35 :: v_dual_mov_b32 v42, v29
	s_mov_b32 s8, 0
.LBB56_20:                              ;   Parent Loop BB56_2 Depth=1
                                        ; =>  This Inner Loop Header: Depth=2
	s_delay_alu instid0(VALU_DEP_1) | instskip(NEXT) | instid1(VALU_DEP_1)
	v_sub_nc_u32_e32 v43, v42, v41
	v_lshrrev_b32_e32 v43, 1, v43
	s_delay_alu instid0(VALU_DEP_1) | instskip(NEXT) | instid1(VALU_DEP_1)
	v_add_nc_u32_e32 v43, v43, v41
	v_add_nc_u32_e32 v44, v3, v43
	v_xad_u32 v45, v43, -1, v23
	v_add_nc_u32_e32 v46, 1, v43
	ds_load_i8 v44, v44
	ds_load_i8 v45, v45
	s_wait_dscnt 0x0
	v_cmp_lt_i16_e64 s6, v45, v44
	s_wait_alu 0xf1ff
	s_delay_alu instid0(VALU_DEP_1) | instskip(SKIP_1) | instid1(VALU_DEP_1)
	v_cndmask_b32_e64 v42, v42, v43, s6
	v_cndmask_b32_e64 v41, v46, v41, s6
	v_cmp_ge_i32_e64 s6, v41, v42
	s_wait_alu 0xfffe
	s_or_b32 s8, s6, s8
	s_wait_alu 0xfffe
	s_and_not1_b32 exec_lo, exec_lo, s8
	s_cbranch_execnz .LBB56_20
; %bb.21:                               ;   in Loop: Header=BB56_2 Depth=1
	s_or_b32 exec_lo, exec_lo, s8
.LBB56_22:                              ;   in Loop: Header=BB56_2 Depth=1
	s_wait_alu 0xfffe
	s_or_b32 exec_lo, exec_lo, s7
	v_add_nc_u32_e32 v46, v41, v3
	v_sub_nc_u32_e32 v45, v23, v41
                                        ; implicit-def: $vgpr43
	ds_load_u8 v41, v46
	ds_load_u8 v42, v45
	v_cmp_le_i32_e64 s6, v12, v46
	v_cmp_gt_i32_e64 s8, v13, v45
	s_wait_dscnt 0x1
	v_bfe_i32 v41, v41, 0, 8
	s_wait_dscnt 0x0
	v_bfe_i32 v42, v42, 0, 8
	s_delay_alu instid0(VALU_DEP_1)
	v_cmp_lt_i16_e64 s7, v42, v41
	s_or_b32 s6, s6, s7
	s_wait_alu 0xfffe
	s_and_b32 s6, s8, s6
	s_wait_alu 0xfffe
	s_xor_b32 s7, s6, -1
	s_wait_alu 0xfffe
	s_and_saveexec_b32 s8, s7
	s_wait_alu 0xfffe
	s_xor_b32 s7, exec_lo, s8
; %bb.23:                               ;   in Loop: Header=BB56_2 Depth=1
	ds_load_u8 v43, v46 offset:1
; %bb.24:                               ;   in Loop: Header=BB56_2 Depth=1
	s_wait_alu 0xfffe
	s_or_saveexec_b32 s7, s7
	v_mov_b32_e32 v44, v42
	s_wait_alu 0xfffe
	s_xor_b32 exec_lo, exec_lo, s7
	s_cbranch_execz .LBB56_26
; %bb.25:                               ;   in Loop: Header=BB56_2 Depth=1
	ds_load_u8 v44, v45 offset:1
	s_wait_dscnt 0x1
	v_mov_b32_e32 v43, v41
.LBB56_26:                              ;   in Loop: Header=BB56_2 Depth=1
	s_or_b32 exec_lo, exec_lo, s7
	v_add_nc_u32_e32 v47, 1, v46
	v_add_nc_u32_e32 v49, 1, v45
	s_wait_dscnt 0x0
	v_bfe_i32 v50, v43, 0, 8
	s_delay_alu instid0(VALU_DEP_3) | instskip(SKIP_2) | instid1(VALU_DEP_3)
	v_cndmask_b32_e64 v48, v47, v46, s6
	v_bfe_i32 v46, v44, 0, 8
	v_cndmask_b32_e64 v47, v45, v49, s6
                                        ; implicit-def: $vgpr45
	v_cmp_ge_i32_e64 s7, v48, v12
	s_delay_alu instid0(VALU_DEP_3) | instskip(NEXT) | instid1(VALU_DEP_3)
	v_cmp_lt_i16_e64 s8, v46, v50
	v_cmp_lt_i32_e64 s9, v47, v13
	s_or_b32 s7, s7, s8
	s_wait_alu 0xfffe
	s_and_b32 s7, s9, s7
	s_wait_alu 0xfffe
	s_xor_b32 s8, s7, -1
	s_wait_alu 0xfffe
	s_and_saveexec_b32 s9, s8
	s_wait_alu 0xfffe
	s_xor_b32 s8, exec_lo, s9
; %bb.27:                               ;   in Loop: Header=BB56_2 Depth=1
	ds_load_u8 v45, v48 offset:1
; %bb.28:                               ;   in Loop: Header=BB56_2 Depth=1
	s_wait_alu 0xfffe
	s_or_saveexec_b32 s8, s8
	v_mov_b32_e32 v46, v44
	s_wait_alu 0xfffe
	s_xor_b32 exec_lo, exec_lo, s8
	s_cbranch_execz .LBB56_30
; %bb.29:                               ;   in Loop: Header=BB56_2 Depth=1
	ds_load_u8 v46, v47 offset:1
	s_wait_dscnt 0x1
	v_mov_b32_e32 v45, v43
.LBB56_30:                              ;   in Loop: Header=BB56_2 Depth=1
	s_or_b32 exec_lo, exec_lo, s8
	v_add_nc_u32_e32 v49, 1, v48
	v_add_nc_u32_e32 v50, 1, v47
	s_wait_dscnt 0x0
	v_bfe_i32 v51, v45, 0, 8
	v_bfe_i32 v52, v46, 0, 8
	v_cndmask_b32_e64 v49, v49, v48, s7
	v_cndmask_b32_e64 v48, v47, v50, s7
                                        ; implicit-def: $vgpr47
	s_delay_alu instid0(VALU_DEP_3) | instskip(NEXT) | instid1(VALU_DEP_3)
	v_cmp_lt_i16_e64 s9, v52, v51
	v_cmp_ge_i32_e64 s8, v49, v12
	s_delay_alu instid0(VALU_DEP_3)
	v_cmp_lt_i32_e64 s10, v48, v13
	s_or_b32 s8, s8, s9
	s_wait_alu 0xfffe
	s_and_b32 s8, s10, s8
	s_wait_alu 0xfffe
	s_xor_b32 s9, s8, -1
	s_wait_alu 0xfffe
	s_and_saveexec_b32 s10, s9
	s_delay_alu instid0(SALU_CYCLE_1)
	s_xor_b32 s9, exec_lo, s10
; %bb.31:                               ;   in Loop: Header=BB56_2 Depth=1
	ds_load_u8 v47, v49 offset:1
; %bb.32:                               ;   in Loop: Header=BB56_2 Depth=1
	s_wait_alu 0xfffe
	s_or_saveexec_b32 s9, s9
	v_mov_b32_e32 v50, v46
	s_wait_alu 0xfffe
	s_xor_b32 exec_lo, exec_lo, s9
	s_cbranch_execz .LBB56_34
; %bb.33:                               ;   in Loop: Header=BB56_2 Depth=1
	ds_load_u8 v50, v48 offset:1
	s_wait_dscnt 0x1
	v_mov_b32_e32 v47, v45
.LBB56_34:                              ;   in Loop: Header=BB56_2 Depth=1
	s_or_b32 exec_lo, exec_lo, s9
	v_add_nc_u32_e32 v51, 1, v49
	v_add_nc_u32_e32 v52, 1, v48
	s_wait_dscnt 0x0
	v_bfe_i32 v53, v47, 0, 8
	v_bfe_i32 v54, v50, 0, 8
	v_cndmask_b32_e64 v45, v45, v46, s8
	v_cndmask_b32_e64 v49, v51, v49, s8
	;; [unrolled: 1-line block ×4, first 2 shown]
	v_cmp_lt_i16_e64 s7, v54, v53
	v_cndmask_b32_e64 v41, v41, v42, s6
	v_cmp_ge_i32_e64 s8, v49, v12
	v_cmp_lt_i32_e64 s6, v46, v13
	s_wait_loadcnt 0x0
	s_barrier_signal -1
	s_barrier_wait -1
	s_or_b32 s7, s8, s7
	global_inv scope:SCOPE_SE
	s_wait_alu 0xfffe
	s_and_b32 s6, s6, s7
	s_wait_alu 0xfffe
	v_cndmask_b32_e64 v42, v47, v50, s6
	ds_store_b8 v1, v41
	ds_store_b8 v1, v43 offset:1
	ds_store_b8 v1, v45 offset:2
	;; [unrolled: 1-line block ×3, first 2 shown]
	v_mov_b32_e32 v41, v36
	s_wait_loadcnt_dscnt 0x0
	s_barrier_signal -1
	s_barrier_wait -1
	global_inv scope:SCOPE_SE
	s_and_saveexec_b32 s7, s2
	s_cbranch_execz .LBB56_38
; %bb.35:                               ;   in Loop: Header=BB56_2 Depth=1
	v_dual_mov_b32 v41, v36 :: v_dual_mov_b32 v42, v30
	s_mov_b32 s8, 0
.LBB56_36:                              ;   Parent Loop BB56_2 Depth=1
                                        ; =>  This Inner Loop Header: Depth=2
	s_delay_alu instid0(VALU_DEP_1) | instskip(NEXT) | instid1(VALU_DEP_1)
	v_sub_nc_u32_e32 v43, v42, v41
	v_lshrrev_b32_e32 v43, 1, v43
	s_delay_alu instid0(VALU_DEP_1) | instskip(NEXT) | instid1(VALU_DEP_1)
	v_add_nc_u32_e32 v43, v43, v41
	v_add_nc_u32_e32 v44, v4, v43
	v_xad_u32 v45, v43, -1, v24
	v_add_nc_u32_e32 v46, 1, v43
	ds_load_i8 v44, v44
	ds_load_i8 v45, v45
	s_wait_dscnt 0x0
	v_cmp_lt_i16_e64 s6, v45, v44
	s_wait_alu 0xf1ff
	s_delay_alu instid0(VALU_DEP_1) | instskip(SKIP_1) | instid1(VALU_DEP_1)
	v_cndmask_b32_e64 v42, v42, v43, s6
	v_cndmask_b32_e64 v41, v46, v41, s6
	v_cmp_ge_i32_e64 s6, v41, v42
	s_wait_alu 0xfffe
	s_or_b32 s8, s6, s8
	s_wait_alu 0xfffe
	s_and_not1_b32 exec_lo, exec_lo, s8
	s_cbranch_execnz .LBB56_36
; %bb.37:                               ;   in Loop: Header=BB56_2 Depth=1
	s_or_b32 exec_lo, exec_lo, s8
.LBB56_38:                              ;   in Loop: Header=BB56_2 Depth=1
	s_wait_alu 0xfffe
	s_or_b32 exec_lo, exec_lo, s7
	v_add_nc_u32_e32 v46, v41, v4
	v_sub_nc_u32_e32 v45, v24, v41
                                        ; implicit-def: $vgpr43
	ds_load_u8 v41, v46
	ds_load_u8 v42, v45
	v_cmp_le_i32_e64 s6, v14, v46
	v_cmp_gt_i32_e64 s8, v15, v45
	s_wait_dscnt 0x1
	v_bfe_i32 v41, v41, 0, 8
	s_wait_dscnt 0x0
	v_bfe_i32 v42, v42, 0, 8
	s_delay_alu instid0(VALU_DEP_1)
	v_cmp_lt_i16_e64 s7, v42, v41
	s_or_b32 s6, s6, s7
	s_wait_alu 0xfffe
	s_and_b32 s6, s8, s6
	s_wait_alu 0xfffe
	s_xor_b32 s7, s6, -1
	s_wait_alu 0xfffe
	s_and_saveexec_b32 s8, s7
	s_wait_alu 0xfffe
	s_xor_b32 s7, exec_lo, s8
; %bb.39:                               ;   in Loop: Header=BB56_2 Depth=1
	ds_load_u8 v43, v46 offset:1
; %bb.40:                               ;   in Loop: Header=BB56_2 Depth=1
	s_wait_alu 0xfffe
	s_or_saveexec_b32 s7, s7
	v_mov_b32_e32 v44, v42
	s_wait_alu 0xfffe
	s_xor_b32 exec_lo, exec_lo, s7
	s_cbranch_execz .LBB56_42
; %bb.41:                               ;   in Loop: Header=BB56_2 Depth=1
	ds_load_u8 v44, v45 offset:1
	s_wait_dscnt 0x1
	v_mov_b32_e32 v43, v41
.LBB56_42:                              ;   in Loop: Header=BB56_2 Depth=1
	s_or_b32 exec_lo, exec_lo, s7
	v_add_nc_u32_e32 v47, 1, v46
	v_add_nc_u32_e32 v49, 1, v45
	s_wait_dscnt 0x0
	v_bfe_i32 v50, v43, 0, 8
	s_delay_alu instid0(VALU_DEP_3) | instskip(SKIP_2) | instid1(VALU_DEP_3)
	v_cndmask_b32_e64 v48, v47, v46, s6
	v_bfe_i32 v46, v44, 0, 8
	v_cndmask_b32_e64 v47, v45, v49, s6
                                        ; implicit-def: $vgpr45
	v_cmp_ge_i32_e64 s7, v48, v14
	s_delay_alu instid0(VALU_DEP_3) | instskip(NEXT) | instid1(VALU_DEP_3)
	v_cmp_lt_i16_e64 s8, v46, v50
	v_cmp_lt_i32_e64 s9, v47, v15
	s_or_b32 s7, s7, s8
	s_wait_alu 0xfffe
	s_and_b32 s7, s9, s7
	s_wait_alu 0xfffe
	s_xor_b32 s8, s7, -1
	s_wait_alu 0xfffe
	s_and_saveexec_b32 s9, s8
	s_wait_alu 0xfffe
	s_xor_b32 s8, exec_lo, s9
; %bb.43:                               ;   in Loop: Header=BB56_2 Depth=1
	ds_load_u8 v45, v48 offset:1
; %bb.44:                               ;   in Loop: Header=BB56_2 Depth=1
	s_wait_alu 0xfffe
	s_or_saveexec_b32 s8, s8
	v_mov_b32_e32 v46, v44
	s_wait_alu 0xfffe
	s_xor_b32 exec_lo, exec_lo, s8
	s_cbranch_execz .LBB56_46
; %bb.45:                               ;   in Loop: Header=BB56_2 Depth=1
	ds_load_u8 v46, v47 offset:1
	s_wait_dscnt 0x1
	v_mov_b32_e32 v45, v43
.LBB56_46:                              ;   in Loop: Header=BB56_2 Depth=1
	s_or_b32 exec_lo, exec_lo, s8
	v_add_nc_u32_e32 v49, 1, v48
	v_add_nc_u32_e32 v50, 1, v47
	s_wait_dscnt 0x0
	v_bfe_i32 v51, v45, 0, 8
	v_bfe_i32 v52, v46, 0, 8
	v_cndmask_b32_e64 v49, v49, v48, s7
	v_cndmask_b32_e64 v48, v47, v50, s7
                                        ; implicit-def: $vgpr47
	s_delay_alu instid0(VALU_DEP_3) | instskip(NEXT) | instid1(VALU_DEP_3)
	v_cmp_lt_i16_e64 s9, v52, v51
	v_cmp_ge_i32_e64 s8, v49, v14
	s_delay_alu instid0(VALU_DEP_3)
	v_cmp_lt_i32_e64 s10, v48, v15
	s_or_b32 s8, s8, s9
	s_wait_alu 0xfffe
	s_and_b32 s8, s10, s8
	s_wait_alu 0xfffe
	s_xor_b32 s9, s8, -1
	s_wait_alu 0xfffe
	s_and_saveexec_b32 s10, s9
	s_delay_alu instid0(SALU_CYCLE_1)
	s_xor_b32 s9, exec_lo, s10
; %bb.47:                               ;   in Loop: Header=BB56_2 Depth=1
	ds_load_u8 v47, v49 offset:1
; %bb.48:                               ;   in Loop: Header=BB56_2 Depth=1
	s_wait_alu 0xfffe
	s_or_saveexec_b32 s9, s9
	v_mov_b32_e32 v50, v46
	s_wait_alu 0xfffe
	s_xor_b32 exec_lo, exec_lo, s9
	s_cbranch_execz .LBB56_50
; %bb.49:                               ;   in Loop: Header=BB56_2 Depth=1
	ds_load_u8 v50, v48 offset:1
	s_wait_dscnt 0x1
	v_mov_b32_e32 v47, v45
.LBB56_50:                              ;   in Loop: Header=BB56_2 Depth=1
	s_or_b32 exec_lo, exec_lo, s9
	v_add_nc_u32_e32 v51, 1, v49
	v_add_nc_u32_e32 v52, 1, v48
	s_wait_dscnt 0x0
	v_bfe_i32 v53, v47, 0, 8
	v_bfe_i32 v54, v50, 0, 8
	v_cndmask_b32_e64 v45, v45, v46, s8
	v_cndmask_b32_e64 v49, v51, v49, s8
	;; [unrolled: 1-line block ×4, first 2 shown]
	v_cmp_lt_i16_e64 s7, v54, v53
	v_cndmask_b32_e64 v41, v41, v42, s6
	v_cmp_ge_i32_e64 s8, v49, v14
	v_cmp_lt_i32_e64 s6, v46, v15
	s_wait_loadcnt 0x0
	s_barrier_signal -1
	s_barrier_wait -1
	s_or_b32 s7, s8, s7
	global_inv scope:SCOPE_SE
	s_wait_alu 0xfffe
	s_and_b32 s6, s6, s7
	s_wait_alu 0xfffe
	v_cndmask_b32_e64 v42, v47, v50, s6
	ds_store_b8 v1, v41
	ds_store_b8 v1, v43 offset:1
	ds_store_b8 v1, v45 offset:2
	;; [unrolled: 1-line block ×3, first 2 shown]
	v_mov_b32_e32 v41, v37
	s_wait_loadcnt_dscnt 0x0
	s_barrier_signal -1
	s_barrier_wait -1
	global_inv scope:SCOPE_SE
	s_and_saveexec_b32 s7, s3
	s_cbranch_execz .LBB56_54
; %bb.51:                               ;   in Loop: Header=BB56_2 Depth=1
	v_dual_mov_b32 v41, v37 :: v_dual_mov_b32 v42, v31
	s_mov_b32 s8, 0
.LBB56_52:                              ;   Parent Loop BB56_2 Depth=1
                                        ; =>  This Inner Loop Header: Depth=2
	s_delay_alu instid0(VALU_DEP_1) | instskip(NEXT) | instid1(VALU_DEP_1)
	v_sub_nc_u32_e32 v43, v42, v41
	v_lshrrev_b32_e32 v43, 1, v43
	s_delay_alu instid0(VALU_DEP_1) | instskip(NEXT) | instid1(VALU_DEP_1)
	v_add_nc_u32_e32 v43, v43, v41
	v_add_nc_u32_e32 v44, v5, v43
	v_xad_u32 v45, v43, -1, v25
	v_add_nc_u32_e32 v46, 1, v43
	ds_load_i8 v44, v44
	ds_load_i8 v45, v45
	s_wait_dscnt 0x0
	v_cmp_lt_i16_e64 s6, v45, v44
	s_wait_alu 0xf1ff
	s_delay_alu instid0(VALU_DEP_1) | instskip(SKIP_1) | instid1(VALU_DEP_1)
	v_cndmask_b32_e64 v42, v42, v43, s6
	v_cndmask_b32_e64 v41, v46, v41, s6
	v_cmp_ge_i32_e64 s6, v41, v42
	s_wait_alu 0xfffe
	s_or_b32 s8, s6, s8
	s_wait_alu 0xfffe
	s_and_not1_b32 exec_lo, exec_lo, s8
	s_cbranch_execnz .LBB56_52
; %bb.53:                               ;   in Loop: Header=BB56_2 Depth=1
	s_or_b32 exec_lo, exec_lo, s8
.LBB56_54:                              ;   in Loop: Header=BB56_2 Depth=1
	s_wait_alu 0xfffe
	s_or_b32 exec_lo, exec_lo, s7
	v_add_nc_u32_e32 v46, v41, v5
	v_sub_nc_u32_e32 v45, v25, v41
                                        ; implicit-def: $vgpr43
	ds_load_u8 v41, v46
	ds_load_u8 v42, v45
	v_cmp_le_i32_e64 s6, v16, v46
	v_cmp_gt_i32_e64 s8, v17, v45
	s_wait_dscnt 0x1
	v_bfe_i32 v41, v41, 0, 8
	s_wait_dscnt 0x0
	v_bfe_i32 v42, v42, 0, 8
	s_delay_alu instid0(VALU_DEP_1)
	v_cmp_lt_i16_e64 s7, v42, v41
	s_or_b32 s6, s6, s7
	s_wait_alu 0xfffe
	s_and_b32 s6, s8, s6
	s_wait_alu 0xfffe
	s_xor_b32 s7, s6, -1
	s_wait_alu 0xfffe
	s_and_saveexec_b32 s8, s7
	s_wait_alu 0xfffe
	s_xor_b32 s7, exec_lo, s8
; %bb.55:                               ;   in Loop: Header=BB56_2 Depth=1
	ds_load_u8 v43, v46 offset:1
; %bb.56:                               ;   in Loop: Header=BB56_2 Depth=1
	s_wait_alu 0xfffe
	s_or_saveexec_b32 s7, s7
	v_mov_b32_e32 v44, v42
	s_wait_alu 0xfffe
	s_xor_b32 exec_lo, exec_lo, s7
	s_cbranch_execz .LBB56_58
; %bb.57:                               ;   in Loop: Header=BB56_2 Depth=1
	ds_load_u8 v44, v45 offset:1
	s_wait_dscnt 0x1
	v_mov_b32_e32 v43, v41
.LBB56_58:                              ;   in Loop: Header=BB56_2 Depth=1
	s_or_b32 exec_lo, exec_lo, s7
	v_add_nc_u32_e32 v47, 1, v46
	v_add_nc_u32_e32 v49, 1, v45
	s_wait_dscnt 0x0
	v_bfe_i32 v50, v43, 0, 8
	s_delay_alu instid0(VALU_DEP_3) | instskip(SKIP_2) | instid1(VALU_DEP_3)
	v_cndmask_b32_e64 v48, v47, v46, s6
	v_bfe_i32 v46, v44, 0, 8
	v_cndmask_b32_e64 v47, v45, v49, s6
                                        ; implicit-def: $vgpr45
	v_cmp_ge_i32_e64 s7, v48, v16
	s_delay_alu instid0(VALU_DEP_3) | instskip(NEXT) | instid1(VALU_DEP_3)
	v_cmp_lt_i16_e64 s8, v46, v50
	v_cmp_lt_i32_e64 s9, v47, v17
	s_or_b32 s7, s7, s8
	s_wait_alu 0xfffe
	s_and_b32 s7, s9, s7
	s_wait_alu 0xfffe
	s_xor_b32 s8, s7, -1
	s_wait_alu 0xfffe
	s_and_saveexec_b32 s9, s8
	s_wait_alu 0xfffe
	s_xor_b32 s8, exec_lo, s9
; %bb.59:                               ;   in Loop: Header=BB56_2 Depth=1
	ds_load_u8 v45, v48 offset:1
; %bb.60:                               ;   in Loop: Header=BB56_2 Depth=1
	s_wait_alu 0xfffe
	s_or_saveexec_b32 s8, s8
	v_mov_b32_e32 v46, v44
	s_wait_alu 0xfffe
	s_xor_b32 exec_lo, exec_lo, s8
	s_cbranch_execz .LBB56_62
; %bb.61:                               ;   in Loop: Header=BB56_2 Depth=1
	ds_load_u8 v46, v47 offset:1
	s_wait_dscnt 0x1
	v_mov_b32_e32 v45, v43
.LBB56_62:                              ;   in Loop: Header=BB56_2 Depth=1
	s_or_b32 exec_lo, exec_lo, s8
	v_add_nc_u32_e32 v49, 1, v48
	v_add_nc_u32_e32 v50, 1, v47
	s_wait_dscnt 0x0
	v_bfe_i32 v51, v45, 0, 8
	v_bfe_i32 v52, v46, 0, 8
	v_cndmask_b32_e64 v49, v49, v48, s7
	v_cndmask_b32_e64 v48, v47, v50, s7
                                        ; implicit-def: $vgpr47
	s_delay_alu instid0(VALU_DEP_3) | instskip(NEXT) | instid1(VALU_DEP_3)
	v_cmp_lt_i16_e64 s9, v52, v51
	v_cmp_ge_i32_e64 s8, v49, v16
	s_delay_alu instid0(VALU_DEP_3)
	v_cmp_lt_i32_e64 s10, v48, v17
	s_or_b32 s8, s8, s9
	s_wait_alu 0xfffe
	s_and_b32 s8, s10, s8
	s_wait_alu 0xfffe
	s_xor_b32 s9, s8, -1
	s_wait_alu 0xfffe
	s_and_saveexec_b32 s10, s9
	s_delay_alu instid0(SALU_CYCLE_1)
	s_xor_b32 s9, exec_lo, s10
; %bb.63:                               ;   in Loop: Header=BB56_2 Depth=1
	ds_load_u8 v47, v49 offset:1
; %bb.64:                               ;   in Loop: Header=BB56_2 Depth=1
	s_wait_alu 0xfffe
	s_or_saveexec_b32 s9, s9
	v_mov_b32_e32 v50, v46
	s_wait_alu 0xfffe
	s_xor_b32 exec_lo, exec_lo, s9
	s_cbranch_execz .LBB56_66
; %bb.65:                               ;   in Loop: Header=BB56_2 Depth=1
	ds_load_u8 v50, v48 offset:1
	s_wait_dscnt 0x1
	v_mov_b32_e32 v47, v45
.LBB56_66:                              ;   in Loop: Header=BB56_2 Depth=1
	s_or_b32 exec_lo, exec_lo, s9
	v_add_nc_u32_e32 v51, 1, v49
	v_add_nc_u32_e32 v52, 1, v48
	s_wait_dscnt 0x0
	v_bfe_i32 v53, v47, 0, 8
	v_bfe_i32 v54, v50, 0, 8
	v_cndmask_b32_e64 v45, v45, v46, s8
	v_cndmask_b32_e64 v49, v51, v49, s8
	;; [unrolled: 1-line block ×4, first 2 shown]
	v_cmp_lt_i16_e64 s7, v54, v53
	v_cndmask_b32_e64 v41, v41, v42, s6
	v_cmp_ge_i32_e64 s8, v49, v16
	v_cmp_lt_i32_e64 s6, v46, v17
	s_wait_loadcnt 0x0
	s_barrier_signal -1
	s_barrier_wait -1
	s_or_b32 s7, s8, s7
	global_inv scope:SCOPE_SE
	s_wait_alu 0xfffe
	s_and_b32 s6, s6, s7
	s_wait_alu 0xfffe
	v_cndmask_b32_e64 v42, v47, v50, s6
	ds_store_b8 v1, v41
	ds_store_b8 v1, v43 offset:1
	ds_store_b8 v1, v45 offset:2
	;; [unrolled: 1-line block ×3, first 2 shown]
	v_mov_b32_e32 v41, v38
	s_wait_loadcnt_dscnt 0x0
	s_barrier_signal -1
	s_barrier_wait -1
	global_inv scope:SCOPE_SE
	s_and_saveexec_b32 s7, s4
	s_cbranch_execz .LBB56_70
; %bb.67:                               ;   in Loop: Header=BB56_2 Depth=1
	v_dual_mov_b32 v41, v38 :: v_dual_mov_b32 v42, v32
	s_mov_b32 s8, 0
.LBB56_68:                              ;   Parent Loop BB56_2 Depth=1
                                        ; =>  This Inner Loop Header: Depth=2
	s_delay_alu instid0(VALU_DEP_1) | instskip(NEXT) | instid1(VALU_DEP_1)
	v_sub_nc_u32_e32 v43, v42, v41
	v_lshrrev_b32_e32 v43, 1, v43
	s_delay_alu instid0(VALU_DEP_1) | instskip(NEXT) | instid1(VALU_DEP_1)
	v_add_nc_u32_e32 v43, v43, v41
	v_add_nc_u32_e32 v44, v6, v43
	v_xad_u32 v45, v43, -1, v26
	v_add_nc_u32_e32 v46, 1, v43
	ds_load_i8 v44, v44
	ds_load_i8 v45, v45
	s_wait_dscnt 0x0
	v_cmp_lt_i16_e64 s6, v45, v44
	s_wait_alu 0xf1ff
	s_delay_alu instid0(VALU_DEP_1) | instskip(SKIP_1) | instid1(VALU_DEP_1)
	v_cndmask_b32_e64 v42, v42, v43, s6
	v_cndmask_b32_e64 v41, v46, v41, s6
	v_cmp_ge_i32_e64 s6, v41, v42
	s_wait_alu 0xfffe
	s_or_b32 s8, s6, s8
	s_wait_alu 0xfffe
	s_and_not1_b32 exec_lo, exec_lo, s8
	s_cbranch_execnz .LBB56_68
; %bb.69:                               ;   in Loop: Header=BB56_2 Depth=1
	s_or_b32 exec_lo, exec_lo, s8
.LBB56_70:                              ;   in Loop: Header=BB56_2 Depth=1
	s_wait_alu 0xfffe
	s_or_b32 exec_lo, exec_lo, s7
	v_add_nc_u32_e32 v46, v41, v6
	v_sub_nc_u32_e32 v45, v26, v41
                                        ; implicit-def: $vgpr43
	ds_load_u8 v41, v46
	ds_load_u8 v42, v45
	v_cmp_le_i32_e64 s6, v18, v46
	v_cmp_gt_i32_e64 s8, v19, v45
	s_wait_dscnt 0x1
	v_bfe_i32 v41, v41, 0, 8
	s_wait_dscnt 0x0
	v_bfe_i32 v42, v42, 0, 8
	s_delay_alu instid0(VALU_DEP_1)
	v_cmp_lt_i16_e64 s7, v42, v41
	s_or_b32 s6, s6, s7
	s_wait_alu 0xfffe
	s_and_b32 s6, s8, s6
	s_wait_alu 0xfffe
	s_xor_b32 s7, s6, -1
	s_wait_alu 0xfffe
	s_and_saveexec_b32 s8, s7
	s_wait_alu 0xfffe
	s_xor_b32 s7, exec_lo, s8
; %bb.71:                               ;   in Loop: Header=BB56_2 Depth=1
	ds_load_u8 v43, v46 offset:1
; %bb.72:                               ;   in Loop: Header=BB56_2 Depth=1
	s_wait_alu 0xfffe
	s_or_saveexec_b32 s7, s7
	v_mov_b32_e32 v44, v42
	s_wait_alu 0xfffe
	s_xor_b32 exec_lo, exec_lo, s7
	s_cbranch_execz .LBB56_74
; %bb.73:                               ;   in Loop: Header=BB56_2 Depth=1
	ds_load_u8 v44, v45 offset:1
	s_wait_dscnt 0x1
	v_mov_b32_e32 v43, v41
.LBB56_74:                              ;   in Loop: Header=BB56_2 Depth=1
	s_or_b32 exec_lo, exec_lo, s7
	v_add_nc_u32_e32 v47, 1, v46
	v_add_nc_u32_e32 v49, 1, v45
	s_wait_dscnt 0x0
	v_bfe_i32 v50, v43, 0, 8
	s_delay_alu instid0(VALU_DEP_3) | instskip(SKIP_2) | instid1(VALU_DEP_3)
	v_cndmask_b32_e64 v48, v47, v46, s6
	v_bfe_i32 v46, v44, 0, 8
	v_cndmask_b32_e64 v47, v45, v49, s6
                                        ; implicit-def: $vgpr45
	v_cmp_ge_i32_e64 s7, v48, v18
	s_delay_alu instid0(VALU_DEP_3) | instskip(NEXT) | instid1(VALU_DEP_3)
	v_cmp_lt_i16_e64 s8, v46, v50
	v_cmp_lt_i32_e64 s9, v47, v19
	s_or_b32 s7, s7, s8
	s_wait_alu 0xfffe
	s_and_b32 s7, s9, s7
	s_wait_alu 0xfffe
	s_xor_b32 s8, s7, -1
	s_wait_alu 0xfffe
	s_and_saveexec_b32 s9, s8
	s_wait_alu 0xfffe
	s_xor_b32 s8, exec_lo, s9
; %bb.75:                               ;   in Loop: Header=BB56_2 Depth=1
	ds_load_u8 v45, v48 offset:1
; %bb.76:                               ;   in Loop: Header=BB56_2 Depth=1
	s_wait_alu 0xfffe
	s_or_saveexec_b32 s8, s8
	v_mov_b32_e32 v46, v44
	s_wait_alu 0xfffe
	s_xor_b32 exec_lo, exec_lo, s8
	s_cbranch_execz .LBB56_78
; %bb.77:                               ;   in Loop: Header=BB56_2 Depth=1
	ds_load_u8 v46, v47 offset:1
	s_wait_dscnt 0x1
	v_mov_b32_e32 v45, v43
.LBB56_78:                              ;   in Loop: Header=BB56_2 Depth=1
	s_or_b32 exec_lo, exec_lo, s8
	v_add_nc_u32_e32 v49, 1, v48
	v_add_nc_u32_e32 v50, 1, v47
	s_wait_dscnt 0x0
	v_bfe_i32 v51, v45, 0, 8
	v_bfe_i32 v52, v46, 0, 8
	v_cndmask_b32_e64 v49, v49, v48, s7
	v_cndmask_b32_e64 v48, v47, v50, s7
                                        ; implicit-def: $vgpr47
	s_delay_alu instid0(VALU_DEP_3) | instskip(NEXT) | instid1(VALU_DEP_3)
	v_cmp_lt_i16_e64 s9, v52, v51
	v_cmp_ge_i32_e64 s8, v49, v18
	s_delay_alu instid0(VALU_DEP_3)
	v_cmp_lt_i32_e64 s10, v48, v19
	s_or_b32 s8, s8, s9
	s_wait_alu 0xfffe
	s_and_b32 s8, s10, s8
	s_wait_alu 0xfffe
	s_xor_b32 s9, s8, -1
	s_wait_alu 0xfffe
	s_and_saveexec_b32 s10, s9
	s_delay_alu instid0(SALU_CYCLE_1)
	s_xor_b32 s9, exec_lo, s10
; %bb.79:                               ;   in Loop: Header=BB56_2 Depth=1
	ds_load_u8 v47, v49 offset:1
; %bb.80:                               ;   in Loop: Header=BB56_2 Depth=1
	s_wait_alu 0xfffe
	s_or_saveexec_b32 s9, s9
	v_mov_b32_e32 v50, v46
	s_wait_alu 0xfffe
	s_xor_b32 exec_lo, exec_lo, s9
	s_cbranch_execz .LBB56_82
; %bb.81:                               ;   in Loop: Header=BB56_2 Depth=1
	ds_load_u8 v50, v48 offset:1
	s_wait_dscnt 0x1
	v_mov_b32_e32 v47, v45
.LBB56_82:                              ;   in Loop: Header=BB56_2 Depth=1
	s_or_b32 exec_lo, exec_lo, s9
	v_add_nc_u32_e32 v51, 1, v49
	v_add_nc_u32_e32 v52, 1, v48
	s_wait_dscnt 0x0
	v_bfe_i32 v53, v47, 0, 8
	v_bfe_i32 v54, v50, 0, 8
	v_cndmask_b32_e64 v45, v45, v46, s8
	v_cndmask_b32_e64 v49, v51, v49, s8
	;; [unrolled: 1-line block ×4, first 2 shown]
	v_cmp_lt_i16_e64 s7, v54, v53
	v_cndmask_b32_e64 v41, v41, v42, s6
	v_cmp_ge_i32_e64 s8, v49, v18
	v_cmp_lt_i32_e64 s6, v46, v19
	s_wait_loadcnt 0x0
	s_barrier_signal -1
	s_barrier_wait -1
	s_or_b32 s7, s8, s7
	global_inv scope:SCOPE_SE
	s_wait_alu 0xfffe
	s_and_b32 s6, s6, s7
	s_wait_alu 0xfffe
	v_cndmask_b32_e64 v42, v47, v50, s6
	ds_store_b8 v1, v41
	ds_store_b8 v1, v43 offset:1
	ds_store_b8 v1, v45 offset:2
	;; [unrolled: 1-line block ×3, first 2 shown]
	v_mov_b32_e32 v41, v39
	s_wait_loadcnt_dscnt 0x0
	s_barrier_signal -1
	s_barrier_wait -1
	global_inv scope:SCOPE_SE
	s_and_saveexec_b32 s7, s5
	s_cbranch_execz .LBB56_86
; %bb.83:                               ;   in Loop: Header=BB56_2 Depth=1
	v_dual_mov_b32 v41, v39 :: v_dual_mov_b32 v42, v33
	s_mov_b32 s8, 0
.LBB56_84:                              ;   Parent Loop BB56_2 Depth=1
                                        ; =>  This Inner Loop Header: Depth=2
	s_delay_alu instid0(VALU_DEP_1) | instskip(NEXT) | instid1(VALU_DEP_1)
	v_sub_nc_u32_e32 v43, v42, v41
	v_lshrrev_b32_e32 v43, 1, v43
	s_delay_alu instid0(VALU_DEP_1) | instskip(NEXT) | instid1(VALU_DEP_1)
	v_add_nc_u32_e32 v43, v43, v41
	v_add_nc_u32_e32 v44, v7, v43
	v_xad_u32 v45, v43, -1, v27
	v_add_nc_u32_e32 v46, 1, v43
	ds_load_i8 v44, v44
	ds_load_i8 v45, v45
	s_wait_dscnt 0x0
	v_cmp_lt_i16_e64 s6, v45, v44
	s_wait_alu 0xf1ff
	s_delay_alu instid0(VALU_DEP_1) | instskip(SKIP_1) | instid1(VALU_DEP_1)
	v_cndmask_b32_e64 v42, v42, v43, s6
	v_cndmask_b32_e64 v41, v46, v41, s6
	v_cmp_ge_i32_e64 s6, v41, v42
	s_wait_alu 0xfffe
	s_or_b32 s8, s6, s8
	s_wait_alu 0xfffe
	s_and_not1_b32 exec_lo, exec_lo, s8
	s_cbranch_execnz .LBB56_84
; %bb.85:                               ;   in Loop: Header=BB56_2 Depth=1
	s_or_b32 exec_lo, exec_lo, s8
.LBB56_86:                              ;   in Loop: Header=BB56_2 Depth=1
	s_wait_alu 0xfffe
	s_or_b32 exec_lo, exec_lo, s7
	v_add_nc_u32_e32 v46, v41, v7
	v_sub_nc_u32_e32 v45, v27, v41
                                        ; implicit-def: $vgpr43
	ds_load_u8 v41, v46
	ds_load_u8 v42, v45
	v_cmp_le_i32_e64 s6, v20, v46
	v_cmp_gt_i32_e64 s8, v21, v45
	s_wait_dscnt 0x1
	v_bfe_i32 v41, v41, 0, 8
	s_wait_dscnt 0x0
	v_bfe_i32 v42, v42, 0, 8
	s_delay_alu instid0(VALU_DEP_1)
	v_cmp_lt_i16_e64 s7, v42, v41
	s_or_b32 s6, s6, s7
	s_wait_alu 0xfffe
	s_and_b32 s6, s8, s6
	s_wait_alu 0xfffe
	s_xor_b32 s7, s6, -1
	s_wait_alu 0xfffe
	s_and_saveexec_b32 s8, s7
	s_wait_alu 0xfffe
	s_xor_b32 s7, exec_lo, s8
; %bb.87:                               ;   in Loop: Header=BB56_2 Depth=1
	ds_load_u8 v43, v46 offset:1
; %bb.88:                               ;   in Loop: Header=BB56_2 Depth=1
	s_wait_alu 0xfffe
	s_or_saveexec_b32 s7, s7
	v_mov_b32_e32 v44, v42
	s_wait_alu 0xfffe
	s_xor_b32 exec_lo, exec_lo, s7
	s_cbranch_execz .LBB56_90
; %bb.89:                               ;   in Loop: Header=BB56_2 Depth=1
	ds_load_u8 v44, v45 offset:1
	s_wait_dscnt 0x1
	v_mov_b32_e32 v43, v41
.LBB56_90:                              ;   in Loop: Header=BB56_2 Depth=1
	s_or_b32 exec_lo, exec_lo, s7
	v_add_nc_u32_e32 v47, 1, v46
	v_add_nc_u32_e32 v49, 1, v45
	s_wait_dscnt 0x0
	v_bfe_i32 v50, v43, 0, 8
	s_delay_alu instid0(VALU_DEP_3) | instskip(SKIP_2) | instid1(VALU_DEP_3)
	v_cndmask_b32_e64 v48, v47, v46, s6
	v_bfe_i32 v46, v44, 0, 8
	v_cndmask_b32_e64 v47, v45, v49, s6
                                        ; implicit-def: $vgpr45
	v_cmp_ge_i32_e64 s7, v48, v20
	s_delay_alu instid0(VALU_DEP_3) | instskip(NEXT) | instid1(VALU_DEP_3)
	v_cmp_lt_i16_e64 s8, v46, v50
	v_cmp_lt_i32_e64 s9, v47, v21
	s_or_b32 s7, s7, s8
	s_wait_alu 0xfffe
	s_and_b32 s7, s9, s7
	s_wait_alu 0xfffe
	s_xor_b32 s8, s7, -1
	s_wait_alu 0xfffe
	s_and_saveexec_b32 s9, s8
	s_wait_alu 0xfffe
	s_xor_b32 s8, exec_lo, s9
; %bb.91:                               ;   in Loop: Header=BB56_2 Depth=1
	ds_load_u8 v45, v48 offset:1
; %bb.92:                               ;   in Loop: Header=BB56_2 Depth=1
	s_wait_alu 0xfffe
	s_or_saveexec_b32 s8, s8
	v_mov_b32_e32 v46, v44
	s_wait_alu 0xfffe
	s_xor_b32 exec_lo, exec_lo, s8
	s_cbranch_execz .LBB56_94
; %bb.93:                               ;   in Loop: Header=BB56_2 Depth=1
	ds_load_u8 v46, v47 offset:1
	s_wait_dscnt 0x1
	v_mov_b32_e32 v45, v43
.LBB56_94:                              ;   in Loop: Header=BB56_2 Depth=1
	s_or_b32 exec_lo, exec_lo, s8
	v_add_nc_u32_e32 v49, 1, v48
	v_add_nc_u32_e32 v50, 1, v47
	s_wait_dscnt 0x0
	v_bfe_i32 v51, v45, 0, 8
	v_bfe_i32 v52, v46, 0, 8
	v_cndmask_b32_e64 v49, v49, v48, s7
	v_cndmask_b32_e64 v48, v47, v50, s7
                                        ; implicit-def: $vgpr47
	s_delay_alu instid0(VALU_DEP_3) | instskip(NEXT) | instid1(VALU_DEP_3)
	v_cmp_lt_i16_e64 s9, v52, v51
	v_cmp_ge_i32_e64 s8, v49, v20
	s_delay_alu instid0(VALU_DEP_3)
	v_cmp_lt_i32_e64 s10, v48, v21
	s_or_b32 s8, s8, s9
	s_wait_alu 0xfffe
	s_and_b32 s8, s10, s8
	s_wait_alu 0xfffe
	s_xor_b32 s9, s8, -1
	s_wait_alu 0xfffe
	s_and_saveexec_b32 s10, s9
	s_delay_alu instid0(SALU_CYCLE_1)
	s_xor_b32 s9, exec_lo, s10
; %bb.95:                               ;   in Loop: Header=BB56_2 Depth=1
	ds_load_u8 v47, v49 offset:1
; %bb.96:                               ;   in Loop: Header=BB56_2 Depth=1
	s_wait_alu 0xfffe
	s_or_saveexec_b32 s9, s9
	v_mov_b32_e32 v50, v46
	s_wait_alu 0xfffe
	s_xor_b32 exec_lo, exec_lo, s9
	s_cbranch_execz .LBB56_98
; %bb.97:                               ;   in Loop: Header=BB56_2 Depth=1
	ds_load_u8 v50, v48 offset:1
	s_wait_dscnt 0x1
	v_mov_b32_e32 v47, v45
.LBB56_98:                              ;   in Loop: Header=BB56_2 Depth=1
	s_or_b32 exec_lo, exec_lo, s9
	v_add_nc_u32_e32 v51, 1, v49
	v_add_nc_u32_e32 v52, 1, v48
	s_wait_dscnt 0x0
	v_bfe_i32 v53, v47, 0, 8
	v_bfe_i32 v54, v50, 0, 8
	v_cndmask_b32_e64 v45, v45, v46, s8
	v_cndmask_b32_e64 v49, v51, v49, s8
	;; [unrolled: 1-line block ×4, first 2 shown]
	v_cmp_lt_i16_e64 s7, v54, v53
	v_cndmask_b32_e64 v41, v41, v42, s6
	v_cmp_ge_i32_e64 s8, v49, v20
	v_cmp_lt_i32_e64 s6, v46, v21
	s_wait_loadcnt 0x0
	s_barrier_signal -1
	s_barrier_wait -1
	s_or_b32 s7, s8, s7
	global_inv scope:SCOPE_SE
	s_wait_alu 0xfffe
	s_and_b32 s6, s6, s7
	s_wait_alu 0xfffe
	v_cndmask_b32_e64 v42, v47, v50, s6
	ds_store_b8 v1, v41
	ds_store_b8 v1, v43 offset:1
	ds_store_b8 v1, v45 offset:2
	;; [unrolled: 1-line block ×3, first 2 shown]
	v_mov_b32_e32 v45, v8
	s_wait_loadcnt_dscnt 0x0
	s_barrier_signal -1
	s_barrier_wait -1
	global_inv scope:SCOPE_SE
	s_and_saveexec_b32 s7, vcc_lo
	s_cbranch_execz .LBB56_102
; %bb.99:                               ;   in Loop: Header=BB56_2 Depth=1
	v_mov_b32_e32 v45, v8
	v_mov_b32_e32 v41, v9
	s_mov_b32 s8, 0
.LBB56_100:                             ;   Parent Loop BB56_2 Depth=1
                                        ; =>  This Inner Loop Header: Depth=2
	s_delay_alu instid0(VALU_DEP_1) | instskip(NEXT) | instid1(VALU_DEP_1)
	v_sub_nc_u32_e32 v42, v41, v45
	v_lshrrev_b32_e32 v42, 1, v42
	s_delay_alu instid0(VALU_DEP_1) | instskip(NEXT) | instid1(VALU_DEP_1)
	v_add_nc_u32_e32 v42, v42, v45
	v_xad_u32 v43, v42, -1, v40
	v_add_nc_u32_e32 v46, 1, v42
	ds_load_i8 v44, v42
	ds_load_i8 v43, v43
	s_wait_dscnt 0x0
	v_cmp_lt_i16_e64 s6, v43, v44
	s_wait_alu 0xf1ff
	s_delay_alu instid0(VALU_DEP_1) | instskip(SKIP_1) | instid1(VALU_DEP_1)
	v_cndmask_b32_e64 v41, v41, v42, s6
	v_cndmask_b32_e64 v45, v46, v45, s6
	v_cmp_ge_i32_e64 s6, v45, v41
	s_wait_alu 0xfffe
	s_or_b32 s8, s6, s8
	s_wait_alu 0xfffe
	s_and_not1_b32 exec_lo, exec_lo, s8
	s_cbranch_execnz .LBB56_100
; %bb.101:                              ;   in Loop: Header=BB56_2 Depth=1
	s_or_b32 exec_lo, exec_lo, s8
.LBB56_102:                             ;   in Loop: Header=BB56_2 Depth=1
	s_wait_alu 0xfffe
	s_or_b32 exec_lo, exec_lo, s7
	v_sub_nc_u32_e32 v46, v40, v45
	v_cmp_le_i32_e64 s6, 0x100, v45
                                        ; implicit-def: $vgpr43
	ds_load_u8 v41, v45
	ds_load_u8 v42, v46
	v_cmp_gt_i32_e64 s8, 0x200, v46
	s_wait_dscnt 0x1
	v_bfe_i32 v41, v41, 0, 8
	s_wait_dscnt 0x0
	v_bfe_i32 v42, v42, 0, 8
	s_delay_alu instid0(VALU_DEP_1)
	v_cmp_lt_i16_e64 s7, v42, v41
	s_or_b32 s6, s6, s7
	s_wait_alu 0xfffe
	s_and_b32 s6, s8, s6
	s_wait_alu 0xfffe
	s_xor_b32 s7, s6, -1
	s_wait_alu 0xfffe
	s_and_saveexec_b32 s8, s7
	s_wait_alu 0xfffe
	s_xor_b32 s7, exec_lo, s8
; %bb.103:                              ;   in Loop: Header=BB56_2 Depth=1
	ds_load_u8 v43, v45 offset:1
; %bb.104:                              ;   in Loop: Header=BB56_2 Depth=1
	s_wait_alu 0xfffe
	s_or_saveexec_b32 s7, s7
	v_mov_b32_e32 v44, v42
	s_wait_alu 0xfffe
	s_xor_b32 exec_lo, exec_lo, s7
	s_cbranch_execz .LBB56_106
; %bb.105:                              ;   in Loop: Header=BB56_2 Depth=1
	ds_load_u8 v44, v46 offset:1
	s_wait_dscnt 0x1
	v_mov_b32_e32 v43, v41
.LBB56_106:                             ;   in Loop: Header=BB56_2 Depth=1
	s_or_b32 exec_lo, exec_lo, s7
	v_add_nc_u32_e32 v47, 1, v45
	v_add_nc_u32_e32 v49, 1, v46
	s_wait_dscnt 0x0
	v_bfe_i32 v50, v43, 0, 8
	s_delay_alu instid0(VALU_DEP_3) | instskip(SKIP_2) | instid1(VALU_DEP_3)
	v_cndmask_b32_e64 v48, v47, v45, s6
	v_bfe_i32 v45, v44, 0, 8
	v_cndmask_b32_e64 v47, v46, v49, s6
	v_cmp_le_i32_e64 s7, 0x100, v48
	s_delay_alu instid0(VALU_DEP_3) | instskip(NEXT) | instid1(VALU_DEP_3)
	v_cmp_lt_i16_e64 s8, v45, v50
	v_cmp_gt_i32_e64 s9, 0x200, v47
                                        ; implicit-def: $vgpr45
	s_or_b32 s7, s7, s8
	s_wait_alu 0xfffe
	s_and_b32 s7, s9, s7
	s_wait_alu 0xfffe
	s_xor_b32 s8, s7, -1
	s_wait_alu 0xfffe
	s_and_saveexec_b32 s9, s8
	s_wait_alu 0xfffe
	s_xor_b32 s8, exec_lo, s9
; %bb.107:                              ;   in Loop: Header=BB56_2 Depth=1
	ds_load_u8 v45, v48 offset:1
; %bb.108:                              ;   in Loop: Header=BB56_2 Depth=1
	s_wait_alu 0xfffe
	s_or_saveexec_b32 s8, s8
	v_mov_b32_e32 v46, v44
	s_wait_alu 0xfffe
	s_xor_b32 exec_lo, exec_lo, s8
	s_cbranch_execz .LBB56_110
; %bb.109:                              ;   in Loop: Header=BB56_2 Depth=1
	ds_load_u8 v46, v47 offset:1
	s_wait_dscnt 0x1
	v_mov_b32_e32 v45, v43
.LBB56_110:                             ;   in Loop: Header=BB56_2 Depth=1
	s_or_b32 exec_lo, exec_lo, s8
	v_add_nc_u32_e32 v49, 1, v48
	v_add_nc_u32_e32 v51, 1, v47
	s_wait_dscnt 0x0
	v_bfe_i32 v52, v45, 0, 8
	s_delay_alu instid0(VALU_DEP_3) | instskip(SKIP_2) | instid1(VALU_DEP_3)
	v_cndmask_b32_e64 v50, v49, v48, s7
	v_bfe_i32 v48, v46, 0, 8
	v_cndmask_b32_e64 v47, v47, v51, s7
                                        ; implicit-def: $vgpr49
	v_cmp_le_i32_e64 s8, 0x100, v50
	s_delay_alu instid0(VALU_DEP_3) | instskip(NEXT) | instid1(VALU_DEP_3)
	v_cmp_lt_i16_e64 s9, v48, v52
	v_cmp_gt_i32_e64 s10, 0x200, v47
                                        ; implicit-def: $vgpr48
	s_or_b32 s8, s8, s9
	s_wait_alu 0xfffe
	s_and_b32 s8, s10, s8
	s_wait_alu 0xfffe
	s_xor_b32 s9, s8, -1
	s_wait_alu 0xfffe
	s_and_saveexec_b32 s10, s9
	s_delay_alu instid0(SALU_CYCLE_1)
	s_xor_b32 s9, exec_lo, s10
; %bb.111:                              ;   in Loop: Header=BB56_2 Depth=1
	ds_load_u8 v48, v50 offset:1
	v_add_nc_u32_e32 v49, 1, v50
                                        ; implicit-def: $vgpr50
; %bb.112:                              ;   in Loop: Header=BB56_2 Depth=1
	s_wait_alu 0xfffe
	s_or_saveexec_b32 s9, s9
	v_mov_b32_e32 v51, v46
	s_wait_alu 0xfffe
	s_xor_b32 exec_lo, exec_lo, s9
	s_cbranch_execz .LBB56_1
; %bb.113:                              ;   in Loop: Header=BB56_2 Depth=1
	ds_load_u8 v51, v47 offset:1
	s_wait_dscnt 0x1
	v_dual_mov_b32 v48, v45 :: v_dual_add_nc_u32 v47, 1, v47
	v_mov_b32_e32 v49, v50
	s_branch .LBB56_1
.LBB56_114:
	s_add_nc_u64 s[0:1], s[14:15], s[16:17]
	s_wait_alu 0xfffe
	v_add_co_u32 v0, s0, s0, v0
	s_wait_alu 0xf1ff
	v_add_co_ci_u32_e64 v1, null, s1, 0, s0
	s_clause 0x3
	global_store_b8 v[0:1], v41, off
	global_store_b8 v[0:1], v42, off offset:128
	global_store_b8 v[0:1], v43, off offset:256
	;; [unrolled: 1-line block ×3, first 2 shown]
	s_endpgm
	.section	.rodata,"a",@progbits
	.p2align	6, 0x0
	.amdhsa_kernel _Z16sort_keys_kernelIaLj128ELj4EN10test_utils4lessELj10EEvPKT_PS2_T2_
		.amdhsa_group_segment_fixed_size 513
		.amdhsa_private_segment_fixed_size 0
		.amdhsa_kernarg_size 20
		.amdhsa_user_sgpr_count 2
		.amdhsa_user_sgpr_dispatch_ptr 0
		.amdhsa_user_sgpr_queue_ptr 0
		.amdhsa_user_sgpr_kernarg_segment_ptr 1
		.amdhsa_user_sgpr_dispatch_id 0
		.amdhsa_user_sgpr_private_segment_size 0
		.amdhsa_wavefront_size32 1
		.amdhsa_uses_dynamic_stack 0
		.amdhsa_enable_private_segment 0
		.amdhsa_system_sgpr_workgroup_id_x 1
		.amdhsa_system_sgpr_workgroup_id_y 0
		.amdhsa_system_sgpr_workgroup_id_z 0
		.amdhsa_system_sgpr_workgroup_info 0
		.amdhsa_system_vgpr_workitem_id 0
		.amdhsa_next_free_vgpr 56
		.amdhsa_next_free_sgpr 18
		.amdhsa_reserve_vcc 1
		.amdhsa_float_round_mode_32 0
		.amdhsa_float_round_mode_16_64 0
		.amdhsa_float_denorm_mode_32 3
		.amdhsa_float_denorm_mode_16_64 3
		.amdhsa_fp16_overflow 0
		.amdhsa_workgroup_processor_mode 1
		.amdhsa_memory_ordered 1
		.amdhsa_forward_progress 1
		.amdhsa_inst_pref_size 56
		.amdhsa_round_robin_scheduling 0
		.amdhsa_exception_fp_ieee_invalid_op 0
		.amdhsa_exception_fp_denorm_src 0
		.amdhsa_exception_fp_ieee_div_zero 0
		.amdhsa_exception_fp_ieee_overflow 0
		.amdhsa_exception_fp_ieee_underflow 0
		.amdhsa_exception_fp_ieee_inexact 0
		.amdhsa_exception_int_div_zero 0
	.end_amdhsa_kernel
	.section	.text._Z16sort_keys_kernelIaLj128ELj4EN10test_utils4lessELj10EEvPKT_PS2_T2_,"axG",@progbits,_Z16sort_keys_kernelIaLj128ELj4EN10test_utils4lessELj10EEvPKT_PS2_T2_,comdat
.Lfunc_end56:
	.size	_Z16sort_keys_kernelIaLj128ELj4EN10test_utils4lessELj10EEvPKT_PS2_T2_, .Lfunc_end56-_Z16sort_keys_kernelIaLj128ELj4EN10test_utils4lessELj10EEvPKT_PS2_T2_
                                        ; -- End function
	.set _Z16sort_keys_kernelIaLj128ELj4EN10test_utils4lessELj10EEvPKT_PS2_T2_.num_vgpr, 56
	.set _Z16sort_keys_kernelIaLj128ELj4EN10test_utils4lessELj10EEvPKT_PS2_T2_.num_agpr, 0
	.set _Z16sort_keys_kernelIaLj128ELj4EN10test_utils4lessELj10EEvPKT_PS2_T2_.numbered_sgpr, 18
	.set _Z16sort_keys_kernelIaLj128ELj4EN10test_utils4lessELj10EEvPKT_PS2_T2_.num_named_barrier, 0
	.set _Z16sort_keys_kernelIaLj128ELj4EN10test_utils4lessELj10EEvPKT_PS2_T2_.private_seg_size, 0
	.set _Z16sort_keys_kernelIaLj128ELj4EN10test_utils4lessELj10EEvPKT_PS2_T2_.uses_vcc, 1
	.set _Z16sort_keys_kernelIaLj128ELj4EN10test_utils4lessELj10EEvPKT_PS2_T2_.uses_flat_scratch, 0
	.set _Z16sort_keys_kernelIaLj128ELj4EN10test_utils4lessELj10EEvPKT_PS2_T2_.has_dyn_sized_stack, 0
	.set _Z16sort_keys_kernelIaLj128ELj4EN10test_utils4lessELj10EEvPKT_PS2_T2_.has_recursion, 0
	.set _Z16sort_keys_kernelIaLj128ELj4EN10test_utils4lessELj10EEvPKT_PS2_T2_.has_indirect_call, 0
	.section	.AMDGPU.csdata,"",@progbits
; Kernel info:
; codeLenInByte = 7124
; TotalNumSgprs: 20
; NumVgprs: 56
; ScratchSize: 0
; MemoryBound: 0
; FloatMode: 240
; IeeeMode: 1
; LDSByteSize: 513 bytes/workgroup (compile time only)
; SGPRBlocks: 0
; VGPRBlocks: 6
; NumSGPRsForWavesPerEU: 20
; NumVGPRsForWavesPerEU: 56
; Occupancy: 16
; WaveLimiterHint : 1
; COMPUTE_PGM_RSRC2:SCRATCH_EN: 0
; COMPUTE_PGM_RSRC2:USER_SGPR: 2
; COMPUTE_PGM_RSRC2:TRAP_HANDLER: 0
; COMPUTE_PGM_RSRC2:TGID_X_EN: 1
; COMPUTE_PGM_RSRC2:TGID_Y_EN: 0
; COMPUTE_PGM_RSRC2:TGID_Z_EN: 0
; COMPUTE_PGM_RSRC2:TIDIG_COMP_CNT: 0
	.section	.text._Z17sort_pairs_kernelIaLj128ELj4EN10test_utils4lessELj10EEvPKT_PS2_T2_,"axG",@progbits,_Z17sort_pairs_kernelIaLj128ELj4EN10test_utils4lessELj10EEvPKT_PS2_T2_,comdat
	.protected	_Z17sort_pairs_kernelIaLj128ELj4EN10test_utils4lessELj10EEvPKT_PS2_T2_ ; -- Begin function _Z17sort_pairs_kernelIaLj128ELj4EN10test_utils4lessELj10EEvPKT_PS2_T2_
	.globl	_Z17sort_pairs_kernelIaLj128ELj4EN10test_utils4lessELj10EEvPKT_PS2_T2_
	.p2align	8
	.type	_Z17sort_pairs_kernelIaLj128ELj4EN10test_utils4lessELj10EEvPKT_PS2_T2_,@function
_Z17sort_pairs_kernelIaLj128ELj4EN10test_utils4lessELj10EEvPKT_PS2_T2_: ; @_Z17sort_pairs_kernelIaLj128ELj4EN10test_utils4lessELj10EEvPKT_PS2_T2_
; %bb.0:
	s_load_b128 s[16:19], s[0:1], 0x0
	s_lshl_b32 s20, ttmp9, 9
	s_mov_b32 s21, 0
	v_lshlrev_b32_e32 v1, 2, v0
	s_delay_alu instid0(VALU_DEP_1)
	v_and_b32_e32 v2, 0x1f8, v1
	v_and_b32_e32 v3, 0x1f0, v1
	;; [unrolled: 1-line block ×5, first 2 shown]
	v_or_b32_e32 v10, 4, v2
	v_add_nc_u32_e32 v11, 8, v2
	v_or_b32_e32 v12, 8, v3
	v_add_nc_u32_e32 v13, 16, v3
	v_and_b32_e32 v5, 0x1c0, v1
	v_or_b32_e32 v14, 16, v4
	v_sub_nc_u32_e32 v40, v11, v10
	s_wait_kmcnt 0x0
	s_add_nc_u64 s[0:1], s[16:17], s[20:21]
	v_add_nc_u32_e32 v15, 32, v4
	s_clause 0x3
	global_load_u8 v47, v0, s[0:1]
	global_load_u8 v46, v0, s[0:1] offset:128
	global_load_u8 v48, v0, s[0:1] offset:256
	;; [unrolled: 1-line block ×3, first 2 shown]
	v_sub_nc_u32_e32 v28, v10, v2
	v_sub_nc_u32_e32 v41, v13, v12
	;; [unrolled: 1-line block ×3, first 2 shown]
	v_cmp_ge_i32_e64 s0, v34, v40
	v_and_b32_e32 v36, 28, v1
	v_and_b32_e32 v6, 0x180, v1
	v_or_b32_e32 v16, 32, v5
	v_add_nc_u32_e32 v17, 64, v5
	v_add_nc_u32_e32 v22, v10, v34
	v_sub_nc_u32_e32 v29, v12, v3
	v_sub_nc_u32_e32 v42, v15, v14
	v_min_i32_e32 v28, v34, v28
	v_sub_nc_u32_e32 v51, v35, v41
	v_cndmask_b32_e64 v34, 0, v50, s0
	v_cmp_ge_i32_e64 s0, v35, v41
	v_and_b32_e32 v37, 60, v1
	v_and_b32_e32 v7, 0x100, v1
	v_or_b32_e32 v18, 64, v6
	v_add_nc_u32_e32 v19, 0x80, v6
	v_add_nc_u32_e32 v23, v12, v35
	v_sub_nc_u32_e32 v30, v14, v4
	v_sub_nc_u32_e32 v43, v17, v16
	v_min_i32_e32 v29, v35, v29
	v_sub_nc_u32_e32 v52, v36, v42
	s_wait_alu 0xf1ff
	v_cndmask_b32_e64 v35, 0, v51, s0
	v_cmp_ge_i32_e64 s0, v36, v42
	v_and_b32_e32 v38, 0x7c, v1
	v_or_b32_e32 v20, 0x80, v7
	v_add_nc_u32_e32 v21, 0x100, v7
	v_add_nc_u32_e32 v24, v14, v36
	v_sub_nc_u32_e32 v31, v16, v5
	v_sub_nc_u32_e32 v44, v19, v18
	v_min_i32_e32 v30, v36, v30
	v_sub_nc_u32_e32 v53, v37, v43
	s_wait_alu 0xf1ff
	v_cndmask_b32_e64 v36, 0, v52, s0
	v_cmp_ge_i32_e64 s0, v37, v43
	v_and_b32_e32 v39, 0xfc, v1
	v_add_nc_u32_e32 v25, v16, v37
	v_sub_nc_u32_e32 v32, v18, v6
	v_sub_nc_u32_e32 v49, v21, v20
	v_min_i32_e32 v31, v37, v31
	v_sub_nc_u32_e32 v54, v38, v44
	s_wait_alu 0xf1ff
	v_cndmask_b32_e64 v37, 0, v53, s0
	v_cmp_ge_i32_e64 s0, v38, v44
	v_add_nc_u32_e32 v26, v18, v38
	v_sub_nc_u32_e32 v33, v20, v7
	v_min_i32_e32 v32, v38, v32
	v_sub_nc_u32_e32 v55, v39, v49
	s_wait_alu 0xf1ff
	v_cndmask_b32_e64 v38, 0, v54, s0
	v_cmp_ge_i32_e64 s0, v39, v49
	v_add_nc_u32_e32 v27, v20, v39
	v_min_i32_e32 v33, v39, v33
	v_subrev_nc_u32_e64 v8, 0x100, v1 clamp
	v_min_i32_e32 v9, 0x100, v1
	s_wait_alu 0xf1ff
	v_cndmask_b32_e64 v39, 0, v55, s0
	v_cmp_lt_i32_e64 s0, v34, v28
	v_cmp_lt_i32_e64 s1, v35, v29
	;; [unrolled: 1-line block ×6, first 2 shown]
	v_add_nc_u32_e32 v40, 0x100, v1
	s_mov_b32 s17, s21
	v_cmp_lt_i32_e32 vcc_lo, v8, v9
	s_wait_loadcnt 0x3
	v_add_nc_u16 v44, v47, 1
	s_wait_loadcnt 0x2
	v_add_nc_u16 v43, v46, 1
	;; [unrolled: 2-line block ×4, first 2 shown]
	s_branch .LBB57_2
.LBB57_1:                               ;   in Loop: Header=BB57_2 Depth=1
	s_or_b32 exec_lo, exec_lo, s9
	s_wait_dscnt 0x0
	s_delay_alu instid0(VALU_DEP_1)
	v_bfe_i32 v60, v57, 0, 8
	v_bfe_i32 v61, v59, 0, 8
	v_cmp_le_i32_e64 s9, 0x100, v56
	v_cmp_gt_i32_e64 s11, 0x200, v55
	v_cndmask_b32_e64 v50, v45, v50, s6
	v_cndmask_b32_e64 v53, v53, v54, s7
	v_cmp_lt_i16_e64 s10, v61, v60
	s_wait_loadcnt 0x0
	s_barrier_signal -1
	s_barrier_wait -1
	global_inv scope:SCOPE_SE
	s_or_b32 s9, s9, s10
	ds_store_b8 v1, v41
	ds_store_b8 v1, v43 offset:1
	ds_store_b8 v1, v44 offset:2
	;; [unrolled: 1-line block ×3, first 2 shown]
	s_wait_alu 0xfffe
	s_and_b32 s9, s11, s9
	s_wait_loadcnt_dscnt 0x0
	s_wait_alu 0xfffe
	v_cndmask_b32_e64 v54, v56, v55, s9
	s_barrier_signal -1
	s_barrier_wait -1
	global_inv scope:SCOPE_SE
	ds_load_u8 v44, v50
	ds_load_u8 v41, v58
	;; [unrolled: 1-line block ×4, first 2 shown]
	v_cndmask_b32_e64 v45, v57, v59, s9
	v_cndmask_b32_e64 v47, v46, v47, s6
	;; [unrolled: 1-line block ×4, first 2 shown]
	s_add_co_i32 s17, s17, 1
	s_delay_alu instid0(SALU_CYCLE_1)
	s_cmp_eq_u32 s17, 10
	s_cbranch_scc1 .LBB57_114
.LBB57_2:                               ; =>This Loop Header: Depth=1
                                        ;     Child Loop BB57_4 Depth 2
                                        ;     Child Loop BB57_20 Depth 2
                                        ;     Child Loop BB57_36 Depth 2
                                        ;     Child Loop BB57_52 Depth 2
                                        ;     Child Loop BB57_68 Depth 2
                                        ;     Child Loop BB57_84 Depth 2
                                        ;     Child Loop BB57_100 Depth 2
	s_delay_alu instid0(VALU_DEP_1)
	v_perm_b32 v45, v48, v45, 0xc0c0004
	v_perm_b32 v48, v46, v47, 0xc0c0004
	;; [unrolled: 1-line block ×3, first 2 shown]
	v_bfe_i32 v47, v47, 0, 8
	v_bfe_i32 v46, v46, 0, 8
	v_lshlrev_b32_e32 v45, 16, v45
	s_barrier_signal -1
	s_barrier_wait -1
	s_delay_alu instid0(VALU_DEP_2) | instskip(NEXT) | instid1(VALU_DEP_2)
	v_cmp_lt_i16_e64 s6, v46, v47
	v_or_b32_e32 v48, v48, v45
	v_or_b32_e32 v45, v49, v45
	global_inv scope:SCOPE_SE
	s_wait_alu 0xf1ff
	v_cndmask_b32_e64 v45, v45, v48, s6
	s_delay_alu instid0(VALU_DEP_1) | instskip(SKIP_1) | instid1(VALU_DEP_2)
	v_lshrrev_b32_e32 v46, 16, v45
	v_lshrrev_b32_e32 v48, 24, v45
	v_perm_b32 v47, 0, v46, 0xc0c0001
	s_delay_alu instid0(VALU_DEP_2) | instskip(SKIP_1) | instid1(VALU_DEP_3)
	v_bfe_i32 v48, v48, 0, 8
	v_bfe_i32 v46, v46, 0, 8
	v_lshlrev_b32_e32 v47, 16, v47
	s_delay_alu instid0(VALU_DEP_2) | instskip(SKIP_1) | instid1(VALU_DEP_3)
	v_cmp_lt_i16_e64 s7, v48, v46
	v_min_i16 v46, v48, v46
	v_and_or_b32 v47, 0xffff, v45, v47
	s_delay_alu instid0(VALU_DEP_2) | instskip(SKIP_1) | instid1(VALU_DEP_2)
	v_lshlrev_b16 v48, 8, v46
	s_wait_alu 0xf1ff
	v_cndmask_b32_e64 v45, v45, v47, s7
	s_delay_alu instid0(VALU_DEP_1) | instskip(SKIP_2) | instid1(VALU_DEP_3)
	v_lshrrev_b32_e32 v47, 16, v45
	v_lshrrev_b16 v49, 8, v45
	v_and_b32_e32 v50, 0xff, v45
	v_and_b32_e32 v47, 0xffffff00, v47
	s_delay_alu instid0(VALU_DEP_2) | instskip(NEXT) | instid1(VALU_DEP_2)
	v_or_b32_e32 v48, v50, v48
	v_or_b32_e32 v47, v49, v47
	v_lshrrev_b32_e32 v49, 8, v45
	s_delay_alu instid0(VALU_DEP_3) | instskip(NEXT) | instid1(VALU_DEP_3)
	v_and_b32_e32 v48, 0xffff, v48
	v_lshlrev_b32_e32 v47, 16, v47
	s_delay_alu instid0(VALU_DEP_3) | instskip(NEXT) | instid1(VALU_DEP_2)
	v_bfe_i32 v49, v49, 0, 8
	v_or_b32_e32 v47, v48, v47
	s_delay_alu instid0(VALU_DEP_2) | instskip(SKIP_2) | instid1(VALU_DEP_2)
	v_cmp_lt_i16_e64 s8, v46, v49
	v_min_i16 v48, v46, v49
	s_wait_alu 0xf1ff
	v_cndmask_b32_e64 v45, v45, v47, s8
	s_delay_alu instid0(VALU_DEP_2) | instskip(NEXT) | instid1(VALU_DEP_2)
	v_and_b32_e32 v46, 0xff, v48
	v_lshlrev_b16 v47, 8, v45
	s_delay_alu instid0(VALU_DEP_1) | instskip(SKIP_1) | instid1(VALU_DEP_2)
	v_or_b32_e32 v46, v46, v47
	v_bfe_i32 v47, v45, 0, 8
	v_and_b32_e32 v46, 0xffff, v46
	s_delay_alu instid0(VALU_DEP_2) | instskip(NEXT) | instid1(VALU_DEP_2)
	v_cmp_lt_i16_e64 s10, v48, v47
	v_and_or_b32 v46, 0xffff0000, v45, v46
	s_wait_alu 0xf1ff
	s_delay_alu instid0(VALU_DEP_1) | instskip(NEXT) | instid1(VALU_DEP_1)
	v_cndmask_b32_e64 v45, v45, v46, s10
	v_lshrrev_b32_e32 v46, 16, v45
	v_lshrrev_b32_e32 v48, 24, v45
	s_delay_alu instid0(VALU_DEP_2) | instskip(NEXT) | instid1(VALU_DEP_2)
	v_perm_b32 v47, 0, v46, 0xc0c0001
	v_bfe_i32 v48, v48, 0, 8
	v_bfe_i32 v46, v46, 0, 8
	s_delay_alu instid0(VALU_DEP_3) | instskip(NEXT) | instid1(VALU_DEP_2)
	v_lshlrev_b32_e32 v47, 16, v47
	v_cmp_lt_i16_e64 s9, v48, v46
	v_min_i16 v46, v48, v46
	s_delay_alu instid0(VALU_DEP_3) | instskip(NEXT) | instid1(VALU_DEP_2)
	v_and_or_b32 v47, 0xffff, v45, v47
	v_lshlrev_b16 v48, 8, v46
	s_wait_alu 0xf1ff
	s_delay_alu instid0(VALU_DEP_2) | instskip(NEXT) | instid1(VALU_DEP_1)
	v_cndmask_b32_e64 v45, v45, v47, s9
	v_lshrrev_b32_e32 v47, 16, v45
	v_lshrrev_b16 v49, 8, v45
	v_and_b32_e32 v50, 0xff, v45
	s_delay_alu instid0(VALU_DEP_3) | instskip(NEXT) | instid1(VALU_DEP_2)
	v_and_b32_e32 v47, 0xffffff00, v47
	v_or_b32_e32 v48, v50, v48
	s_delay_alu instid0(VALU_DEP_2) | instskip(SKIP_1) | instid1(VALU_DEP_3)
	v_or_b32_e32 v47, v49, v47
	v_lshrrev_b32_e32 v49, 8, v45
	v_and_b32_e32 v48, 0xffff, v48
	s_delay_alu instid0(VALU_DEP_3) | instskip(NEXT) | instid1(VALU_DEP_3)
	v_lshlrev_b32_e32 v47, 16, v47
	v_bfe_i32 v49, v49, 0, 8
	s_delay_alu instid0(VALU_DEP_2) | instskip(NEXT) | instid1(VALU_DEP_2)
	v_or_b32_e32 v47, v48, v47
	v_cmp_lt_i16_e64 s11, v46, v49
	s_wait_alu 0xf1ff
	s_delay_alu instid0(VALU_DEP_1)
	v_cndmask_b32_e64 v46, v45, v47, s11
	v_mov_b32_e32 v45, v34
	ds_store_b32 v1, v46
	s_wait_loadcnt_dscnt 0x0
	s_barrier_signal -1
	s_barrier_wait -1
	global_inv scope:SCOPE_SE
	s_and_saveexec_b32 s13, s0
	s_cbranch_execz .LBB57_6
; %bb.3:                                ;   in Loop: Header=BB57_2 Depth=1
	v_dual_mov_b32 v45, v34 :: v_dual_mov_b32 v46, v28
	s_mov_b32 s14, 0
.LBB57_4:                               ;   Parent Loop BB57_2 Depth=1
                                        ; =>  This Inner Loop Header: Depth=2
	s_delay_alu instid0(VALU_DEP_1) | instskip(NEXT) | instid1(VALU_DEP_1)
	v_sub_nc_u32_e32 v47, v46, v45
	v_lshrrev_b32_e32 v47, 1, v47
	s_delay_alu instid0(VALU_DEP_1) | instskip(NEXT) | instid1(VALU_DEP_1)
	v_add_nc_u32_e32 v47, v47, v45
	v_add_nc_u32_e32 v48, v2, v47
	v_xad_u32 v49, v47, -1, v22
	v_add_nc_u32_e32 v50, 1, v47
	ds_load_i8 v48, v48
	ds_load_i8 v49, v49
	s_wait_dscnt 0x0
	v_cmp_lt_i16_e64 s12, v49, v48
	s_wait_alu 0xf1ff
	s_delay_alu instid0(VALU_DEP_1) | instskip(SKIP_1) | instid1(VALU_DEP_1)
	v_cndmask_b32_e64 v46, v46, v47, s12
	v_cndmask_b32_e64 v45, v50, v45, s12
	v_cmp_ge_i32_e64 s12, v45, v46
	s_wait_alu 0xfffe
	s_or_b32 s14, s12, s14
	s_wait_alu 0xfffe
	s_and_not1_b32 exec_lo, exec_lo, s14
	s_cbranch_execnz .LBB57_4
; %bb.5:                                ;   in Loop: Header=BB57_2 Depth=1
	s_or_b32 exec_lo, exec_lo, s14
.LBB57_6:                               ;   in Loop: Header=BB57_2 Depth=1
	s_wait_alu 0xfffe
	s_or_b32 exec_lo, exec_lo, s13
	v_add_nc_u32_e32 v49, v45, v2
	v_sub_nc_u32_e32 v50, v22, v45
                                        ; implicit-def: $vgpr47
	ds_load_u8 v45, v49
	ds_load_u8 v46, v50
	v_cmp_le_i32_e64 s12, v10, v49
	v_cmp_gt_i32_e64 s14, v11, v50
	s_wait_dscnt 0x1
	v_bfe_i32 v45, v45, 0, 8
	s_wait_dscnt 0x0
	v_bfe_i32 v46, v46, 0, 8
	s_delay_alu instid0(VALU_DEP_1)
	v_cmp_lt_i16_e64 s13, v46, v45
	s_or_b32 s12, s12, s13
	s_wait_alu 0xfffe
	s_and_b32 s12, s14, s12
	s_wait_alu 0xfffe
	s_xor_b32 s13, s12, -1
	s_wait_alu 0xfffe
	s_and_saveexec_b32 s14, s13
	s_wait_alu 0xfffe
	s_xor_b32 s13, exec_lo, s14
; %bb.7:                                ;   in Loop: Header=BB57_2 Depth=1
	ds_load_u8 v47, v49 offset:1
; %bb.8:                                ;   in Loop: Header=BB57_2 Depth=1
	s_wait_alu 0xfffe
	s_or_saveexec_b32 s13, s13
	v_mov_b32_e32 v48, v46
	s_wait_alu 0xfffe
	s_xor_b32 exec_lo, exec_lo, s13
	s_cbranch_execz .LBB57_10
; %bb.9:                                ;   in Loop: Header=BB57_2 Depth=1
	ds_load_u8 v48, v50 offset:1
	s_wait_dscnt 0x1
	v_mov_b32_e32 v47, v45
.LBB57_10:                              ;   in Loop: Header=BB57_2 Depth=1
	s_or_b32 exec_lo, exec_lo, s13
	v_add_nc_u32_e32 v51, 1, v49
	v_add_nc_u32_e32 v52, 1, v50
	s_wait_dscnt 0x0
	v_bfe_i32 v55, v47, 0, 8
	s_delay_alu instid0(VALU_DEP_3) | instskip(SKIP_2) | instid1(VALU_DEP_3)
	v_cndmask_b32_e64 v53, v51, v49, s12
	v_bfe_i32 v51, v48, 0, 8
	v_cndmask_b32_e64 v54, v50, v52, s12
	v_cmp_ge_i32_e64 s13, v53, v10
	s_delay_alu instid0(VALU_DEP_3) | instskip(NEXT) | instid1(VALU_DEP_3)
	v_cmp_lt_i16_e64 s14, v51, v55
	v_cmp_lt_i32_e64 s15, v54, v11
                                        ; implicit-def: $vgpr51
	s_or_b32 s13, s13, s14
	s_wait_alu 0xfffe
	s_and_b32 s13, s15, s13
	s_wait_alu 0xfffe
	s_xor_b32 s14, s13, -1
	s_wait_alu 0xfffe
	s_and_saveexec_b32 s15, s14
	s_wait_alu 0xfffe
	s_xor_b32 s14, exec_lo, s15
; %bb.11:                               ;   in Loop: Header=BB57_2 Depth=1
	ds_load_u8 v51, v53 offset:1
; %bb.12:                               ;   in Loop: Header=BB57_2 Depth=1
	s_wait_alu 0xfffe
	s_or_saveexec_b32 s14, s14
	v_mov_b32_e32 v52, v48
	s_wait_alu 0xfffe
	s_xor_b32 exec_lo, exec_lo, s14
	s_cbranch_execz .LBB57_14
; %bb.13:                               ;   in Loop: Header=BB57_2 Depth=1
	ds_load_u8 v52, v54 offset:1
	s_wait_dscnt 0x1
	v_mov_b32_e32 v51, v47
.LBB57_14:                              ;   in Loop: Header=BB57_2 Depth=1
	s_or_b32 exec_lo, exec_lo, s14
	v_add_nc_u32_e32 v55, 1, v53
	v_add_nc_u32_e32 v56, 1, v54
	s_wait_dscnt 0x0
	v_bfe_i32 v58, v51, 0, 8
	s_delay_alu instid0(VALU_DEP_3) | instskip(SKIP_2) | instid1(VALU_DEP_3)
	v_cndmask_b32_e64 v57, v55, v53, s13
	v_bfe_i32 v55, v52, 0, 8
	v_cndmask_b32_e64 v56, v54, v56, s13
	v_cmp_ge_i32_e64 s14, v57, v10
	s_delay_alu instid0(VALU_DEP_3) | instskip(NEXT) | instid1(VALU_DEP_3)
	v_cmp_lt_i16_e64 s15, v55, v58
	v_cmp_lt_i32_e64 s16, v56, v11
                                        ; implicit-def: $vgpr55
	s_or_b32 s14, s14, s15
	s_wait_alu 0xfffe
	s_and_b32 s14, s16, s14
	s_wait_alu 0xfffe
	s_xor_b32 s15, s14, -1
	s_wait_alu 0xfffe
	s_and_saveexec_b32 s16, s15
	s_delay_alu instid0(SALU_CYCLE_1)
	s_xor_b32 s15, exec_lo, s16
; %bb.15:                               ;   in Loop: Header=BB57_2 Depth=1
	ds_load_u8 v55, v57 offset:1
; %bb.16:                               ;   in Loop: Header=BB57_2 Depth=1
	s_wait_alu 0xfffe
	s_or_saveexec_b32 s15, s15
	v_mov_b32_e32 v58, v52
	s_wait_alu 0xfffe
	s_xor_b32 exec_lo, exec_lo, s15
	s_cbranch_execz .LBB57_18
; %bb.17:                               ;   in Loop: Header=BB57_2 Depth=1
	ds_load_u8 v58, v56 offset:1
	s_wait_dscnt 0x1
	v_mov_b32_e32 v55, v51
.LBB57_18:                              ;   in Loop: Header=BB57_2 Depth=1
	s_or_b32 exec_lo, exec_lo, s15
	v_perm_b32 v59, v43, v44, 0xc0c0004
	v_perm_b32 v43, v44, v43, 0xc0c0004
	;; [unrolled: 1-line block ×3, first 2 shown]
	v_add_nc_u32_e32 v44, 1, v57
	v_cndmask_b32_e64 v53, v53, v54, s13
	v_cndmask_b32_e64 v49, v49, v50, s12
	;; [unrolled: 1-line block ×3, first 2 shown]
	v_perm_b32 v43, 0, v41, 0xc0c0001
	s_wait_dscnt 0x0
	v_bfe_i32 v50, v55, 0, 8
	v_bfe_i32 v54, v58, 0, 8
	v_cndmask_b32_e64 v44, v44, v57, s14
	v_lshl_or_b32 v41, v41, 16, v42
	v_lshlrev_b32_e32 v42, 16, v43
	v_add_nc_u32_e32 v43, 1, v56
	v_cmp_lt_i16_e64 s6, v54, v50
	v_cndmask_b32_e64 v59, v57, v56, s14
	s_wait_loadcnt 0x0
	v_and_or_b32 v42, 0xffff, v41, v42
	s_barrier_signal -1
	s_barrier_wait -1
	global_inv scope:SCOPE_SE
	v_cndmask_b32_e64 v45, v45, v46, s12
	v_cndmask_b32_e64 v41, v41, v42, s7
	v_cmp_ge_i32_e64 s7, v44, v10
	v_cndmask_b32_e64 v47, v47, v48, s13
	s_delay_alu instid0(VALU_DEP_3) | instskip(SKIP_1) | instid1(VALU_DEP_1)
	v_perm_b32 v42, v41, v41, 0x7050604
	s_or_b32 s6, s7, s6
	v_cndmask_b32_e64 v41, v41, v42, s8
	s_delay_alu instid0(VALU_DEP_1) | instskip(NEXT) | instid1(VALU_DEP_1)
	v_perm_b32 v42, 0, v41, 0xc0c0001
	v_and_or_b32 v42, 0xffff0000, v41, v42
	s_delay_alu instid0(VALU_DEP_1) | instskip(NEXT) | instid1(VALU_DEP_1)
	v_cndmask_b32_e64 v41, v41, v42, s10
	v_lshrrev_b32_e32 v42, 16, v41
	s_delay_alu instid0(VALU_DEP_1) | instskip(NEXT) | instid1(VALU_DEP_1)
	v_perm_b32 v42, 0, v42, 0xc0c0001
	v_lshlrev_b32_e32 v42, 16, v42
	s_delay_alu instid0(VALU_DEP_1) | instskip(NEXT) | instid1(VALU_DEP_1)
	v_and_or_b32 v42, 0xffff, v41, v42
	v_cndmask_b32_e64 v41, v41, v42, s9
	v_cndmask_b32_e64 v42, v56, v43, s14
	s_delay_alu instid0(VALU_DEP_2) | instskip(NEXT) | instid1(VALU_DEP_2)
	v_perm_b32 v43, v41, v41, 0x7050604
	v_cmp_lt_i32_e64 s8, v42, v11
	s_delay_alu instid0(VALU_DEP_2)
	v_cndmask_b32_e64 v41, v41, v43, s11
	s_wait_alu 0xfffe
	s_and_b32 s6, s8, s6
	s_wait_alu 0xfffe
	v_cndmask_b32_e64 v42, v44, v42, s6
	v_cndmask_b32_e64 v50, v55, v58, s6
	ds_store_b32 v1, v41
	s_wait_loadcnt_dscnt 0x0
	s_barrier_signal -1
	s_barrier_wait -1
	global_inv scope:SCOPE_SE
	ds_load_u8 v41, v49
	ds_load_u8 v42, v42
	;; [unrolled: 1-line block ×4, first 2 shown]
	v_cndmask_b32_e64 v49, v51, v52, s14
	s_wait_loadcnt_dscnt 0x0
	s_barrier_signal -1
	s_barrier_wait -1
	global_inv scope:SCOPE_SE
	ds_store_b8 v1, v45
	ds_store_b8 v1, v47 offset:1
	ds_store_b8 v1, v49 offset:2
	;; [unrolled: 1-line block ×3, first 2 shown]
	v_mov_b32_e32 v45, v35
	s_wait_loadcnt_dscnt 0x0
	s_barrier_signal -1
	s_barrier_wait -1
	global_inv scope:SCOPE_SE
	s_and_saveexec_b32 s7, s1
	s_cbranch_execz .LBB57_22
; %bb.19:                               ;   in Loop: Header=BB57_2 Depth=1
	v_dual_mov_b32 v45, v35 :: v_dual_mov_b32 v46, v29
	s_mov_b32 s8, 0
.LBB57_20:                              ;   Parent Loop BB57_2 Depth=1
                                        ; =>  This Inner Loop Header: Depth=2
	s_delay_alu instid0(VALU_DEP_1) | instskip(NEXT) | instid1(VALU_DEP_1)
	v_sub_nc_u32_e32 v47, v46, v45
	v_lshrrev_b32_e32 v47, 1, v47
	s_delay_alu instid0(VALU_DEP_1) | instskip(NEXT) | instid1(VALU_DEP_1)
	v_add_nc_u32_e32 v47, v47, v45
	v_add_nc_u32_e32 v48, v3, v47
	v_xad_u32 v49, v47, -1, v23
	v_add_nc_u32_e32 v50, 1, v47
	ds_load_i8 v48, v48
	ds_load_i8 v49, v49
	s_wait_dscnt 0x0
	v_cmp_lt_i16_e64 s6, v49, v48
	s_wait_alu 0xf1ff
	s_delay_alu instid0(VALU_DEP_1) | instskip(SKIP_1) | instid1(VALU_DEP_1)
	v_cndmask_b32_e64 v46, v46, v47, s6
	v_cndmask_b32_e64 v45, v50, v45, s6
	v_cmp_ge_i32_e64 s6, v45, v46
	s_wait_alu 0xfffe
	s_or_b32 s8, s6, s8
	s_wait_alu 0xfffe
	s_and_not1_b32 exec_lo, exec_lo, s8
	s_cbranch_execnz .LBB57_20
; %bb.21:                               ;   in Loop: Header=BB57_2 Depth=1
	s_or_b32 exec_lo, exec_lo, s8
.LBB57_22:                              ;   in Loop: Header=BB57_2 Depth=1
	s_wait_alu 0xfffe
	s_or_b32 exec_lo, exec_lo, s7
	v_add_nc_u32_e32 v49, v45, v3
	v_sub_nc_u32_e32 v50, v23, v45
                                        ; implicit-def: $vgpr47
	ds_load_u8 v45, v49
	ds_load_u8 v46, v50
	v_cmp_le_i32_e64 s6, v12, v49
	v_cmp_gt_i32_e64 s8, v13, v50
	s_wait_dscnt 0x1
	v_bfe_i32 v45, v45, 0, 8
	s_wait_dscnt 0x0
	v_bfe_i32 v46, v46, 0, 8
	s_delay_alu instid0(VALU_DEP_1)
	v_cmp_lt_i16_e64 s7, v46, v45
	s_or_b32 s6, s6, s7
	s_wait_alu 0xfffe
	s_and_b32 s6, s8, s6
	s_wait_alu 0xfffe
	s_xor_b32 s7, s6, -1
	s_wait_alu 0xfffe
	s_and_saveexec_b32 s8, s7
	s_wait_alu 0xfffe
	s_xor_b32 s7, exec_lo, s8
; %bb.23:                               ;   in Loop: Header=BB57_2 Depth=1
	ds_load_u8 v47, v49 offset:1
; %bb.24:                               ;   in Loop: Header=BB57_2 Depth=1
	s_wait_alu 0xfffe
	s_or_saveexec_b32 s7, s7
	v_mov_b32_e32 v48, v46
	s_wait_alu 0xfffe
	s_xor_b32 exec_lo, exec_lo, s7
	s_cbranch_execz .LBB57_26
; %bb.25:                               ;   in Loop: Header=BB57_2 Depth=1
	ds_load_u8 v48, v50 offset:1
	s_wait_dscnt 0x1
	v_mov_b32_e32 v47, v45
.LBB57_26:                              ;   in Loop: Header=BB57_2 Depth=1
	s_or_b32 exec_lo, exec_lo, s7
	v_add_nc_u32_e32 v51, 1, v49
	v_add_nc_u32_e32 v52, 1, v50
	s_wait_dscnt 0x0
	v_bfe_i32 v55, v47, 0, 8
	s_delay_alu instid0(VALU_DEP_3) | instskip(SKIP_2) | instid1(VALU_DEP_3)
	v_cndmask_b32_e64 v53, v51, v49, s6
	v_bfe_i32 v51, v48, 0, 8
	v_cndmask_b32_e64 v54, v50, v52, s6
	v_cmp_ge_i32_e64 s7, v53, v12
	s_delay_alu instid0(VALU_DEP_3) | instskip(NEXT) | instid1(VALU_DEP_3)
	v_cmp_lt_i16_e64 s8, v51, v55
	v_cmp_lt_i32_e64 s9, v54, v13
                                        ; implicit-def: $vgpr51
	s_or_b32 s7, s7, s8
	s_wait_alu 0xfffe
	s_and_b32 s7, s9, s7
	s_wait_alu 0xfffe
	s_xor_b32 s8, s7, -1
	s_wait_alu 0xfffe
	s_and_saveexec_b32 s9, s8
	s_wait_alu 0xfffe
	s_xor_b32 s8, exec_lo, s9
; %bb.27:                               ;   in Loop: Header=BB57_2 Depth=1
	ds_load_u8 v51, v53 offset:1
; %bb.28:                               ;   in Loop: Header=BB57_2 Depth=1
	s_wait_alu 0xfffe
	s_or_saveexec_b32 s8, s8
	v_mov_b32_e32 v52, v48
	s_wait_alu 0xfffe
	s_xor_b32 exec_lo, exec_lo, s8
	s_cbranch_execz .LBB57_30
; %bb.29:                               ;   in Loop: Header=BB57_2 Depth=1
	ds_load_u8 v52, v54 offset:1
	s_wait_dscnt 0x1
	v_mov_b32_e32 v51, v47
.LBB57_30:                              ;   in Loop: Header=BB57_2 Depth=1
	s_or_b32 exec_lo, exec_lo, s8
	v_add_nc_u32_e32 v55, 1, v53
	v_add_nc_u32_e32 v56, 1, v54
	s_wait_dscnt 0x0
	v_bfe_i32 v58, v51, 0, 8
	s_delay_alu instid0(VALU_DEP_3) | instskip(SKIP_2) | instid1(VALU_DEP_3)
	v_cndmask_b32_e64 v57, v55, v53, s7
	v_bfe_i32 v55, v52, 0, 8
	v_cndmask_b32_e64 v56, v54, v56, s7
	v_cmp_ge_i32_e64 s8, v57, v12
	s_delay_alu instid0(VALU_DEP_3) | instskip(NEXT) | instid1(VALU_DEP_3)
	v_cmp_lt_i16_e64 s9, v55, v58
	v_cmp_lt_i32_e64 s10, v56, v13
                                        ; implicit-def: $vgpr55
	s_or_b32 s8, s8, s9
	s_wait_alu 0xfffe
	s_and_b32 s8, s10, s8
	s_wait_alu 0xfffe
	s_xor_b32 s9, s8, -1
	s_wait_alu 0xfffe
	s_and_saveexec_b32 s10, s9
	s_wait_alu 0xfffe
	s_xor_b32 s9, exec_lo, s10
; %bb.31:                               ;   in Loop: Header=BB57_2 Depth=1
	ds_load_u8 v55, v57 offset:1
; %bb.32:                               ;   in Loop: Header=BB57_2 Depth=1
	s_wait_alu 0xfffe
	s_or_saveexec_b32 s9, s9
	v_mov_b32_e32 v58, v52
	s_wait_alu 0xfffe
	s_xor_b32 exec_lo, exec_lo, s9
	s_cbranch_execz .LBB57_34
; %bb.33:                               ;   in Loop: Header=BB57_2 Depth=1
	ds_load_u8 v58, v56 offset:1
	s_wait_dscnt 0x1
	v_mov_b32_e32 v55, v51
.LBB57_34:                              ;   in Loop: Header=BB57_2 Depth=1
	s_or_b32 exec_lo, exec_lo, s9
	v_add_nc_u32_e32 v59, 1, v57
	v_add_nc_u32_e32 v60, 1, v56
	v_cndmask_b32_e64 v61, v57, v56, s8
	s_wait_dscnt 0x0
	v_bfe_i32 v62, v55, 0, 8
	v_bfe_i32 v63, v58, 0, 8
	v_cndmask_b32_e64 v57, v59, v57, s8
	v_cndmask_b32_e64 v53, v53, v54, s7
	;; [unrolled: 1-line block ×4, first 2 shown]
	v_cmp_lt_i16_e64 s9, v63, v62
	v_cmp_ge_i32_e64 s10, v57, v12
	s_wait_loadcnt 0x0
	v_cmp_lt_i32_e64 s11, v54, v13
	s_barrier_signal -1
	s_barrier_wait -1
	s_or_b32 s9, s10, s9
	global_inv scope:SCOPE_SE
	s_wait_alu 0xfffe
	s_and_b32 s9, s11, s9
	ds_store_b8 v1, v41
	ds_store_b8 v1, v43 offset:1
	ds_store_b8 v1, v44 offset:2
	;; [unrolled: 1-line block ×3, first 2 shown]
	s_wait_alu 0xfffe
	v_cndmask_b32_e64 v54, v57, v54, s9
	s_wait_loadcnt_dscnt 0x0
	s_barrier_signal -1
	s_barrier_wait -1
	global_inv scope:SCOPE_SE
	ds_load_u8 v41, v49
	ds_load_u8 v42, v54
	ds_load_u8 v43, v53
	ds_load_u8 v44, v61
	v_cndmask_b32_e64 v45, v45, v46, s6
	v_cndmask_b32_e64 v47, v47, v48, s7
	;; [unrolled: 1-line block ×4, first 2 shown]
	s_wait_loadcnt_dscnt 0x0
	s_barrier_signal -1
	s_barrier_wait -1
	global_inv scope:SCOPE_SE
	ds_store_b8 v1, v45
	ds_store_b8 v1, v47 offset:1
	ds_store_b8 v1, v49 offset:2
	;; [unrolled: 1-line block ×3, first 2 shown]
	v_mov_b32_e32 v45, v36
	s_wait_loadcnt_dscnt 0x0
	s_barrier_signal -1
	s_barrier_wait -1
	global_inv scope:SCOPE_SE
	s_and_saveexec_b32 s7, s2
	s_cbranch_execz .LBB57_38
; %bb.35:                               ;   in Loop: Header=BB57_2 Depth=1
	v_dual_mov_b32 v45, v36 :: v_dual_mov_b32 v46, v30
	s_mov_b32 s8, 0
.LBB57_36:                              ;   Parent Loop BB57_2 Depth=1
                                        ; =>  This Inner Loop Header: Depth=2
	s_delay_alu instid0(VALU_DEP_1) | instskip(NEXT) | instid1(VALU_DEP_1)
	v_sub_nc_u32_e32 v47, v46, v45
	v_lshrrev_b32_e32 v47, 1, v47
	s_delay_alu instid0(VALU_DEP_1) | instskip(NEXT) | instid1(VALU_DEP_1)
	v_add_nc_u32_e32 v47, v47, v45
	v_add_nc_u32_e32 v48, v4, v47
	v_xad_u32 v49, v47, -1, v24
	v_add_nc_u32_e32 v50, 1, v47
	ds_load_i8 v48, v48
	ds_load_i8 v49, v49
	s_wait_dscnt 0x0
	v_cmp_lt_i16_e64 s6, v49, v48
	s_wait_alu 0xf1ff
	s_delay_alu instid0(VALU_DEP_1) | instskip(SKIP_1) | instid1(VALU_DEP_1)
	v_cndmask_b32_e64 v46, v46, v47, s6
	v_cndmask_b32_e64 v45, v50, v45, s6
	v_cmp_ge_i32_e64 s6, v45, v46
	s_wait_alu 0xfffe
	s_or_b32 s8, s6, s8
	s_wait_alu 0xfffe
	s_and_not1_b32 exec_lo, exec_lo, s8
	s_cbranch_execnz .LBB57_36
; %bb.37:                               ;   in Loop: Header=BB57_2 Depth=1
	s_or_b32 exec_lo, exec_lo, s8
.LBB57_38:                              ;   in Loop: Header=BB57_2 Depth=1
	s_wait_alu 0xfffe
	s_or_b32 exec_lo, exec_lo, s7
	v_add_nc_u32_e32 v49, v45, v4
	v_sub_nc_u32_e32 v50, v24, v45
                                        ; implicit-def: $vgpr47
	ds_load_u8 v45, v49
	ds_load_u8 v46, v50
	v_cmp_le_i32_e64 s6, v14, v49
	v_cmp_gt_i32_e64 s8, v15, v50
	s_wait_dscnt 0x1
	v_bfe_i32 v45, v45, 0, 8
	s_wait_dscnt 0x0
	v_bfe_i32 v46, v46, 0, 8
	s_delay_alu instid0(VALU_DEP_1)
	v_cmp_lt_i16_e64 s7, v46, v45
	s_or_b32 s6, s6, s7
	s_wait_alu 0xfffe
	s_and_b32 s6, s8, s6
	s_wait_alu 0xfffe
	s_xor_b32 s7, s6, -1
	s_wait_alu 0xfffe
	s_and_saveexec_b32 s8, s7
	s_wait_alu 0xfffe
	s_xor_b32 s7, exec_lo, s8
; %bb.39:                               ;   in Loop: Header=BB57_2 Depth=1
	ds_load_u8 v47, v49 offset:1
; %bb.40:                               ;   in Loop: Header=BB57_2 Depth=1
	s_wait_alu 0xfffe
	s_or_saveexec_b32 s7, s7
	v_mov_b32_e32 v48, v46
	s_wait_alu 0xfffe
	s_xor_b32 exec_lo, exec_lo, s7
	s_cbranch_execz .LBB57_42
; %bb.41:                               ;   in Loop: Header=BB57_2 Depth=1
	ds_load_u8 v48, v50 offset:1
	s_wait_dscnt 0x1
	v_mov_b32_e32 v47, v45
.LBB57_42:                              ;   in Loop: Header=BB57_2 Depth=1
	s_or_b32 exec_lo, exec_lo, s7
	v_add_nc_u32_e32 v51, 1, v49
	v_add_nc_u32_e32 v52, 1, v50
	s_wait_dscnt 0x0
	v_bfe_i32 v55, v47, 0, 8
	s_delay_alu instid0(VALU_DEP_3) | instskip(SKIP_2) | instid1(VALU_DEP_3)
	v_cndmask_b32_e64 v53, v51, v49, s6
	v_bfe_i32 v51, v48, 0, 8
	v_cndmask_b32_e64 v54, v50, v52, s6
	v_cmp_ge_i32_e64 s7, v53, v14
	s_delay_alu instid0(VALU_DEP_3) | instskip(NEXT) | instid1(VALU_DEP_3)
	v_cmp_lt_i16_e64 s8, v51, v55
	v_cmp_lt_i32_e64 s9, v54, v15
                                        ; implicit-def: $vgpr51
	s_or_b32 s7, s7, s8
	s_wait_alu 0xfffe
	s_and_b32 s7, s9, s7
	s_wait_alu 0xfffe
	s_xor_b32 s8, s7, -1
	s_wait_alu 0xfffe
	s_and_saveexec_b32 s9, s8
	s_wait_alu 0xfffe
	s_xor_b32 s8, exec_lo, s9
; %bb.43:                               ;   in Loop: Header=BB57_2 Depth=1
	ds_load_u8 v51, v53 offset:1
; %bb.44:                               ;   in Loop: Header=BB57_2 Depth=1
	s_wait_alu 0xfffe
	s_or_saveexec_b32 s8, s8
	v_mov_b32_e32 v52, v48
	s_wait_alu 0xfffe
	s_xor_b32 exec_lo, exec_lo, s8
	s_cbranch_execz .LBB57_46
; %bb.45:                               ;   in Loop: Header=BB57_2 Depth=1
	ds_load_u8 v52, v54 offset:1
	s_wait_dscnt 0x1
	v_mov_b32_e32 v51, v47
.LBB57_46:                              ;   in Loop: Header=BB57_2 Depth=1
	s_or_b32 exec_lo, exec_lo, s8
	v_add_nc_u32_e32 v55, 1, v53
	v_add_nc_u32_e32 v56, 1, v54
	s_wait_dscnt 0x0
	v_bfe_i32 v58, v51, 0, 8
	s_delay_alu instid0(VALU_DEP_3) | instskip(SKIP_2) | instid1(VALU_DEP_3)
	v_cndmask_b32_e64 v57, v55, v53, s7
	v_bfe_i32 v55, v52, 0, 8
	v_cndmask_b32_e64 v56, v54, v56, s7
	v_cmp_ge_i32_e64 s8, v57, v14
	s_delay_alu instid0(VALU_DEP_3) | instskip(NEXT) | instid1(VALU_DEP_3)
	v_cmp_lt_i16_e64 s9, v55, v58
	v_cmp_lt_i32_e64 s10, v56, v15
                                        ; implicit-def: $vgpr55
	s_or_b32 s8, s8, s9
	s_wait_alu 0xfffe
	s_and_b32 s8, s10, s8
	s_wait_alu 0xfffe
	s_xor_b32 s9, s8, -1
	s_wait_alu 0xfffe
	s_and_saveexec_b32 s10, s9
	s_wait_alu 0xfffe
	s_xor_b32 s9, exec_lo, s10
; %bb.47:                               ;   in Loop: Header=BB57_2 Depth=1
	ds_load_u8 v55, v57 offset:1
; %bb.48:                               ;   in Loop: Header=BB57_2 Depth=1
	s_wait_alu 0xfffe
	s_or_saveexec_b32 s9, s9
	v_mov_b32_e32 v58, v52
	s_wait_alu 0xfffe
	s_xor_b32 exec_lo, exec_lo, s9
	s_cbranch_execz .LBB57_50
; %bb.49:                               ;   in Loop: Header=BB57_2 Depth=1
	ds_load_u8 v58, v56 offset:1
	s_wait_dscnt 0x1
	v_mov_b32_e32 v55, v51
.LBB57_50:                              ;   in Loop: Header=BB57_2 Depth=1
	s_or_b32 exec_lo, exec_lo, s9
	v_add_nc_u32_e32 v59, 1, v57
	v_add_nc_u32_e32 v60, 1, v56
	v_cndmask_b32_e64 v61, v57, v56, s8
	s_wait_dscnt 0x0
	v_bfe_i32 v62, v55, 0, 8
	v_bfe_i32 v63, v58, 0, 8
	v_cndmask_b32_e64 v57, v59, v57, s8
	v_cndmask_b32_e64 v53, v53, v54, s7
	;; [unrolled: 1-line block ×4, first 2 shown]
	v_cmp_lt_i16_e64 s9, v63, v62
	v_cmp_ge_i32_e64 s10, v57, v14
	s_wait_loadcnt 0x0
	v_cmp_lt_i32_e64 s11, v54, v15
	s_barrier_signal -1
	s_barrier_wait -1
	s_or_b32 s9, s10, s9
	global_inv scope:SCOPE_SE
	s_wait_alu 0xfffe
	s_and_b32 s9, s11, s9
	ds_store_b8 v1, v41
	ds_store_b8 v1, v43 offset:1
	ds_store_b8 v1, v44 offset:2
	;; [unrolled: 1-line block ×3, first 2 shown]
	s_wait_alu 0xfffe
	v_cndmask_b32_e64 v54, v57, v54, s9
	s_wait_loadcnt_dscnt 0x0
	s_barrier_signal -1
	s_barrier_wait -1
	global_inv scope:SCOPE_SE
	ds_load_u8 v41, v49
	ds_load_u8 v42, v54
	ds_load_u8 v43, v53
	ds_load_u8 v44, v61
	v_cndmask_b32_e64 v45, v45, v46, s6
	v_cndmask_b32_e64 v47, v47, v48, s7
	;; [unrolled: 1-line block ×4, first 2 shown]
	s_wait_loadcnt_dscnt 0x0
	s_barrier_signal -1
	s_barrier_wait -1
	global_inv scope:SCOPE_SE
	ds_store_b8 v1, v45
	ds_store_b8 v1, v47 offset:1
	ds_store_b8 v1, v49 offset:2
	;; [unrolled: 1-line block ×3, first 2 shown]
	v_mov_b32_e32 v45, v37
	s_wait_loadcnt_dscnt 0x0
	s_barrier_signal -1
	s_barrier_wait -1
	global_inv scope:SCOPE_SE
	s_and_saveexec_b32 s7, s3
	s_cbranch_execz .LBB57_54
; %bb.51:                               ;   in Loop: Header=BB57_2 Depth=1
	v_dual_mov_b32 v45, v37 :: v_dual_mov_b32 v46, v31
	s_mov_b32 s8, 0
.LBB57_52:                              ;   Parent Loop BB57_2 Depth=1
                                        ; =>  This Inner Loop Header: Depth=2
	s_delay_alu instid0(VALU_DEP_1) | instskip(NEXT) | instid1(VALU_DEP_1)
	v_sub_nc_u32_e32 v47, v46, v45
	v_lshrrev_b32_e32 v47, 1, v47
	s_delay_alu instid0(VALU_DEP_1) | instskip(NEXT) | instid1(VALU_DEP_1)
	v_add_nc_u32_e32 v47, v47, v45
	v_add_nc_u32_e32 v48, v5, v47
	v_xad_u32 v49, v47, -1, v25
	v_add_nc_u32_e32 v50, 1, v47
	ds_load_i8 v48, v48
	ds_load_i8 v49, v49
	s_wait_dscnt 0x0
	v_cmp_lt_i16_e64 s6, v49, v48
	s_wait_alu 0xf1ff
	s_delay_alu instid0(VALU_DEP_1) | instskip(SKIP_1) | instid1(VALU_DEP_1)
	v_cndmask_b32_e64 v46, v46, v47, s6
	v_cndmask_b32_e64 v45, v50, v45, s6
	v_cmp_ge_i32_e64 s6, v45, v46
	s_wait_alu 0xfffe
	s_or_b32 s8, s6, s8
	s_wait_alu 0xfffe
	s_and_not1_b32 exec_lo, exec_lo, s8
	s_cbranch_execnz .LBB57_52
; %bb.53:                               ;   in Loop: Header=BB57_2 Depth=1
	s_or_b32 exec_lo, exec_lo, s8
.LBB57_54:                              ;   in Loop: Header=BB57_2 Depth=1
	s_wait_alu 0xfffe
	s_or_b32 exec_lo, exec_lo, s7
	v_add_nc_u32_e32 v49, v45, v5
	v_sub_nc_u32_e32 v50, v25, v45
                                        ; implicit-def: $vgpr47
	ds_load_u8 v45, v49
	ds_load_u8 v46, v50
	v_cmp_le_i32_e64 s6, v16, v49
	v_cmp_gt_i32_e64 s8, v17, v50
	s_wait_dscnt 0x1
	v_bfe_i32 v45, v45, 0, 8
	s_wait_dscnt 0x0
	v_bfe_i32 v46, v46, 0, 8
	s_delay_alu instid0(VALU_DEP_1)
	v_cmp_lt_i16_e64 s7, v46, v45
	s_or_b32 s6, s6, s7
	s_wait_alu 0xfffe
	s_and_b32 s6, s8, s6
	s_wait_alu 0xfffe
	s_xor_b32 s7, s6, -1
	s_wait_alu 0xfffe
	s_and_saveexec_b32 s8, s7
	s_wait_alu 0xfffe
	s_xor_b32 s7, exec_lo, s8
; %bb.55:                               ;   in Loop: Header=BB57_2 Depth=1
	ds_load_u8 v47, v49 offset:1
; %bb.56:                               ;   in Loop: Header=BB57_2 Depth=1
	s_wait_alu 0xfffe
	s_or_saveexec_b32 s7, s7
	v_mov_b32_e32 v48, v46
	s_wait_alu 0xfffe
	s_xor_b32 exec_lo, exec_lo, s7
	s_cbranch_execz .LBB57_58
; %bb.57:                               ;   in Loop: Header=BB57_2 Depth=1
	ds_load_u8 v48, v50 offset:1
	s_wait_dscnt 0x1
	v_mov_b32_e32 v47, v45
.LBB57_58:                              ;   in Loop: Header=BB57_2 Depth=1
	s_or_b32 exec_lo, exec_lo, s7
	v_add_nc_u32_e32 v51, 1, v49
	v_add_nc_u32_e32 v52, 1, v50
	s_wait_dscnt 0x0
	v_bfe_i32 v55, v47, 0, 8
	s_delay_alu instid0(VALU_DEP_3) | instskip(SKIP_2) | instid1(VALU_DEP_3)
	v_cndmask_b32_e64 v53, v51, v49, s6
	v_bfe_i32 v51, v48, 0, 8
	v_cndmask_b32_e64 v54, v50, v52, s6
	v_cmp_ge_i32_e64 s7, v53, v16
	s_delay_alu instid0(VALU_DEP_3) | instskip(NEXT) | instid1(VALU_DEP_3)
	v_cmp_lt_i16_e64 s8, v51, v55
	v_cmp_lt_i32_e64 s9, v54, v17
                                        ; implicit-def: $vgpr51
	s_or_b32 s7, s7, s8
	s_wait_alu 0xfffe
	s_and_b32 s7, s9, s7
	s_wait_alu 0xfffe
	s_xor_b32 s8, s7, -1
	s_wait_alu 0xfffe
	s_and_saveexec_b32 s9, s8
	s_wait_alu 0xfffe
	s_xor_b32 s8, exec_lo, s9
; %bb.59:                               ;   in Loop: Header=BB57_2 Depth=1
	ds_load_u8 v51, v53 offset:1
; %bb.60:                               ;   in Loop: Header=BB57_2 Depth=1
	s_wait_alu 0xfffe
	s_or_saveexec_b32 s8, s8
	v_mov_b32_e32 v52, v48
	s_wait_alu 0xfffe
	s_xor_b32 exec_lo, exec_lo, s8
	s_cbranch_execz .LBB57_62
; %bb.61:                               ;   in Loop: Header=BB57_2 Depth=1
	ds_load_u8 v52, v54 offset:1
	s_wait_dscnt 0x1
	v_mov_b32_e32 v51, v47
.LBB57_62:                              ;   in Loop: Header=BB57_2 Depth=1
	s_or_b32 exec_lo, exec_lo, s8
	v_add_nc_u32_e32 v55, 1, v53
	v_add_nc_u32_e32 v56, 1, v54
	s_wait_dscnt 0x0
	v_bfe_i32 v58, v51, 0, 8
	s_delay_alu instid0(VALU_DEP_3) | instskip(SKIP_2) | instid1(VALU_DEP_3)
	v_cndmask_b32_e64 v57, v55, v53, s7
	v_bfe_i32 v55, v52, 0, 8
	v_cndmask_b32_e64 v56, v54, v56, s7
	v_cmp_ge_i32_e64 s8, v57, v16
	s_delay_alu instid0(VALU_DEP_3) | instskip(NEXT) | instid1(VALU_DEP_3)
	v_cmp_lt_i16_e64 s9, v55, v58
	v_cmp_lt_i32_e64 s10, v56, v17
                                        ; implicit-def: $vgpr55
	s_or_b32 s8, s8, s9
	s_wait_alu 0xfffe
	s_and_b32 s8, s10, s8
	s_wait_alu 0xfffe
	s_xor_b32 s9, s8, -1
	s_wait_alu 0xfffe
	s_and_saveexec_b32 s10, s9
	s_wait_alu 0xfffe
	s_xor_b32 s9, exec_lo, s10
; %bb.63:                               ;   in Loop: Header=BB57_2 Depth=1
	ds_load_u8 v55, v57 offset:1
; %bb.64:                               ;   in Loop: Header=BB57_2 Depth=1
	s_wait_alu 0xfffe
	s_or_saveexec_b32 s9, s9
	v_mov_b32_e32 v58, v52
	s_wait_alu 0xfffe
	s_xor_b32 exec_lo, exec_lo, s9
	s_cbranch_execz .LBB57_66
; %bb.65:                               ;   in Loop: Header=BB57_2 Depth=1
	ds_load_u8 v58, v56 offset:1
	s_wait_dscnt 0x1
	v_mov_b32_e32 v55, v51
.LBB57_66:                              ;   in Loop: Header=BB57_2 Depth=1
	s_or_b32 exec_lo, exec_lo, s9
	v_add_nc_u32_e32 v59, 1, v57
	v_add_nc_u32_e32 v60, 1, v56
	v_cndmask_b32_e64 v61, v57, v56, s8
	s_wait_dscnt 0x0
	v_bfe_i32 v62, v55, 0, 8
	v_bfe_i32 v63, v58, 0, 8
	v_cndmask_b32_e64 v57, v59, v57, s8
	v_cndmask_b32_e64 v53, v53, v54, s7
	;; [unrolled: 1-line block ×4, first 2 shown]
	v_cmp_lt_i16_e64 s9, v63, v62
	v_cmp_ge_i32_e64 s10, v57, v16
	s_wait_loadcnt 0x0
	v_cmp_lt_i32_e64 s11, v54, v17
	s_barrier_signal -1
	s_barrier_wait -1
	s_or_b32 s9, s10, s9
	global_inv scope:SCOPE_SE
	s_wait_alu 0xfffe
	s_and_b32 s9, s11, s9
	ds_store_b8 v1, v41
	ds_store_b8 v1, v43 offset:1
	ds_store_b8 v1, v44 offset:2
	;; [unrolled: 1-line block ×3, first 2 shown]
	s_wait_alu 0xfffe
	v_cndmask_b32_e64 v54, v57, v54, s9
	s_wait_loadcnt_dscnt 0x0
	s_barrier_signal -1
	s_barrier_wait -1
	global_inv scope:SCOPE_SE
	ds_load_u8 v41, v49
	ds_load_u8 v42, v54
	;; [unrolled: 1-line block ×4, first 2 shown]
	v_cndmask_b32_e64 v45, v45, v46, s6
	v_cndmask_b32_e64 v47, v47, v48, s7
	;; [unrolled: 1-line block ×4, first 2 shown]
	s_wait_loadcnt_dscnt 0x0
	s_barrier_signal -1
	s_barrier_wait -1
	global_inv scope:SCOPE_SE
	ds_store_b8 v1, v45
	ds_store_b8 v1, v47 offset:1
	ds_store_b8 v1, v49 offset:2
	;; [unrolled: 1-line block ×3, first 2 shown]
	v_mov_b32_e32 v45, v38
	s_wait_loadcnt_dscnt 0x0
	s_barrier_signal -1
	s_barrier_wait -1
	global_inv scope:SCOPE_SE
	s_and_saveexec_b32 s7, s4
	s_cbranch_execz .LBB57_70
; %bb.67:                               ;   in Loop: Header=BB57_2 Depth=1
	v_dual_mov_b32 v45, v38 :: v_dual_mov_b32 v46, v32
	s_mov_b32 s8, 0
.LBB57_68:                              ;   Parent Loop BB57_2 Depth=1
                                        ; =>  This Inner Loop Header: Depth=2
	s_delay_alu instid0(VALU_DEP_1) | instskip(NEXT) | instid1(VALU_DEP_1)
	v_sub_nc_u32_e32 v47, v46, v45
	v_lshrrev_b32_e32 v47, 1, v47
	s_delay_alu instid0(VALU_DEP_1) | instskip(NEXT) | instid1(VALU_DEP_1)
	v_add_nc_u32_e32 v47, v47, v45
	v_add_nc_u32_e32 v48, v6, v47
	v_xad_u32 v49, v47, -1, v26
	v_add_nc_u32_e32 v50, 1, v47
	ds_load_i8 v48, v48
	ds_load_i8 v49, v49
	s_wait_dscnt 0x0
	v_cmp_lt_i16_e64 s6, v49, v48
	s_wait_alu 0xf1ff
	s_delay_alu instid0(VALU_DEP_1) | instskip(SKIP_1) | instid1(VALU_DEP_1)
	v_cndmask_b32_e64 v46, v46, v47, s6
	v_cndmask_b32_e64 v45, v50, v45, s6
	v_cmp_ge_i32_e64 s6, v45, v46
	s_wait_alu 0xfffe
	s_or_b32 s8, s6, s8
	s_wait_alu 0xfffe
	s_and_not1_b32 exec_lo, exec_lo, s8
	s_cbranch_execnz .LBB57_68
; %bb.69:                               ;   in Loop: Header=BB57_2 Depth=1
	s_or_b32 exec_lo, exec_lo, s8
.LBB57_70:                              ;   in Loop: Header=BB57_2 Depth=1
	s_wait_alu 0xfffe
	s_or_b32 exec_lo, exec_lo, s7
	v_add_nc_u32_e32 v49, v45, v6
	v_sub_nc_u32_e32 v50, v26, v45
                                        ; implicit-def: $vgpr47
	ds_load_u8 v45, v49
	ds_load_u8 v46, v50
	v_cmp_le_i32_e64 s6, v18, v49
	v_cmp_gt_i32_e64 s8, v19, v50
	s_wait_dscnt 0x1
	v_bfe_i32 v45, v45, 0, 8
	s_wait_dscnt 0x0
	v_bfe_i32 v46, v46, 0, 8
	s_delay_alu instid0(VALU_DEP_1)
	v_cmp_lt_i16_e64 s7, v46, v45
	s_or_b32 s6, s6, s7
	s_wait_alu 0xfffe
	s_and_b32 s6, s8, s6
	s_wait_alu 0xfffe
	s_xor_b32 s7, s6, -1
	s_wait_alu 0xfffe
	s_and_saveexec_b32 s8, s7
	s_wait_alu 0xfffe
	s_xor_b32 s7, exec_lo, s8
; %bb.71:                               ;   in Loop: Header=BB57_2 Depth=1
	ds_load_u8 v47, v49 offset:1
; %bb.72:                               ;   in Loop: Header=BB57_2 Depth=1
	s_wait_alu 0xfffe
	s_or_saveexec_b32 s7, s7
	v_mov_b32_e32 v48, v46
	s_wait_alu 0xfffe
	s_xor_b32 exec_lo, exec_lo, s7
	s_cbranch_execz .LBB57_74
; %bb.73:                               ;   in Loop: Header=BB57_2 Depth=1
	ds_load_u8 v48, v50 offset:1
	s_wait_dscnt 0x1
	v_mov_b32_e32 v47, v45
.LBB57_74:                              ;   in Loop: Header=BB57_2 Depth=1
	s_or_b32 exec_lo, exec_lo, s7
	v_add_nc_u32_e32 v51, 1, v49
	v_add_nc_u32_e32 v52, 1, v50
	s_wait_dscnt 0x0
	v_bfe_i32 v55, v47, 0, 8
	s_delay_alu instid0(VALU_DEP_3) | instskip(SKIP_2) | instid1(VALU_DEP_3)
	v_cndmask_b32_e64 v53, v51, v49, s6
	v_bfe_i32 v51, v48, 0, 8
	v_cndmask_b32_e64 v54, v50, v52, s6
	v_cmp_ge_i32_e64 s7, v53, v18
	s_delay_alu instid0(VALU_DEP_3) | instskip(NEXT) | instid1(VALU_DEP_3)
	v_cmp_lt_i16_e64 s8, v51, v55
	v_cmp_lt_i32_e64 s9, v54, v19
                                        ; implicit-def: $vgpr51
	s_or_b32 s7, s7, s8
	s_wait_alu 0xfffe
	s_and_b32 s7, s9, s7
	s_wait_alu 0xfffe
	s_xor_b32 s8, s7, -1
	s_wait_alu 0xfffe
	s_and_saveexec_b32 s9, s8
	s_wait_alu 0xfffe
	s_xor_b32 s8, exec_lo, s9
; %bb.75:                               ;   in Loop: Header=BB57_2 Depth=1
	ds_load_u8 v51, v53 offset:1
; %bb.76:                               ;   in Loop: Header=BB57_2 Depth=1
	s_wait_alu 0xfffe
	s_or_saveexec_b32 s8, s8
	v_mov_b32_e32 v52, v48
	s_wait_alu 0xfffe
	s_xor_b32 exec_lo, exec_lo, s8
	s_cbranch_execz .LBB57_78
; %bb.77:                               ;   in Loop: Header=BB57_2 Depth=1
	ds_load_u8 v52, v54 offset:1
	s_wait_dscnt 0x1
	v_mov_b32_e32 v51, v47
.LBB57_78:                              ;   in Loop: Header=BB57_2 Depth=1
	s_or_b32 exec_lo, exec_lo, s8
	v_add_nc_u32_e32 v55, 1, v53
	v_add_nc_u32_e32 v56, 1, v54
	s_wait_dscnt 0x0
	v_bfe_i32 v58, v51, 0, 8
	s_delay_alu instid0(VALU_DEP_3) | instskip(SKIP_2) | instid1(VALU_DEP_3)
	v_cndmask_b32_e64 v57, v55, v53, s7
	v_bfe_i32 v55, v52, 0, 8
	v_cndmask_b32_e64 v56, v54, v56, s7
	v_cmp_ge_i32_e64 s8, v57, v18
	s_delay_alu instid0(VALU_DEP_3) | instskip(NEXT) | instid1(VALU_DEP_3)
	v_cmp_lt_i16_e64 s9, v55, v58
	v_cmp_lt_i32_e64 s10, v56, v19
                                        ; implicit-def: $vgpr55
	s_or_b32 s8, s8, s9
	s_wait_alu 0xfffe
	s_and_b32 s8, s10, s8
	s_wait_alu 0xfffe
	s_xor_b32 s9, s8, -1
	s_wait_alu 0xfffe
	s_and_saveexec_b32 s10, s9
	s_wait_alu 0xfffe
	s_xor_b32 s9, exec_lo, s10
; %bb.79:                               ;   in Loop: Header=BB57_2 Depth=1
	ds_load_u8 v55, v57 offset:1
; %bb.80:                               ;   in Loop: Header=BB57_2 Depth=1
	s_wait_alu 0xfffe
	s_or_saveexec_b32 s9, s9
	v_mov_b32_e32 v58, v52
	s_wait_alu 0xfffe
	s_xor_b32 exec_lo, exec_lo, s9
	s_cbranch_execz .LBB57_82
; %bb.81:                               ;   in Loop: Header=BB57_2 Depth=1
	ds_load_u8 v58, v56 offset:1
	s_wait_dscnt 0x1
	v_mov_b32_e32 v55, v51
.LBB57_82:                              ;   in Loop: Header=BB57_2 Depth=1
	s_or_b32 exec_lo, exec_lo, s9
	v_add_nc_u32_e32 v59, 1, v57
	v_add_nc_u32_e32 v60, 1, v56
	v_cndmask_b32_e64 v61, v57, v56, s8
	s_wait_dscnt 0x0
	v_bfe_i32 v62, v55, 0, 8
	v_bfe_i32 v63, v58, 0, 8
	v_cndmask_b32_e64 v57, v59, v57, s8
	v_cndmask_b32_e64 v53, v53, v54, s7
	;; [unrolled: 1-line block ×4, first 2 shown]
	v_cmp_lt_i16_e64 s9, v63, v62
	v_cmp_ge_i32_e64 s10, v57, v18
	s_wait_loadcnt 0x0
	v_cmp_lt_i32_e64 s11, v54, v19
	s_barrier_signal -1
	s_barrier_wait -1
	s_or_b32 s9, s10, s9
	global_inv scope:SCOPE_SE
	s_wait_alu 0xfffe
	s_and_b32 s9, s11, s9
	ds_store_b8 v1, v41
	ds_store_b8 v1, v43 offset:1
	ds_store_b8 v1, v44 offset:2
	;; [unrolled: 1-line block ×3, first 2 shown]
	s_wait_alu 0xfffe
	v_cndmask_b32_e64 v54, v57, v54, s9
	s_wait_loadcnt_dscnt 0x0
	s_barrier_signal -1
	s_barrier_wait -1
	global_inv scope:SCOPE_SE
	ds_load_u8 v41, v49
	ds_load_u8 v42, v54
	;; [unrolled: 1-line block ×4, first 2 shown]
	v_cndmask_b32_e64 v45, v45, v46, s6
	v_cndmask_b32_e64 v47, v47, v48, s7
	;; [unrolled: 1-line block ×4, first 2 shown]
	s_wait_loadcnt_dscnt 0x0
	s_barrier_signal -1
	s_barrier_wait -1
	global_inv scope:SCOPE_SE
	ds_store_b8 v1, v45
	ds_store_b8 v1, v47 offset:1
	ds_store_b8 v1, v49 offset:2
	;; [unrolled: 1-line block ×3, first 2 shown]
	v_mov_b32_e32 v45, v39
	s_wait_loadcnt_dscnt 0x0
	s_barrier_signal -1
	s_barrier_wait -1
	global_inv scope:SCOPE_SE
	s_and_saveexec_b32 s7, s5
	s_cbranch_execz .LBB57_86
; %bb.83:                               ;   in Loop: Header=BB57_2 Depth=1
	v_dual_mov_b32 v45, v39 :: v_dual_mov_b32 v46, v33
	s_mov_b32 s8, 0
.LBB57_84:                              ;   Parent Loop BB57_2 Depth=1
                                        ; =>  This Inner Loop Header: Depth=2
	s_delay_alu instid0(VALU_DEP_1) | instskip(NEXT) | instid1(VALU_DEP_1)
	v_sub_nc_u32_e32 v47, v46, v45
	v_lshrrev_b32_e32 v47, 1, v47
	s_delay_alu instid0(VALU_DEP_1) | instskip(NEXT) | instid1(VALU_DEP_1)
	v_add_nc_u32_e32 v47, v47, v45
	v_add_nc_u32_e32 v48, v7, v47
	v_xad_u32 v49, v47, -1, v27
	v_add_nc_u32_e32 v50, 1, v47
	ds_load_i8 v48, v48
	ds_load_i8 v49, v49
	s_wait_dscnt 0x0
	v_cmp_lt_i16_e64 s6, v49, v48
	s_wait_alu 0xf1ff
	s_delay_alu instid0(VALU_DEP_1) | instskip(SKIP_1) | instid1(VALU_DEP_1)
	v_cndmask_b32_e64 v46, v46, v47, s6
	v_cndmask_b32_e64 v45, v50, v45, s6
	v_cmp_ge_i32_e64 s6, v45, v46
	s_wait_alu 0xfffe
	s_or_b32 s8, s6, s8
	s_wait_alu 0xfffe
	s_and_not1_b32 exec_lo, exec_lo, s8
	s_cbranch_execnz .LBB57_84
; %bb.85:                               ;   in Loop: Header=BB57_2 Depth=1
	s_or_b32 exec_lo, exec_lo, s8
.LBB57_86:                              ;   in Loop: Header=BB57_2 Depth=1
	s_wait_alu 0xfffe
	s_or_b32 exec_lo, exec_lo, s7
	v_add_nc_u32_e32 v49, v45, v7
	v_sub_nc_u32_e32 v50, v27, v45
                                        ; implicit-def: $vgpr47
	ds_load_u8 v45, v49
	ds_load_u8 v46, v50
	v_cmp_le_i32_e64 s6, v20, v49
	v_cmp_gt_i32_e64 s8, v21, v50
	s_wait_dscnt 0x1
	v_bfe_i32 v45, v45, 0, 8
	s_wait_dscnt 0x0
	v_bfe_i32 v46, v46, 0, 8
	s_delay_alu instid0(VALU_DEP_1)
	v_cmp_lt_i16_e64 s7, v46, v45
	s_or_b32 s6, s6, s7
	s_wait_alu 0xfffe
	s_and_b32 s6, s8, s6
	s_wait_alu 0xfffe
	s_xor_b32 s7, s6, -1
	s_wait_alu 0xfffe
	s_and_saveexec_b32 s8, s7
	s_wait_alu 0xfffe
	s_xor_b32 s7, exec_lo, s8
; %bb.87:                               ;   in Loop: Header=BB57_2 Depth=1
	ds_load_u8 v47, v49 offset:1
; %bb.88:                               ;   in Loop: Header=BB57_2 Depth=1
	s_wait_alu 0xfffe
	s_or_saveexec_b32 s7, s7
	v_mov_b32_e32 v48, v46
	s_wait_alu 0xfffe
	s_xor_b32 exec_lo, exec_lo, s7
	s_cbranch_execz .LBB57_90
; %bb.89:                               ;   in Loop: Header=BB57_2 Depth=1
	ds_load_u8 v48, v50 offset:1
	s_wait_dscnt 0x1
	v_mov_b32_e32 v47, v45
.LBB57_90:                              ;   in Loop: Header=BB57_2 Depth=1
	s_or_b32 exec_lo, exec_lo, s7
	v_add_nc_u32_e32 v51, 1, v49
	v_add_nc_u32_e32 v52, 1, v50
	s_wait_dscnt 0x0
	v_bfe_i32 v55, v47, 0, 8
	s_delay_alu instid0(VALU_DEP_3) | instskip(SKIP_2) | instid1(VALU_DEP_3)
	v_cndmask_b32_e64 v53, v51, v49, s6
	v_bfe_i32 v51, v48, 0, 8
	v_cndmask_b32_e64 v54, v50, v52, s6
	v_cmp_ge_i32_e64 s7, v53, v20
	s_delay_alu instid0(VALU_DEP_3) | instskip(NEXT) | instid1(VALU_DEP_3)
	v_cmp_lt_i16_e64 s8, v51, v55
	v_cmp_lt_i32_e64 s9, v54, v21
                                        ; implicit-def: $vgpr51
	s_or_b32 s7, s7, s8
	s_wait_alu 0xfffe
	s_and_b32 s7, s9, s7
	s_wait_alu 0xfffe
	s_xor_b32 s8, s7, -1
	s_wait_alu 0xfffe
	s_and_saveexec_b32 s9, s8
	s_wait_alu 0xfffe
	s_xor_b32 s8, exec_lo, s9
; %bb.91:                               ;   in Loop: Header=BB57_2 Depth=1
	ds_load_u8 v51, v53 offset:1
; %bb.92:                               ;   in Loop: Header=BB57_2 Depth=1
	s_wait_alu 0xfffe
	s_or_saveexec_b32 s8, s8
	v_mov_b32_e32 v52, v48
	s_wait_alu 0xfffe
	s_xor_b32 exec_lo, exec_lo, s8
	s_cbranch_execz .LBB57_94
; %bb.93:                               ;   in Loop: Header=BB57_2 Depth=1
	ds_load_u8 v52, v54 offset:1
	s_wait_dscnt 0x1
	v_mov_b32_e32 v51, v47
.LBB57_94:                              ;   in Loop: Header=BB57_2 Depth=1
	s_or_b32 exec_lo, exec_lo, s8
	v_add_nc_u32_e32 v55, 1, v53
	v_add_nc_u32_e32 v56, 1, v54
	s_wait_dscnt 0x0
	v_bfe_i32 v58, v51, 0, 8
	s_delay_alu instid0(VALU_DEP_3) | instskip(SKIP_2) | instid1(VALU_DEP_3)
	v_cndmask_b32_e64 v57, v55, v53, s7
	v_bfe_i32 v55, v52, 0, 8
	v_cndmask_b32_e64 v56, v54, v56, s7
	v_cmp_ge_i32_e64 s8, v57, v20
	s_delay_alu instid0(VALU_DEP_3) | instskip(NEXT) | instid1(VALU_DEP_3)
	v_cmp_lt_i16_e64 s9, v55, v58
	v_cmp_lt_i32_e64 s10, v56, v21
                                        ; implicit-def: $vgpr55
	s_or_b32 s8, s8, s9
	s_wait_alu 0xfffe
	s_and_b32 s8, s10, s8
	s_wait_alu 0xfffe
	s_xor_b32 s9, s8, -1
	s_wait_alu 0xfffe
	s_and_saveexec_b32 s10, s9
	s_wait_alu 0xfffe
	s_xor_b32 s9, exec_lo, s10
; %bb.95:                               ;   in Loop: Header=BB57_2 Depth=1
	ds_load_u8 v55, v57 offset:1
; %bb.96:                               ;   in Loop: Header=BB57_2 Depth=1
	s_wait_alu 0xfffe
	s_or_saveexec_b32 s9, s9
	v_mov_b32_e32 v58, v52
	s_wait_alu 0xfffe
	s_xor_b32 exec_lo, exec_lo, s9
	s_cbranch_execz .LBB57_98
; %bb.97:                               ;   in Loop: Header=BB57_2 Depth=1
	ds_load_u8 v58, v56 offset:1
	s_wait_dscnt 0x1
	v_mov_b32_e32 v55, v51
.LBB57_98:                              ;   in Loop: Header=BB57_2 Depth=1
	s_or_b32 exec_lo, exec_lo, s9
	v_add_nc_u32_e32 v59, 1, v57
	v_add_nc_u32_e32 v60, 1, v56
	v_cndmask_b32_e64 v61, v57, v56, s8
	s_wait_dscnt 0x0
	v_bfe_i32 v62, v55, 0, 8
	v_bfe_i32 v63, v58, 0, 8
	v_cndmask_b32_e64 v57, v59, v57, s8
	v_cndmask_b32_e64 v53, v53, v54, s7
	;; [unrolled: 1-line block ×4, first 2 shown]
	v_cmp_lt_i16_e64 s9, v63, v62
	v_cmp_ge_i32_e64 s10, v57, v20
	s_wait_loadcnt 0x0
	v_cmp_lt_i32_e64 s11, v54, v21
	s_barrier_signal -1
	s_barrier_wait -1
	s_or_b32 s9, s10, s9
	global_inv scope:SCOPE_SE
	s_wait_alu 0xfffe
	s_and_b32 s9, s11, s9
	ds_store_b8 v1, v41
	ds_store_b8 v1, v43 offset:1
	ds_store_b8 v1, v44 offset:2
	;; [unrolled: 1-line block ×3, first 2 shown]
	s_wait_alu 0xfffe
	v_cndmask_b32_e64 v54, v57, v54, s9
	s_wait_loadcnt_dscnt 0x0
	s_barrier_signal -1
	s_barrier_wait -1
	global_inv scope:SCOPE_SE
	ds_load_u8 v41, v49
	ds_load_u8 v42, v54
	;; [unrolled: 1-line block ×4, first 2 shown]
	v_cndmask_b32_e64 v45, v45, v46, s6
	v_cndmask_b32_e64 v47, v47, v48, s7
	;; [unrolled: 1-line block ×4, first 2 shown]
	s_wait_loadcnt_dscnt 0x0
	s_barrier_signal -1
	s_barrier_wait -1
	global_inv scope:SCOPE_SE
	ds_store_b8 v1, v45
	ds_store_b8 v1, v47 offset:1
	ds_store_b8 v1, v49 offset:2
	;; [unrolled: 1-line block ×3, first 2 shown]
	v_mov_b32_e32 v45, v8
	s_wait_loadcnt_dscnt 0x0
	s_barrier_signal -1
	s_barrier_wait -1
	global_inv scope:SCOPE_SE
	s_and_saveexec_b32 s7, vcc_lo
	s_cbranch_execz .LBB57_102
; %bb.99:                               ;   in Loop: Header=BB57_2 Depth=1
	v_dual_mov_b32 v45, v8 :: v_dual_mov_b32 v46, v9
	s_mov_b32 s8, 0
.LBB57_100:                             ;   Parent Loop BB57_2 Depth=1
                                        ; =>  This Inner Loop Header: Depth=2
	s_delay_alu instid0(VALU_DEP_1) | instskip(NEXT) | instid1(VALU_DEP_1)
	v_sub_nc_u32_e32 v47, v46, v45
	v_lshrrev_b32_e32 v47, 1, v47
	s_delay_alu instid0(VALU_DEP_1) | instskip(NEXT) | instid1(VALU_DEP_1)
	v_add_nc_u32_e32 v47, v47, v45
	v_xad_u32 v48, v47, -1, v40
	v_add_nc_u32_e32 v50, 1, v47
	ds_load_i8 v49, v47
	ds_load_i8 v48, v48
	s_wait_dscnt 0x0
	v_cmp_lt_i16_e64 s6, v48, v49
	s_wait_alu 0xf1ff
	s_delay_alu instid0(VALU_DEP_1) | instskip(SKIP_1) | instid1(VALU_DEP_1)
	v_cndmask_b32_e64 v46, v46, v47, s6
	v_cndmask_b32_e64 v45, v50, v45, s6
	v_cmp_ge_i32_e64 s6, v45, v46
	s_wait_alu 0xfffe
	s_or_b32 s8, s6, s8
	s_wait_alu 0xfffe
	s_and_not1_b32 exec_lo, exec_lo, s8
	s_cbranch_execnz .LBB57_100
; %bb.101:                              ;   in Loop: Header=BB57_2 Depth=1
	s_or_b32 exec_lo, exec_lo, s8
.LBB57_102:                             ;   in Loop: Header=BB57_2 Depth=1
	s_wait_alu 0xfffe
	s_or_b32 exec_lo, exec_lo, s7
	v_sub_nc_u32_e32 v50, v40, v45
	v_cmp_le_i32_e64 s6, 0x100, v45
                                        ; implicit-def: $vgpr48
	ds_load_u8 v46, v45
	ds_load_u8 v47, v50
	v_cmp_gt_i32_e64 s8, 0x200, v50
	s_wait_dscnt 0x1
	v_bfe_i32 v46, v46, 0, 8
	s_wait_dscnt 0x0
	v_bfe_i32 v47, v47, 0, 8
	s_delay_alu instid0(VALU_DEP_1)
	v_cmp_lt_i16_e64 s7, v47, v46
	s_or_b32 s6, s6, s7
	s_wait_alu 0xfffe
	s_and_b32 s6, s8, s6
	s_wait_alu 0xfffe
	s_xor_b32 s7, s6, -1
	s_wait_alu 0xfffe
	s_and_saveexec_b32 s8, s7
	s_wait_alu 0xfffe
	s_xor_b32 s7, exec_lo, s8
; %bb.103:                              ;   in Loop: Header=BB57_2 Depth=1
	ds_load_u8 v48, v45 offset:1
; %bb.104:                              ;   in Loop: Header=BB57_2 Depth=1
	s_wait_alu 0xfffe
	s_or_saveexec_b32 s7, s7
	v_mov_b32_e32 v49, v47
	s_wait_alu 0xfffe
	s_xor_b32 exec_lo, exec_lo, s7
	s_cbranch_execz .LBB57_106
; %bb.105:                              ;   in Loop: Header=BB57_2 Depth=1
	ds_load_u8 v49, v50 offset:1
	s_wait_dscnt 0x1
	v_mov_b32_e32 v48, v46
.LBB57_106:                             ;   in Loop: Header=BB57_2 Depth=1
	s_or_b32 exec_lo, exec_lo, s7
	v_add_nc_u32_e32 v51, 1, v45
	v_add_nc_u32_e32 v52, 1, v50
	s_wait_dscnt 0x0
	v_bfe_i32 v55, v48, 0, 8
	s_delay_alu instid0(VALU_DEP_3) | instskip(SKIP_2) | instid1(VALU_DEP_3)
	v_cndmask_b32_e64 v53, v51, v45, s6
	v_bfe_i32 v51, v49, 0, 8
	v_cndmask_b32_e64 v54, v50, v52, s6
	v_cmp_le_i32_e64 s7, 0x100, v53
	s_delay_alu instid0(VALU_DEP_3) | instskip(NEXT) | instid1(VALU_DEP_3)
	v_cmp_lt_i16_e64 s8, v51, v55
	v_cmp_gt_i32_e64 s9, 0x200, v54
                                        ; implicit-def: $vgpr51
	s_or_b32 s7, s7, s8
	s_wait_alu 0xfffe
	s_and_b32 s7, s9, s7
	s_wait_alu 0xfffe
	s_xor_b32 s8, s7, -1
	s_wait_alu 0xfffe
	s_and_saveexec_b32 s9, s8
	s_wait_alu 0xfffe
	s_xor_b32 s8, exec_lo, s9
; %bb.107:                              ;   in Loop: Header=BB57_2 Depth=1
	ds_load_u8 v51, v53 offset:1
; %bb.108:                              ;   in Loop: Header=BB57_2 Depth=1
	s_wait_alu 0xfffe
	s_or_saveexec_b32 s8, s8
	v_mov_b32_e32 v52, v49
	s_wait_alu 0xfffe
	s_xor_b32 exec_lo, exec_lo, s8
	s_cbranch_execz .LBB57_110
; %bb.109:                              ;   in Loop: Header=BB57_2 Depth=1
	ds_load_u8 v52, v54 offset:1
	s_wait_dscnt 0x1
	v_mov_b32_e32 v51, v48
.LBB57_110:                             ;   in Loop: Header=BB57_2 Depth=1
	s_or_b32 exec_lo, exec_lo, s8
	v_add_nc_u32_e32 v55, 1, v53
	v_add_nc_u32_e32 v56, 1, v54
	s_wait_dscnt 0x0
	v_bfe_i32 v57, v51, 0, 8
	v_bfe_i32 v58, v52, 0, 8
	v_cndmask_b32_e64 v60, v55, v53, s7
	v_cndmask_b32_e64 v55, v54, v56, s7
                                        ; implicit-def: $vgpr56
	s_delay_alu instid0(VALU_DEP_3) | instskip(NEXT) | instid1(VALU_DEP_3)
	v_cmp_lt_i16_e64 s9, v58, v57
                                        ; implicit-def: $vgpr57
	v_cmp_le_i32_e64 s8, 0x100, v60
	s_delay_alu instid0(VALU_DEP_3)
	v_cmp_gt_i32_e64 s10, 0x200, v55
	s_or_b32 s8, s8, s9
	s_wait_alu 0xfffe
	s_and_b32 s8, s10, s8
	s_wait_alu 0xfffe
	s_xor_b32 s9, s8, -1
	s_wait_alu 0xfffe
	s_and_saveexec_b32 s10, s9
	s_wait_alu 0xfffe
	s_xor_b32 s9, exec_lo, s10
; %bb.111:                              ;   in Loop: Header=BB57_2 Depth=1
	ds_load_u8 v57, v60 offset:1
	v_add_nc_u32_e32 v56, 1, v60
; %bb.112:                              ;   in Loop: Header=BB57_2 Depth=1
	s_wait_alu 0xfffe
	s_or_saveexec_b32 s9, s9
	v_dual_mov_b32 v58, v60 :: v_dual_mov_b32 v59, v52
	s_wait_alu 0xfffe
	s_xor_b32 exec_lo, exec_lo, s9
	s_cbranch_execz .LBB57_1
; %bb.113:                              ;   in Loop: Header=BB57_2 Depth=1
	ds_load_u8 v59, v55 offset:1
	s_wait_dscnt 0x1
	v_dual_mov_b32 v58, v55 :: v_dual_add_nc_u32 v57, 1, v55
	s_delay_alu instid0(VALU_DEP_1)
	v_dual_mov_b32 v56, v60 :: v_dual_mov_b32 v55, v57
	v_mov_b32_e32 v57, v51
	s_branch .LBB57_1
.LBB57_114:
	s_add_nc_u64 s[0:1], s[18:19], s[20:21]
	s_wait_dscnt 0x3
	v_add_nc_u16 v2, v47, v44
	s_wait_alu 0xfffe
	v_add_co_u32 v0, s0, s0, v0
	s_wait_alu 0xf1ff
	v_add_co_ci_u32_e64 v1, null, s1, 0, s0
	s_wait_dscnt 0x0
	v_add_nc_u16 v3, v46, v43
	v_add_nc_u16 v4, v48, v41
	;; [unrolled: 1-line block ×3, first 2 shown]
	s_clause 0x3
	global_store_b8 v[0:1], v2, off
	global_store_b8 v[0:1], v3, off offset:128
	global_store_b8 v[0:1], v4, off offset:256
	;; [unrolled: 1-line block ×3, first 2 shown]
	s_endpgm
	.section	.rodata,"a",@progbits
	.p2align	6, 0x0
	.amdhsa_kernel _Z17sort_pairs_kernelIaLj128ELj4EN10test_utils4lessELj10EEvPKT_PS2_T2_
		.amdhsa_group_segment_fixed_size 513
		.amdhsa_private_segment_fixed_size 0
		.amdhsa_kernarg_size 20
		.amdhsa_user_sgpr_count 2
		.amdhsa_user_sgpr_dispatch_ptr 0
		.amdhsa_user_sgpr_queue_ptr 0
		.amdhsa_user_sgpr_kernarg_segment_ptr 1
		.amdhsa_user_sgpr_dispatch_id 0
		.amdhsa_user_sgpr_private_segment_size 0
		.amdhsa_wavefront_size32 1
		.amdhsa_uses_dynamic_stack 0
		.amdhsa_enable_private_segment 0
		.amdhsa_system_sgpr_workgroup_id_x 1
		.amdhsa_system_sgpr_workgroup_id_y 0
		.amdhsa_system_sgpr_workgroup_id_z 0
		.amdhsa_system_sgpr_workgroup_info 0
		.amdhsa_system_vgpr_workitem_id 0
		.amdhsa_next_free_vgpr 64
		.amdhsa_next_free_sgpr 22
		.amdhsa_reserve_vcc 1
		.amdhsa_float_round_mode_32 0
		.amdhsa_float_round_mode_16_64 0
		.amdhsa_float_denorm_mode_32 3
		.amdhsa_float_denorm_mode_16_64 3
		.amdhsa_fp16_overflow 0
		.amdhsa_workgroup_processor_mode 1
		.amdhsa_memory_ordered 1
		.amdhsa_forward_progress 1
		.amdhsa_inst_pref_size 66
		.amdhsa_round_robin_scheduling 0
		.amdhsa_exception_fp_ieee_invalid_op 0
		.amdhsa_exception_fp_denorm_src 0
		.amdhsa_exception_fp_ieee_div_zero 0
		.amdhsa_exception_fp_ieee_overflow 0
		.amdhsa_exception_fp_ieee_underflow 0
		.amdhsa_exception_fp_ieee_inexact 0
		.amdhsa_exception_int_div_zero 0
	.end_amdhsa_kernel
	.section	.text._Z17sort_pairs_kernelIaLj128ELj4EN10test_utils4lessELj10EEvPKT_PS2_T2_,"axG",@progbits,_Z17sort_pairs_kernelIaLj128ELj4EN10test_utils4lessELj10EEvPKT_PS2_T2_,comdat
.Lfunc_end57:
	.size	_Z17sort_pairs_kernelIaLj128ELj4EN10test_utils4lessELj10EEvPKT_PS2_T2_, .Lfunc_end57-_Z17sort_pairs_kernelIaLj128ELj4EN10test_utils4lessELj10EEvPKT_PS2_T2_
                                        ; -- End function
	.set _Z17sort_pairs_kernelIaLj128ELj4EN10test_utils4lessELj10EEvPKT_PS2_T2_.num_vgpr, 64
	.set _Z17sort_pairs_kernelIaLj128ELj4EN10test_utils4lessELj10EEvPKT_PS2_T2_.num_agpr, 0
	.set _Z17sort_pairs_kernelIaLj128ELj4EN10test_utils4lessELj10EEvPKT_PS2_T2_.numbered_sgpr, 22
	.set _Z17sort_pairs_kernelIaLj128ELj4EN10test_utils4lessELj10EEvPKT_PS2_T2_.num_named_barrier, 0
	.set _Z17sort_pairs_kernelIaLj128ELj4EN10test_utils4lessELj10EEvPKT_PS2_T2_.private_seg_size, 0
	.set _Z17sort_pairs_kernelIaLj128ELj4EN10test_utils4lessELj10EEvPKT_PS2_T2_.uses_vcc, 1
	.set _Z17sort_pairs_kernelIaLj128ELj4EN10test_utils4lessELj10EEvPKT_PS2_T2_.uses_flat_scratch, 0
	.set _Z17sort_pairs_kernelIaLj128ELj4EN10test_utils4lessELj10EEvPKT_PS2_T2_.has_dyn_sized_stack, 0
	.set _Z17sort_pairs_kernelIaLj128ELj4EN10test_utils4lessELj10EEvPKT_PS2_T2_.has_recursion, 0
	.set _Z17sort_pairs_kernelIaLj128ELj4EN10test_utils4lessELj10EEvPKT_PS2_T2_.has_indirect_call, 0
	.section	.AMDGPU.csdata,"",@progbits
; Kernel info:
; codeLenInByte = 8428
; TotalNumSgprs: 24
; NumVgprs: 64
; ScratchSize: 0
; MemoryBound: 0
; FloatMode: 240
; IeeeMode: 1
; LDSByteSize: 513 bytes/workgroup (compile time only)
; SGPRBlocks: 0
; VGPRBlocks: 7
; NumSGPRsForWavesPerEU: 24
; NumVGPRsForWavesPerEU: 64
; Occupancy: 16
; WaveLimiterHint : 1
; COMPUTE_PGM_RSRC2:SCRATCH_EN: 0
; COMPUTE_PGM_RSRC2:USER_SGPR: 2
; COMPUTE_PGM_RSRC2:TRAP_HANDLER: 0
; COMPUTE_PGM_RSRC2:TGID_X_EN: 1
; COMPUTE_PGM_RSRC2:TGID_Y_EN: 0
; COMPUTE_PGM_RSRC2:TGID_Z_EN: 0
; COMPUTE_PGM_RSRC2:TIDIG_COMP_CNT: 0
	.section	.text._Z16sort_keys_kernelIaLj128ELj8EN10test_utils4lessELj10EEvPKT_PS2_T2_,"axG",@progbits,_Z16sort_keys_kernelIaLj128ELj8EN10test_utils4lessELj10EEvPKT_PS2_T2_,comdat
	.protected	_Z16sort_keys_kernelIaLj128ELj8EN10test_utils4lessELj10EEvPKT_PS2_T2_ ; -- Begin function _Z16sort_keys_kernelIaLj128ELj8EN10test_utils4lessELj10EEvPKT_PS2_T2_
	.globl	_Z16sort_keys_kernelIaLj128ELj8EN10test_utils4lessELj10EEvPKT_PS2_T2_
	.p2align	8
	.type	_Z16sort_keys_kernelIaLj128ELj8EN10test_utils4lessELj10EEvPKT_PS2_T2_,@function
_Z16sort_keys_kernelIaLj128ELj8EN10test_utils4lessELj10EEvPKT_PS2_T2_: ; @_Z16sort_keys_kernelIaLj128ELj8EN10test_utils4lessELj10EEvPKT_PS2_T2_
; %bb.0:
	s_load_b128 s[16:19], s[0:1], 0x0
	s_lshl_b32 s20, ttmp9, 10
	s_mov_b32 s21, 0
	v_lshlrev_b32_e32 v1, 3, v0
	s_mov_b32 s15, s21
	s_delay_alu instid0(VALU_DEP_1)
	v_and_b32_e32 v2, 0x3f0, v1
	v_and_b32_e32 v3, 0x3e0, v1
	;; [unrolled: 1-line block ×5, first 2 shown]
	v_or_b32_e32 v11, 8, v2
	v_add_nc_u32_e32 v12, 16, v2
	v_or_b32_e32 v13, 16, v3
	v_add_nc_u32_e32 v14, 32, v3
	v_and_b32_e32 v5, 0x380, v1
	v_or_b32_e32 v15, 32, v4
	v_sub_nc_u32_e32 v49, v12, v11
	s_wait_kmcnt 0x0
	s_add_nc_u64 s[0:1], s[16:17], s[20:21]
	v_add_nc_u32_e32 v16, 64, v4
	s_clause 0x7
	global_load_u8 v41, v0, s[0:1] offset:128
	global_load_u8 v42, v0, s[0:1] offset:768
	;; [unrolled: 1-line block ×4, first 2 shown]
	global_load_u8 v45, v0, s[0:1]
	global_load_u8 v46, v0, s[0:1] offset:384
	global_load_u8 v47, v0, s[0:1] offset:640
	;; [unrolled: 1-line block ×3, first 2 shown]
	v_sub_nc_u32_e32 v29, v11, v2
	v_sub_nc_u32_e32 v50, v14, v13
	;; [unrolled: 1-line block ×3, first 2 shown]
	v_cmp_ge_i32_e64 s0, v35, v49
	v_and_b32_e32 v37, 56, v1
	v_and_b32_e32 v6, 0x300, v1
	v_or_b32_e32 v17, 64, v5
	v_add_nc_u32_e32 v18, 0x80, v5
	v_add_nc_u32_e32 v23, v11, v35
	v_sub_nc_u32_e32 v30, v13, v3
	v_sub_nc_u32_e32 v51, v16, v15
	v_min_i32_e32 v29, v35, v29
	v_sub_nc_u32_e32 v56, v36, v50
	v_cndmask_b32_e64 v35, 0, v55, s0
	v_cmp_ge_i32_e64 s0, v36, v50
	v_and_b32_e32 v38, 0x78, v1
	v_and_b32_e32 v7, 0x200, v1
	v_or_b32_e32 v19, 0x80, v6
	v_add_nc_u32_e32 v20, 0x100, v6
	v_add_nc_u32_e32 v24, v13, v36
	v_sub_nc_u32_e32 v31, v15, v4
	v_sub_nc_u32_e32 v52, v18, v17
	v_min_i32_e32 v30, v36, v30
	v_sub_nc_u32_e32 v57, v37, v51
	s_wait_alu 0xf1ff
	v_cndmask_b32_e64 v36, 0, v56, s0
	v_cmp_ge_i32_e64 s0, v37, v51
	v_and_b32_e32 v39, 0xf8, v1
	v_or_b32_e32 v21, 0x100, v7
	v_add_nc_u32_e32 v22, 0x200, v7
	v_add_nc_u32_e32 v25, v15, v37
	v_sub_nc_u32_e32 v32, v17, v5
	v_sub_nc_u32_e32 v53, v20, v19
	v_min_i32_e32 v31, v37, v31
	v_sub_nc_u32_e32 v58, v38, v52
	s_wait_alu 0xf1ff
	v_cndmask_b32_e64 v37, 0, v57, s0
	v_cmp_ge_i32_e64 s0, v38, v52
	v_and_b32_e32 v40, 0x1f8, v1
	v_add_nc_u32_e32 v26, v17, v38
	v_sub_nc_u32_e32 v33, v19, v6
	v_sub_nc_u32_e32 v54, v22, v21
	v_min_i32_e32 v32, v38, v32
	v_sub_nc_u32_e32 v59, v39, v53
	s_wait_alu 0xf1ff
	v_cndmask_b32_e64 v38, 0, v58, s0
	v_cmp_ge_i32_e64 s0, v39, v53
	v_add_nc_u32_e32 v27, v19, v39
	v_sub_nc_u32_e32 v34, v21, v7
	v_min_i32_e32 v33, v39, v33
	v_sub_nc_u32_e32 v60, v40, v54
	s_wait_alu 0xf1ff
	v_cndmask_b32_e64 v39, 0, v59, s0
	v_cmp_ge_i32_e64 s0, v40, v54
	v_add_nc_u32_e32 v28, v21, v40
	v_min_i32_e32 v34, v40, v34
	v_subrev_nc_u32_e64 v8, 0x200, v1 clamp
	v_min_i32_e32 v9, 0x200, v1
	s_wait_alu 0xf1ff
	v_cndmask_b32_e64 v40, 0, v60, s0
	v_add_nc_u32_e32 v10, 0x200, v1
	v_cmp_lt_i32_e64 s0, v35, v29
	v_cmp_lt_i32_e64 s1, v36, v30
	;; [unrolled: 1-line block ×6, first 2 shown]
	v_cmp_lt_i32_e32 vcc_lo, v8, v9
	s_wait_loadcnt 0x3
	v_perm_b32 v41, v45, v41, 0xc0c0004
	s_wait_loadcnt 0x2
	v_perm_b32 v44, v44, v46, 0xc0c0004
	;; [unrolled: 2-line block ×4, first 2 shown]
	v_lshl_or_b32 v50, v44, 16, v41
	s_delay_alu instid0(VALU_DEP_2)
	v_lshl_or_b32 v41, v42, 16, v43
	s_branch .LBB58_2
.LBB58_1:                               ;   in Loop: Header=BB58_2 Depth=1
	s_or_b32 exec_lo, exec_lo, s13
	s_wait_dscnt 0x0
	v_bfe_i32 v59, v56, 0, 8
	v_bfe_i32 v60, v58, 0, 8
	v_cndmask_b32_e64 v42, v41, v42, s6
	v_cndmask_b32_e64 v43, v43, v44, s7
	v_cmp_le_i32_e64 s6, 0x200, v57
	v_cndmask_b32_e64 v44, v45, v46, s8
	v_cmp_lt_i16_e64 s7, v60, v59
	v_cmp_gt_i32_e64 s8, 0x400, v55
	v_cndmask_b32_e64 v45, v47, v48, s9
	v_cndmask_b32_e64 v46, v49, v50, s10
	;; [unrolled: 1-line block ×3, first 2 shown]
	s_or_b32 s6, s6, s7
	v_cndmask_b32_e64 v48, v53, v54, s12
	s_wait_alu 0xfffe
	s_and_b32 s6, s8, s6
	v_lshlrev_b16 v41, 8, v43
	s_wait_alu 0xfffe
	v_cndmask_b32_e64 v49, v56, v58, s6
	v_and_b32_e32 v50, 0xff, v42
	v_lshlrev_b16 v51, 8, v45
	v_and_b32_e32 v52, 0xff, v44
	v_lshlrev_b16 v53, 8, v47
	v_and_b32_e32 v54, 0xff, v46
	v_and_b32_e32 v55, 0xff, v48
	v_lshlrev_b16 v56, 8, v49
	v_or_b32_e32 v41, v50, v41
	v_or_b32_e32 v50, v52, v51
	;; [unrolled: 1-line block ×3, first 2 shown]
	s_add_co_i32 s15, s15, 1
	v_or_b32_e32 v52, v55, v56
	v_and_b32_e32 v41, 0xffff, v41
	v_lshlrev_b32_e32 v50, 16, v50
	v_and_b32_e32 v51, 0xffff, v51
	s_cmp_eq_u32 s15, 10
	v_lshlrev_b32_e32 v52, 16, v52
	s_delay_alu instid0(VALU_DEP_3) | instskip(NEXT) | instid1(VALU_DEP_2)
	v_or_b32_e32 v50, v41, v50
	v_or_b32_e32 v41, v51, v52
	s_cbranch_scc1 .LBB58_226
.LBB58_2:                               ; =>This Loop Header: Depth=1
                                        ;     Child Loop BB58_4 Depth 2
                                        ;     Child Loop BB58_36 Depth 2
	;; [unrolled: 1-line block ×7, first 2 shown]
	s_delay_alu instid0(VALU_DEP_2)
	v_lshrrev_b32_e32 v42, 8, v50
	v_bfe_i32 v43, v50, 0, 8
	v_perm_b32 v44, v50, v50, 0x7060405
	v_lshrrev_b32_e32 v51, 8, v41
	v_perm_b32 v54, v41, v41, 0x7060405
	v_bfe_i32 v42, v42, 0, 8
	s_barrier_signal -1
	s_delay_alu instid0(VALU_DEP_3) | instskip(SKIP_1) | instid1(VALU_DEP_2)
	v_bfe_i32 v51, v51, 0, 8
	s_barrier_wait -1
	v_cmp_lt_i16_e64 s6, v42, v43
	global_inv scope:SCOPE_SE
	s_wait_alu 0xf1ff
	v_cndmask_b32_e64 v44, v50, v44, s6
	v_max_i16 v50, v42, v43
	v_min_i16 v42, v42, v43
	s_delay_alu instid0(VALU_DEP_3) | instskip(SKIP_1) | instid1(VALU_DEP_3)
	v_lshrrev_b32_e32 v45, 16, v44
	v_lshrrev_b32_e32 v47, 24, v44
	v_lshlrev_b16 v55, 8, v42
	s_delay_alu instid0(VALU_DEP_3) | instskip(NEXT) | instid1(VALU_DEP_3)
	v_perm_b32 v46, 0, v45, 0xc0c0001
	v_bfe_i32 v47, v47, 0, 8
	v_bfe_i32 v45, v45, 0, 8
	s_delay_alu instid0(VALU_DEP_3) | instskip(NEXT) | instid1(VALU_DEP_2)
	v_lshlrev_b32_e32 v46, 16, v46
	v_cmp_lt_i16_e64 s6, v47, v45
	v_min_i16 v48, v47, v45
	v_max_i16 v45, v47, v45
	s_delay_alu instid0(VALU_DEP_4) | instskip(NEXT) | instid1(VALU_DEP_3)
	v_and_or_b32 v46, 0xffff, v44, v46
	v_min_i16 v53, v48, v50
	v_cmp_lt_i16_e64 s7, v48, v42
	s_wait_alu 0xf1ff
	s_delay_alu instid0(VALU_DEP_3)
	v_cndmask_b32_e64 v44, v44, v46, s6
	v_lshlrev_b16 v46, 8, v48
	v_cmp_lt_i16_e64 s6, v48, v50
	v_and_b32_e32 v47, 0xff, v53
	v_cndmask_b32_e64 v60, v53, v42, s7
	v_and_b32_e32 v49, 0xff, v44
	v_cndmask_b32_e64 v42, v42, v53, s7
	s_delay_alu instid0(VALU_DEP_4) | instskip(NEXT) | instid1(VALU_DEP_3)
	v_or_b32_e32 v47, v47, v55
	v_or_b32_e32 v46, v49, v46
	v_perm_b32 v49, v50, v44, 0xc0c0304
	v_max_i16 v50, v48, v50
	s_delay_alu instid0(VALU_DEP_4) | instskip(NEXT) | instid1(VALU_DEP_4)
	v_and_b32_e32 v47, 0xffff, v47
	v_and_b32_e32 v46, 0xffff, v46
	s_delay_alu instid0(VALU_DEP_1) | instskip(SKIP_2) | instid1(VALU_DEP_2)
	v_lshl_or_b32 v46, v49, 16, v46
	v_bfe_i32 v49, v41, 0, 8
	s_wait_alu 0xf1ff
	v_cndmask_b32_e64 v44, v44, v46, s6
	s_delay_alu instid0(VALU_DEP_2) | instskip(SKIP_2) | instid1(VALU_DEP_4)
	v_min_i16 v46, v51, v49
	v_cmp_lt_i16_e64 s6, v51, v49
	v_max_i16 v49, v51, v49
	v_lshrrev_b32_e32 v52, 16, v44
	s_delay_alu instid0(VALU_DEP_4)
	v_lshlrev_b16 v43, 8, v46
	s_wait_alu 0xf1ff
	v_cndmask_b32_e64 v41, v41, v54, s6
	v_cmp_lt_i16_e64 s6, v46, v45
	v_lshlrev_b16 v54, 8, v50
	v_and_b32_e32 v52, 0xff, v52
	s_delay_alu instid0(VALU_DEP_4) | instskip(NEXT) | instid1(VALU_DEP_2)
	v_lshrrev_b32_e32 v55, 16, v41
	v_or_b32_e32 v43, v52, v43
	v_min_i16 v52, v46, v45
	s_delay_alu instid0(VALU_DEP_3) | instskip(NEXT) | instid1(VALU_DEP_3)
	v_bfe_i32 v55, v55, 0, 8
	v_lshlrev_b32_e32 v43, 16, v43
	s_delay_alu instid0(VALU_DEP_3) | instskip(NEXT) | instid1(VALU_DEP_2)
	v_and_b32_e32 v51, 0xff, v52
	v_and_or_b32 v43, 0xffff, v44, v43
	s_delay_alu instid0(VALU_DEP_2) | instskip(SKIP_2) | instid1(VALU_DEP_3)
	v_or_b32_e32 v51, v51, v54
	v_perm_b32 v54, v41, v41, 0x6070504
	s_wait_alu 0xf1ff
	v_cndmask_b32_e64 v43, v44, v43, s6
	v_lshrrev_b32_e32 v44, 24, v41
	v_lshlrev_b32_e32 v51, 16, v51
	s_delay_alu instid0(VALU_DEP_3) | instskip(NEXT) | instid1(VALU_DEP_3)
	v_and_or_b32 v47, 0xffff0000, v43, v47
	v_bfe_i32 v44, v44, 0, 8
	s_delay_alu instid0(VALU_DEP_2) | instskip(NEXT) | instid1(VALU_DEP_2)
	v_cndmask_b32_e64 v43, v43, v47, s7
	v_cmp_lt_i16_e64 s8, v44, v55
	v_and_b32_e32 v47, 0xff, v49
	s_delay_alu instid0(VALU_DEP_3) | instskip(SKIP_1) | instid1(VALU_DEP_3)
	v_and_or_b32 v48, 0xffff, v43, v51
	s_wait_alu 0xf1ff
	v_cndmask_b32_e64 v41, v41, v54, s8
	v_cmp_lt_i16_e64 s8, v52, v50
	v_min_i16 v54, v52, v50
	v_max_i16 v51, v44, v55
	v_min_i16 v44, v44, v55
	v_max_i16 v50, v52, v50
	s_wait_alu 0xf1ff
	v_cndmask_b32_e64 v43, v43, v48, s8
	v_lshlrev_b16 v55, 8, v54
	v_perm_b32 v48, v45, v41, 0x3020104
	v_max_i16 v58, v44, v49
	v_and_b32_e32 v59, 0xff, v51
	v_and_b32_e32 v56, 0xff, v43
	v_perm_b32 v52, v60, v43, 0xc0c0304
	v_cndmask_b32_e64 v41, v41, v48, s6
	v_lshlrev_b16 v62, 8, v58
	v_cmp_lt_i16_e64 s6, v54, v60
	v_or_b32_e32 v55, v56, v55
	v_max_i16 v45, v46, v45
	v_min_i16 v57, v44, v49
	v_lshlrev_b16 v46, 8, v44
	v_min_i16 v53, v54, v60
	v_and_b32_e32 v55, 0xffff, v55
	v_lshlrev_b16 v61, 8, v45
	v_min_i16 v64, v57, v45
	v_and_b32_e32 v56, 0xff, v57
	v_max_i16 v54, v54, v60
	v_lshl_or_b32 v52, v52, 16, v55
	v_or_b32_e32 v55, v59, v62
	v_lshrrev_b32_e32 v59, 16, v41
	v_and_b32_e32 v62, 0xff, v41
	v_lshlrev_b16 v48, 8, v64
	s_wait_alu 0xf1ff
	v_cndmask_b32_e64 v43, v43, v52, s6
	v_or_b32_e32 v56, v56, v61
	v_and_b32_e32 v59, 0xffffff00, v59
	v_or_b32_e32 v46, v62, v46
	v_cmp_lt_i16_e64 s6, v44, v49
	v_lshrrev_b32_e32 v65, 16, v43
	v_min_i16 v66, v64, v50
	v_or_b32_e32 v47, v47, v59
	v_and_b32_e32 v46, 0xffff, v46
	v_lshlrev_b16 v59, 8, v42
	v_and_b32_e32 v62, 0xff, v65
	v_and_b32_e32 v56, 0xffff, v56
	v_lshlrev_b32_e32 v47, 16, v47
	v_and_b32_e32 v60, 0xff, v66
	v_cmp_lt_i16_e64 s7, v57, v45
	v_or_b32_e32 v48, v62, v48
	v_and_b32_e32 v62, 0xff, v53
	v_or_b32_e32 v46, v46, v47
	v_max_i16 v63, v57, v45
	v_cmp_lt_i16_e64 s8, v66, v54
	v_lshlrev_b32_e32 v48, 16, v48
	v_or_b32_e32 v47, v62, v59
	s_wait_alu 0xf1ff
	v_cndmask_b32_e64 v41, v41, v46, s6
	v_cmp_lt_i16_e64 s6, v64, v50
	v_lshlrev_b16 v59, 8, v54
	v_and_or_b32 v48, 0xffff, v43, v48
	v_and_b32_e32 v44, 0xffff, v47
	v_lshlrev_b32_e32 v47, 16, v55
	v_and_b32_e32 v52, 0xff, v63
	v_or_b32_e32 v46, v60, v59
	s_wait_alu 0xf1ff
	v_cndmask_b32_e64 v43, v43, v48, s6
	v_and_or_b32 v48, 0xffff0000, v41, v56
	v_max_i16 v61, v64, v50
	v_lshlrev_b32_e32 v46, 16, v46
	s_delay_alu instid0(VALU_DEP_4) | instskip(NEXT) | instid1(VALU_DEP_4)
	v_and_or_b32 v44, 0xffff0000, v43, v44
	v_cndmask_b32_e64 v41, v41, v48, s7
	v_cmp_lt_i16_e64 s7, v53, v42
	v_min_i16 v48, v66, v54
	v_lshlrev_b16 v55, 8, v61
	s_delay_alu instid0(VALU_DEP_4)
	v_and_or_b32 v45, 0xffff, v41, v47
	s_wait_alu 0xf1ff
	v_cndmask_b32_e64 v43, v43, v44, s7
	v_cmp_gt_i16_e64 s7, v49, v51
	v_min_i16 v44, v53, v42
	v_max_i16 v42, v53, v42
	v_max_i16 v47, v66, v54
	v_and_or_b32 v46, 0xffff, v43, v46
	s_wait_alu 0xf1ff
	v_cndmask_b32_e64 v41, v41, v45, s7
	v_lshlrev_b16 v45, 8, v48
	v_cndmask_b32_e64 v56, v58, v51, s7
	v_cndmask_b32_e64 v51, v51, v58, s7
	;; [unrolled: 1-line block ×3, first 2 shown]
	v_perm_b32 v49, v50, v41, 0x3020104
	v_max_i16 v46, v48, v42
	v_min_i16 v62, v56, v63
	v_min_i16 v50, v48, v42
	v_and_b32_e32 v53, 0xff, v43
	v_cndmask_b32_e64 v41, v41, v49, s6
	v_perm_b32 v58, v42, v43, 0xc0c0304
	v_cmp_lt_i16_e64 s6, v48, v42
	v_max_i16 v59, v56, v63
	v_or_b32_e32 v45, v53, v45
	v_lshrrev_b32_e32 v57, 16, v41
	v_lshlrev_b16 v53, 8, v56
	v_and_b32_e32 v60, 0xff, v41
	v_lshlrev_b16 v54, 8, v44
	v_and_b32_e32 v45, 0xffff, v45
	v_and_b32_e32 v57, 0xffffff00, v57
	;; [unrolled: 1-line block ×3, first 2 shown]
	v_or_b32_e32 v53, v60, v53
	v_cmp_lt_i16_e64 s7, v51, v59
	v_lshl_or_b32 v45, v58, 16, v45
	v_or_b32_e32 v52, v52, v57
	v_and_b32_e32 v58, 0xff, v51
	v_or_b32_e32 v49, v49, v54
	s_wait_alu 0xf1ff
	v_cndmask_b32_e64 v42, v43, v45, s6
	v_and_b32_e32 v43, 0xff, v62
	v_and_b32_e32 v45, 0xffff, v53
	v_lshlrev_b32_e32 v52, 16, v52
	v_min_i16 v53, v62, v61
	v_lshrrev_b32_e32 v57, 16, v42
	v_or_b32_e32 v43, v43, v55
	v_cmp_lt_i16_e64 s6, v56, v63
	v_or_b32_e32 v45, v45, v52
	v_lshlrev_b16 v55, 8, v59
	v_lshlrev_b16 v52, 8, v53
	v_and_b32_e32 v57, 0xff, v57
	v_and_b32_e32 v43, 0xffff, v43
	s_wait_alu 0xf1ff
	v_cndmask_b32_e64 v41, v41, v45, s6
	v_or_b32_e32 v55, v58, v55
	v_cmp_lt_i16_e64 s6, v62, v61
	v_or_b32_e32 v52, v57, v52
	v_min_i16 v54, v53, v47
	v_and_or_b32 v43, 0xffff0000, v41, v43
	v_lshlrev_b32_e32 v55, 16, v55
	v_lshlrev_b16 v45, 8, v46
	v_lshlrev_b32_e32 v52, 16, v52
	v_max_i16 v56, v62, v61
	s_wait_alu 0xf1ff
	v_cndmask_b32_e64 v41, v41, v43, s6
	v_and_b32_e32 v43, 0xffff, v49
	v_cmp_lt_i16_e64 s6, v53, v47
	v_and_or_b32 v49, 0xffff, v42, v52
	v_and_b32_e32 v52, 0xff, v54
	v_and_or_b32 v55, 0xffff, v41, v55
	s_wait_alu 0xf1ff
	s_delay_alu instid0(VALU_DEP_3) | instskip(NEXT) | instid1(VALU_DEP_3)
	v_cndmask_b32_e64 v42, v42, v49, s6
	v_or_b32_e32 v45, v52, v45
	s_delay_alu instid0(VALU_DEP_3)
	v_cndmask_b32_e64 v41, v41, v55, s7
	v_cmp_lt_i16_e64 s7, v48, v44
	v_max_i16 v49, v51, v59
	v_and_or_b32 v43, 0xffff0000, v42, v43
	v_lshlrev_b32_e32 v45, 16, v45
	v_perm_b32 v52, v47, v41, 0x3020104
	v_min_i16 v51, v51, v59
	v_max_i16 v47, v53, v47
	s_wait_alu 0xf1ff
	v_cndmask_b32_e64 v42, v42, v43, s7
	v_and_b32_e32 v43, 0xff, v56
	v_cndmask_b32_e64 v41, v41, v52, s6
	v_cmp_lt_i16_e64 s6, v54, v46
	v_lshlrev_b16 v48, 8, v51
	v_and_or_b32 v45, 0xffff, v42, v45
	v_min_i16 v53, v54, v46
	v_lshrrev_b32_e32 v55, 16, v41
	v_and_b32_e32 v57, 0xff, v41
	v_cndmask_b32_e64 v44, v50, v44, s7
	s_wait_alu 0xf1ff
	v_cndmask_b32_e64 v42, v42, v45, s6
	v_min_i16 v45, v51, v56
	v_and_b32_e32 v55, 0xffffff00, v55
	v_lshlrev_b16 v58, 8, v53
	v_or_b32_e32 v48, v57, v48
	v_and_b32_e32 v59, 0xff, v42
	v_and_b32_e32 v60, 0xff, v45
	v_or_b32_e32 v43, v43, v55
	v_lshlrev_b16 v55, 8, v47
	v_and_b32_e32 v48, 0xffff, v48
	v_or_b32_e32 v50, v59, v58
	v_max_i16 v52, v51, v56
	v_lshlrev_b32_e32 v43, 16, v43
	v_perm_b32 v57, v44, v42, 0xc0c0304
	v_or_b32_e32 v55, v60, v55
	v_and_b32_e32 v50, 0xffff, v50
	v_cmp_lt_i16_e64 s6, v51, v56
	v_or_b32_e32 v43, v48, v43
	v_and_b32_e32 v58, 0xff, v49
	v_lshlrev_b16 v48, 8, v52
	v_lshl_or_b32 v50, v57, 16, v50
	v_and_b32_e32 v55, 0xffff, v55
	s_wait_alu 0xf1ff
	v_cndmask_b32_e64 v41, v41, v43, s6
	v_cmp_lt_i16_e64 s6, v53, v44
	v_or_b32_e32 v44, v58, v48
	v_min_i16 v43, v45, v47
	v_max_i16 v46, v54, v46
	v_and_or_b32 v48, 0xffff0000, v41, v55
	s_wait_alu 0xf1ff
	v_cndmask_b32_e64 v42, v42, v50, s6
	v_cmp_lt_i16_e64 s6, v45, v47
	v_lshlrev_b32_e32 v44, 16, v44
	v_lshlrev_b16 v51, 8, v43
	v_cmp_lt_i16_e64 s7, v43, v46
	v_lshrrev_b32_e32 v50, 16, v42
	s_wait_alu 0xf1ff
	v_cndmask_b32_e64 v41, v41, v48, s6
	v_cmp_gt_i16_e64 s6, v56, v49
	v_max_i16 v43, v45, v47
	v_and_b32_e32 v48, 0xff, v50
	s_delay_alu instid0(VALU_DEP_4) | instskip(NEXT) | instid1(VALU_DEP_2)
	v_and_or_b32 v44, 0xffff, v41, v44
	v_or_b32_e32 v48, v48, v51
	s_wait_alu 0xf1ff
	s_delay_alu instid0(VALU_DEP_2) | instskip(NEXT) | instid1(VALU_DEP_2)
	v_cndmask_b32_e64 v41, v41, v44, s6
	v_lshlrev_b32_e32 v44, 16, v48
	s_delay_alu instid0(VALU_DEP_2) | instskip(SKIP_1) | instid1(VALU_DEP_3)
	v_perm_b32 v48, v46, v41, 0x3020104
	v_and_b32_e32 v46, 0xff, v43
	v_and_or_b32 v44, 0xffff, v42, v44
	s_delay_alu instid0(VALU_DEP_3) | instskip(NEXT) | instid1(VALU_DEP_2)
	v_cndmask_b32_e64 v41, v41, v48, s7
	v_cndmask_b32_e64 v42, v42, v44, s7
	;; [unrolled: 1-line block ×3, first 2 shown]
	s_delay_alu instid0(VALU_DEP_3) | instskip(SKIP_1) | instid1(VALU_DEP_3)
	v_lshrrev_b32_e32 v45, 16, v41
	v_and_b32_e32 v48, 0xff, v41
	v_lshlrev_b16 v47, 8, v44
	s_delay_alu instid0(VALU_DEP_3) | instskip(SKIP_1) | instid1(VALU_DEP_3)
	v_and_b32_e32 v45, 0xffffff00, v45
	v_cmp_lt_i16_e64 s6, v44, v43
	v_or_b32_e32 v47, v48, v47
	s_delay_alu instid0(VALU_DEP_3) | instskip(NEXT) | instid1(VALU_DEP_2)
	v_or_b32_e32 v45, v46, v45
	v_and_b32_e32 v46, 0xffff, v47
	s_delay_alu instid0(VALU_DEP_2) | instskip(NEXT) | instid1(VALU_DEP_1)
	v_lshlrev_b32_e32 v45, 16, v45
	v_or_b32_e32 v45, v46, v45
	s_wait_alu 0xf1ff
	s_delay_alu instid0(VALU_DEP_1)
	v_cndmask_b32_e64 v43, v41, v45, s6
	v_mov_b32_e32 v41, v35
	ds_store_b64 v1, v[42:43]
	s_wait_loadcnt_dscnt 0x0
	s_barrier_signal -1
	s_barrier_wait -1
	global_inv scope:SCOPE_SE
	s_and_saveexec_b32 s7, s0
	s_cbranch_execz .LBB58_6
; %bb.3:                                ;   in Loop: Header=BB58_2 Depth=1
	v_dual_mov_b32 v41, v35 :: v_dual_mov_b32 v42, v29
	s_mov_b32 s8, 0
.LBB58_4:                               ;   Parent Loop BB58_2 Depth=1
                                        ; =>  This Inner Loop Header: Depth=2
	s_delay_alu instid0(VALU_DEP_1) | instskip(NEXT) | instid1(VALU_DEP_1)
	v_sub_nc_u32_e32 v43, v42, v41
	v_lshrrev_b32_e32 v43, 1, v43
	s_delay_alu instid0(VALU_DEP_1) | instskip(NEXT) | instid1(VALU_DEP_1)
	v_add_nc_u32_e32 v43, v43, v41
	v_add_nc_u32_e32 v44, v2, v43
	v_xad_u32 v45, v43, -1, v23
	v_add_nc_u32_e32 v46, 1, v43
	ds_load_i8 v44, v44
	ds_load_i8 v45, v45
	s_wait_dscnt 0x0
	v_cmp_lt_i16_e64 s6, v45, v44
	s_wait_alu 0xf1ff
	s_delay_alu instid0(VALU_DEP_1) | instskip(SKIP_1) | instid1(VALU_DEP_1)
	v_cndmask_b32_e64 v42, v42, v43, s6
	v_cndmask_b32_e64 v41, v46, v41, s6
	v_cmp_ge_i32_e64 s6, v41, v42
	s_wait_alu 0xfffe
	s_or_b32 s8, s6, s8
	s_wait_alu 0xfffe
	s_and_not1_b32 exec_lo, exec_lo, s8
	s_cbranch_execnz .LBB58_4
; %bb.5:                                ;   in Loop: Header=BB58_2 Depth=1
	s_or_b32 exec_lo, exec_lo, s8
.LBB58_6:                               ;   in Loop: Header=BB58_2 Depth=1
	s_wait_alu 0xfffe
	s_or_b32 exec_lo, exec_lo, s7
	v_add_nc_u32_e32 v46, v41, v2
	v_sub_nc_u32_e32 v45, v23, v41
                                        ; implicit-def: $vgpr43
	ds_load_u8 v41, v46
	ds_load_u8 v42, v45
	v_cmp_le_i32_e64 s6, v11, v46
	v_cmp_gt_i32_e64 s8, v12, v45
	s_wait_dscnt 0x1
	v_bfe_i32 v41, v41, 0, 8
	s_wait_dscnt 0x0
	v_bfe_i32 v42, v42, 0, 8
	s_delay_alu instid0(VALU_DEP_1)
	v_cmp_lt_i16_e64 s7, v42, v41
	s_or_b32 s6, s6, s7
	s_wait_alu 0xfffe
	s_and_b32 s6, s8, s6
	s_wait_alu 0xfffe
	s_xor_b32 s7, s6, -1
	s_wait_alu 0xfffe
	s_and_saveexec_b32 s8, s7
	s_wait_alu 0xfffe
	s_xor_b32 s7, exec_lo, s8
; %bb.7:                                ;   in Loop: Header=BB58_2 Depth=1
	ds_load_u8 v43, v46 offset:1
; %bb.8:                                ;   in Loop: Header=BB58_2 Depth=1
	s_wait_alu 0xfffe
	s_or_saveexec_b32 s7, s7
	v_mov_b32_e32 v44, v42
	s_wait_alu 0xfffe
	s_xor_b32 exec_lo, exec_lo, s7
	s_cbranch_execz .LBB58_10
; %bb.9:                                ;   in Loop: Header=BB58_2 Depth=1
	ds_load_u8 v44, v45 offset:1
	s_wait_dscnt 0x1
	v_mov_b32_e32 v43, v41
.LBB58_10:                              ;   in Loop: Header=BB58_2 Depth=1
	s_or_b32 exec_lo, exec_lo, s7
	v_add_nc_u32_e32 v47, 1, v46
	v_add_nc_u32_e32 v49, 1, v45
	s_wait_dscnt 0x0
	v_bfe_i32 v50, v43, 0, 8
	s_delay_alu instid0(VALU_DEP_3) | instskip(SKIP_2) | instid1(VALU_DEP_3)
	v_cndmask_b32_e64 v48, v47, v46, s6
	v_bfe_i32 v46, v44, 0, 8
	v_cndmask_b32_e64 v47, v45, v49, s6
                                        ; implicit-def: $vgpr45
	v_cmp_ge_i32_e64 s7, v48, v11
	s_delay_alu instid0(VALU_DEP_3) | instskip(NEXT) | instid1(VALU_DEP_3)
	v_cmp_lt_i16_e64 s8, v46, v50
	v_cmp_lt_i32_e64 s9, v47, v12
	s_or_b32 s7, s7, s8
	s_wait_alu 0xfffe
	s_and_b32 s7, s9, s7
	s_wait_alu 0xfffe
	s_xor_b32 s8, s7, -1
	s_wait_alu 0xfffe
	s_and_saveexec_b32 s9, s8
	s_wait_alu 0xfffe
	s_xor_b32 s8, exec_lo, s9
; %bb.11:                               ;   in Loop: Header=BB58_2 Depth=1
	ds_load_u8 v45, v48 offset:1
; %bb.12:                               ;   in Loop: Header=BB58_2 Depth=1
	s_wait_alu 0xfffe
	s_or_saveexec_b32 s8, s8
	v_mov_b32_e32 v46, v44
	s_wait_alu 0xfffe
	s_xor_b32 exec_lo, exec_lo, s8
	s_cbranch_execz .LBB58_14
; %bb.13:                               ;   in Loop: Header=BB58_2 Depth=1
	ds_load_u8 v46, v47 offset:1
	s_wait_dscnt 0x1
	v_mov_b32_e32 v45, v43
.LBB58_14:                              ;   in Loop: Header=BB58_2 Depth=1
	s_or_b32 exec_lo, exec_lo, s8
	v_add_nc_u32_e32 v49, 1, v48
	v_add_nc_u32_e32 v51, 1, v47
	s_wait_dscnt 0x0
	v_bfe_i32 v52, v45, 0, 8
	s_delay_alu instid0(VALU_DEP_3) | instskip(SKIP_2) | instid1(VALU_DEP_3)
	v_cndmask_b32_e64 v50, v49, v48, s7
	v_bfe_i32 v48, v46, 0, 8
	v_cndmask_b32_e64 v49, v47, v51, s7
                                        ; implicit-def: $vgpr47
	v_cmp_ge_i32_e64 s8, v50, v11
	s_delay_alu instid0(VALU_DEP_3) | instskip(NEXT) | instid1(VALU_DEP_3)
	v_cmp_lt_i16_e64 s9, v48, v52
	v_cmp_lt_i32_e64 s10, v49, v12
	s_or_b32 s8, s8, s9
	s_wait_alu 0xfffe
	s_and_b32 s8, s10, s8
	s_wait_alu 0xfffe
	s_xor_b32 s9, s8, -1
	s_wait_alu 0xfffe
	s_and_saveexec_b32 s10, s9
	s_wait_alu 0xfffe
	s_xor_b32 s9, exec_lo, s10
; %bb.15:                               ;   in Loop: Header=BB58_2 Depth=1
	ds_load_u8 v47, v50 offset:1
; %bb.16:                               ;   in Loop: Header=BB58_2 Depth=1
	s_wait_alu 0xfffe
	s_or_saveexec_b32 s9, s9
	v_mov_b32_e32 v48, v46
	s_wait_alu 0xfffe
	s_xor_b32 exec_lo, exec_lo, s9
	s_cbranch_execz .LBB58_18
; %bb.17:                               ;   in Loop: Header=BB58_2 Depth=1
	ds_load_u8 v48, v49 offset:1
	s_wait_dscnt 0x1
	v_mov_b32_e32 v47, v45
.LBB58_18:                              ;   in Loop: Header=BB58_2 Depth=1
	s_or_b32 exec_lo, exec_lo, s9
	v_add_nc_u32_e32 v51, 1, v50
	v_add_nc_u32_e32 v53, 1, v49
	s_wait_dscnt 0x0
	v_bfe_i32 v54, v47, 0, 8
	s_delay_alu instid0(VALU_DEP_3) | instskip(SKIP_2) | instid1(VALU_DEP_3)
	v_cndmask_b32_e64 v52, v51, v50, s8
	v_bfe_i32 v50, v48, 0, 8
	v_cndmask_b32_e64 v51, v49, v53, s8
                                        ; implicit-def: $vgpr49
	v_cmp_ge_i32_e64 s9, v52, v11
	s_delay_alu instid0(VALU_DEP_3) | instskip(NEXT) | instid1(VALU_DEP_3)
	v_cmp_lt_i16_e64 s10, v50, v54
	v_cmp_lt_i32_e64 s11, v51, v12
	s_or_b32 s9, s9, s10
	s_wait_alu 0xfffe
	s_and_b32 s9, s11, s9
	s_wait_alu 0xfffe
	s_xor_b32 s10, s9, -1
	s_wait_alu 0xfffe
	s_and_saveexec_b32 s11, s10
	s_wait_alu 0xfffe
	s_xor_b32 s10, exec_lo, s11
; %bb.19:                               ;   in Loop: Header=BB58_2 Depth=1
	ds_load_u8 v49, v52 offset:1
; %bb.20:                               ;   in Loop: Header=BB58_2 Depth=1
	s_wait_alu 0xfffe
	s_or_saveexec_b32 s10, s10
	v_mov_b32_e32 v50, v48
	s_wait_alu 0xfffe
	s_xor_b32 exec_lo, exec_lo, s10
	s_cbranch_execz .LBB58_22
; %bb.21:                               ;   in Loop: Header=BB58_2 Depth=1
	ds_load_u8 v50, v51 offset:1
	s_wait_dscnt 0x1
	v_mov_b32_e32 v49, v47
.LBB58_22:                              ;   in Loop: Header=BB58_2 Depth=1
	s_or_b32 exec_lo, exec_lo, s10
	v_add_nc_u32_e32 v53, 1, v52
	v_add_nc_u32_e32 v55, 1, v51
	s_wait_dscnt 0x0
	v_bfe_i32 v56, v49, 0, 8
	s_delay_alu instid0(VALU_DEP_3) | instskip(SKIP_2) | instid1(VALU_DEP_3)
	v_cndmask_b32_e64 v54, v53, v52, s9
	v_bfe_i32 v52, v50, 0, 8
	v_cndmask_b32_e64 v53, v51, v55, s9
                                        ; implicit-def: $vgpr51
	v_cmp_ge_i32_e64 s10, v54, v11
	s_delay_alu instid0(VALU_DEP_3) | instskip(NEXT) | instid1(VALU_DEP_3)
	v_cmp_lt_i16_e64 s11, v52, v56
	v_cmp_lt_i32_e64 s12, v53, v12
	s_or_b32 s10, s10, s11
	s_wait_alu 0xfffe
	s_and_b32 s10, s12, s10
	s_wait_alu 0xfffe
	s_xor_b32 s11, s10, -1
	s_wait_alu 0xfffe
	s_and_saveexec_b32 s12, s11
	s_wait_alu 0xfffe
	s_xor_b32 s11, exec_lo, s12
; %bb.23:                               ;   in Loop: Header=BB58_2 Depth=1
	ds_load_u8 v51, v54 offset:1
; %bb.24:                               ;   in Loop: Header=BB58_2 Depth=1
	s_wait_alu 0xfffe
	s_or_saveexec_b32 s11, s11
	v_mov_b32_e32 v52, v50
	s_wait_alu 0xfffe
	s_xor_b32 exec_lo, exec_lo, s11
	s_cbranch_execz .LBB58_26
; %bb.25:                               ;   in Loop: Header=BB58_2 Depth=1
	ds_load_u8 v52, v53 offset:1
	s_wait_dscnt 0x1
	v_mov_b32_e32 v51, v49
.LBB58_26:                              ;   in Loop: Header=BB58_2 Depth=1
	s_or_b32 exec_lo, exec_lo, s11
	v_add_nc_u32_e32 v55, 1, v54
	v_add_nc_u32_e32 v57, 1, v53
	s_wait_dscnt 0x0
	v_bfe_i32 v58, v51, 0, 8
	s_delay_alu instid0(VALU_DEP_3) | instskip(SKIP_2) | instid1(VALU_DEP_3)
	v_cndmask_b32_e64 v56, v55, v54, s10
	v_bfe_i32 v54, v52, 0, 8
	v_cndmask_b32_e64 v55, v53, v57, s10
                                        ; implicit-def: $vgpr53
	v_cmp_ge_i32_e64 s11, v56, v11
	s_delay_alu instid0(VALU_DEP_3) | instskip(NEXT) | instid1(VALU_DEP_3)
	v_cmp_lt_i16_e64 s12, v54, v58
	v_cmp_lt_i32_e64 s13, v55, v12
	s_or_b32 s11, s11, s12
	s_wait_alu 0xfffe
	s_and_b32 s11, s13, s11
	s_wait_alu 0xfffe
	s_xor_b32 s12, s11, -1
	s_wait_alu 0xfffe
	s_and_saveexec_b32 s13, s12
	s_wait_alu 0xfffe
	s_xor_b32 s12, exec_lo, s13
; %bb.27:                               ;   in Loop: Header=BB58_2 Depth=1
	ds_load_u8 v53, v56 offset:1
; %bb.28:                               ;   in Loop: Header=BB58_2 Depth=1
	s_wait_alu 0xfffe
	s_or_saveexec_b32 s12, s12
	v_mov_b32_e32 v54, v52
	s_wait_alu 0xfffe
	s_xor_b32 exec_lo, exec_lo, s12
	s_cbranch_execz .LBB58_30
; %bb.29:                               ;   in Loop: Header=BB58_2 Depth=1
	ds_load_u8 v54, v55 offset:1
	s_wait_dscnt 0x1
	v_mov_b32_e32 v53, v51
.LBB58_30:                              ;   in Loop: Header=BB58_2 Depth=1
	s_or_b32 exec_lo, exec_lo, s12
	v_add_nc_u32_e32 v57, 1, v56
	v_add_nc_u32_e32 v58, 1, v55
	s_wait_dscnt 0x0
	v_bfe_i32 v59, v53, 0, 8
	v_bfe_i32 v60, v54, 0, 8
	v_cndmask_b32_e64 v57, v57, v56, s11
	v_cndmask_b32_e64 v56, v55, v58, s11
                                        ; implicit-def: $vgpr55
	s_delay_alu instid0(VALU_DEP_3) | instskip(NEXT) | instid1(VALU_DEP_3)
	v_cmp_lt_i16_e64 s13, v60, v59
	v_cmp_ge_i32_e64 s12, v57, v11
	s_delay_alu instid0(VALU_DEP_3)
	v_cmp_lt_i32_e64 s14, v56, v12
	s_or_b32 s12, s12, s13
	s_wait_alu 0xfffe
	s_and_b32 s12, s14, s12
	s_wait_alu 0xfffe
	s_xor_b32 s13, s12, -1
	s_wait_alu 0xfffe
	s_and_saveexec_b32 s14, s13
	s_delay_alu instid0(SALU_CYCLE_1)
	s_xor_b32 s13, exec_lo, s14
; %bb.31:                               ;   in Loop: Header=BB58_2 Depth=1
	ds_load_u8 v55, v57 offset:1
; %bb.32:                               ;   in Loop: Header=BB58_2 Depth=1
	s_wait_alu 0xfffe
	s_or_saveexec_b32 s13, s13
	v_mov_b32_e32 v58, v54
	s_wait_alu 0xfffe
	s_xor_b32 exec_lo, exec_lo, s13
	s_cbranch_execz .LBB58_34
; %bb.33:                               ;   in Loop: Header=BB58_2 Depth=1
	ds_load_u8 v58, v56 offset:1
	s_wait_dscnt 0x1
	v_mov_b32_e32 v55, v53
.LBB58_34:                              ;   in Loop: Header=BB58_2 Depth=1
	s_or_b32 exec_lo, exec_lo, s13
	v_cndmask_b32_e64 v47, v47, v48, s9
	v_cndmask_b32_e64 v43, v43, v44, s7
	;; [unrolled: 1-line block ×4, first 2 shown]
	v_add_nc_u32_e32 v59, 1, v57
	v_lshlrev_b16 v45, 8, v47
	v_lshlrev_b16 v43, 8, v43
	v_and_b32_e32 v41, 0xff, v41
	v_and_b32_e32 v42, 0xff, v42
	v_cndmask_b32_e64 v53, v53, v54, s12
	v_add_nc_u32_e32 v54, 1, v56
	s_wait_dscnt 0x0
	v_bfe_i32 v60, v55, 0, 8
	v_or_b32_e32 v41, v41, v43
	v_or_b32_e32 v42, v42, v45
	v_bfe_i32 v61, v58, 0, 8
	v_cndmask_b32_e64 v57, v59, v57, s12
	v_cndmask_b32_e64 v51, v51, v52, s11
	v_and_b32_e32 v41, 0xffff, v41
	v_lshlrev_b32_e32 v42, 16, v42
	v_cndmask_b32_e64 v49, v49, v50, s10
	v_cmp_lt_i16_e64 s10, v61, v60
	v_cmp_ge_i32_e64 s11, v57, v11
	v_lshlrev_b16 v46, 8, v51
	v_or_b32_e32 v42, v41, v42
	v_mov_b32_e32 v41, v36
	v_cndmask_b32_e64 v52, v56, v54, s12
	s_or_b32 s6, s11, s10
	v_and_b32_e32 v47, 0xff, v49
	v_and_b32_e32 v48, 0xff, v53
	s_wait_loadcnt 0x0
	v_cmp_lt_i32_e64 s9, v52, v12
	s_barrier_signal -1
	v_or_b32_e32 v43, v47, v46
	s_barrier_wait -1
	global_inv scope:SCOPE_SE
	s_wait_alu 0xfffe
	s_and_b32 s6, s9, s6
	s_wait_alu 0xfffe
	v_cndmask_b32_e64 v44, v55, v58, s6
	v_and_b32_e32 v43, 0xffff, v43
	s_delay_alu instid0(VALU_DEP_2) | instskip(NEXT) | instid1(VALU_DEP_1)
	v_lshlrev_b16 v44, 8, v44
	v_or_b32_e32 v44, v48, v44
	s_delay_alu instid0(VALU_DEP_1) | instskip(NEXT) | instid1(VALU_DEP_1)
	v_lshlrev_b32_e32 v44, 16, v44
	v_or_b32_e32 v43, v43, v44
	ds_store_b64 v1, v[42:43]
	s_wait_loadcnt_dscnt 0x0
	s_barrier_signal -1
	s_barrier_wait -1
	global_inv scope:SCOPE_SE
	s_and_saveexec_b32 s7, s1
	s_cbranch_execz .LBB58_38
; %bb.35:                               ;   in Loop: Header=BB58_2 Depth=1
	v_dual_mov_b32 v41, v36 :: v_dual_mov_b32 v42, v30
	s_mov_b32 s8, 0
.LBB58_36:                              ;   Parent Loop BB58_2 Depth=1
                                        ; =>  This Inner Loop Header: Depth=2
	s_delay_alu instid0(VALU_DEP_1) | instskip(NEXT) | instid1(VALU_DEP_1)
	v_sub_nc_u32_e32 v43, v42, v41
	v_lshrrev_b32_e32 v43, 1, v43
	s_delay_alu instid0(VALU_DEP_1) | instskip(NEXT) | instid1(VALU_DEP_1)
	v_add_nc_u32_e32 v43, v43, v41
	v_add_nc_u32_e32 v44, v3, v43
	v_xad_u32 v45, v43, -1, v24
	v_add_nc_u32_e32 v46, 1, v43
	ds_load_i8 v44, v44
	ds_load_i8 v45, v45
	s_wait_dscnt 0x0
	v_cmp_lt_i16_e64 s6, v45, v44
	s_wait_alu 0xf1ff
	s_delay_alu instid0(VALU_DEP_1) | instskip(SKIP_1) | instid1(VALU_DEP_1)
	v_cndmask_b32_e64 v42, v42, v43, s6
	v_cndmask_b32_e64 v41, v46, v41, s6
	v_cmp_ge_i32_e64 s6, v41, v42
	s_wait_alu 0xfffe
	s_or_b32 s8, s6, s8
	s_wait_alu 0xfffe
	s_and_not1_b32 exec_lo, exec_lo, s8
	s_cbranch_execnz .LBB58_36
; %bb.37:                               ;   in Loop: Header=BB58_2 Depth=1
	s_or_b32 exec_lo, exec_lo, s8
.LBB58_38:                              ;   in Loop: Header=BB58_2 Depth=1
	s_wait_alu 0xfffe
	s_or_b32 exec_lo, exec_lo, s7
	v_add_nc_u32_e32 v46, v41, v3
	v_sub_nc_u32_e32 v45, v24, v41
                                        ; implicit-def: $vgpr43
	ds_load_u8 v41, v46
	ds_load_u8 v42, v45
	v_cmp_le_i32_e64 s6, v13, v46
	v_cmp_gt_i32_e64 s8, v14, v45
	s_wait_dscnt 0x1
	v_bfe_i32 v41, v41, 0, 8
	s_wait_dscnt 0x0
	v_bfe_i32 v42, v42, 0, 8
	s_delay_alu instid0(VALU_DEP_1)
	v_cmp_lt_i16_e64 s7, v42, v41
	s_or_b32 s6, s6, s7
	s_wait_alu 0xfffe
	s_and_b32 s6, s8, s6
	s_wait_alu 0xfffe
	s_xor_b32 s7, s6, -1
	s_wait_alu 0xfffe
	s_and_saveexec_b32 s8, s7
	s_wait_alu 0xfffe
	s_xor_b32 s7, exec_lo, s8
; %bb.39:                               ;   in Loop: Header=BB58_2 Depth=1
	ds_load_u8 v43, v46 offset:1
; %bb.40:                               ;   in Loop: Header=BB58_2 Depth=1
	s_wait_alu 0xfffe
	s_or_saveexec_b32 s7, s7
	v_mov_b32_e32 v44, v42
	s_wait_alu 0xfffe
	s_xor_b32 exec_lo, exec_lo, s7
	s_cbranch_execz .LBB58_42
; %bb.41:                               ;   in Loop: Header=BB58_2 Depth=1
	ds_load_u8 v44, v45 offset:1
	s_wait_dscnt 0x1
	v_mov_b32_e32 v43, v41
.LBB58_42:                              ;   in Loop: Header=BB58_2 Depth=1
	s_or_b32 exec_lo, exec_lo, s7
	v_add_nc_u32_e32 v47, 1, v46
	v_add_nc_u32_e32 v49, 1, v45
	s_wait_dscnt 0x0
	v_bfe_i32 v50, v43, 0, 8
	s_delay_alu instid0(VALU_DEP_3) | instskip(SKIP_2) | instid1(VALU_DEP_3)
	v_cndmask_b32_e64 v48, v47, v46, s6
	v_bfe_i32 v46, v44, 0, 8
	v_cndmask_b32_e64 v47, v45, v49, s6
                                        ; implicit-def: $vgpr45
	v_cmp_ge_i32_e64 s7, v48, v13
	s_delay_alu instid0(VALU_DEP_3) | instskip(NEXT) | instid1(VALU_DEP_3)
	v_cmp_lt_i16_e64 s8, v46, v50
	v_cmp_lt_i32_e64 s9, v47, v14
	s_or_b32 s7, s7, s8
	s_wait_alu 0xfffe
	s_and_b32 s7, s9, s7
	s_wait_alu 0xfffe
	s_xor_b32 s8, s7, -1
	s_wait_alu 0xfffe
	s_and_saveexec_b32 s9, s8
	s_wait_alu 0xfffe
	s_xor_b32 s8, exec_lo, s9
; %bb.43:                               ;   in Loop: Header=BB58_2 Depth=1
	ds_load_u8 v45, v48 offset:1
; %bb.44:                               ;   in Loop: Header=BB58_2 Depth=1
	s_wait_alu 0xfffe
	s_or_saveexec_b32 s8, s8
	v_mov_b32_e32 v46, v44
	s_wait_alu 0xfffe
	s_xor_b32 exec_lo, exec_lo, s8
	s_cbranch_execz .LBB58_46
; %bb.45:                               ;   in Loop: Header=BB58_2 Depth=1
	ds_load_u8 v46, v47 offset:1
	s_wait_dscnt 0x1
	v_mov_b32_e32 v45, v43
.LBB58_46:                              ;   in Loop: Header=BB58_2 Depth=1
	s_or_b32 exec_lo, exec_lo, s8
	v_add_nc_u32_e32 v49, 1, v48
	v_add_nc_u32_e32 v51, 1, v47
	s_wait_dscnt 0x0
	v_bfe_i32 v52, v45, 0, 8
	s_delay_alu instid0(VALU_DEP_3) | instskip(SKIP_2) | instid1(VALU_DEP_3)
	v_cndmask_b32_e64 v50, v49, v48, s7
	v_bfe_i32 v48, v46, 0, 8
	v_cndmask_b32_e64 v49, v47, v51, s7
                                        ; implicit-def: $vgpr47
	v_cmp_ge_i32_e64 s8, v50, v13
	s_delay_alu instid0(VALU_DEP_3) | instskip(NEXT) | instid1(VALU_DEP_3)
	v_cmp_lt_i16_e64 s9, v48, v52
	v_cmp_lt_i32_e64 s10, v49, v14
	s_or_b32 s8, s8, s9
	s_wait_alu 0xfffe
	s_and_b32 s8, s10, s8
	s_wait_alu 0xfffe
	s_xor_b32 s9, s8, -1
	s_wait_alu 0xfffe
	s_and_saveexec_b32 s10, s9
	s_wait_alu 0xfffe
	s_xor_b32 s9, exec_lo, s10
; %bb.47:                               ;   in Loop: Header=BB58_2 Depth=1
	ds_load_u8 v47, v50 offset:1
; %bb.48:                               ;   in Loop: Header=BB58_2 Depth=1
	s_wait_alu 0xfffe
	s_or_saveexec_b32 s9, s9
	v_mov_b32_e32 v48, v46
	s_wait_alu 0xfffe
	s_xor_b32 exec_lo, exec_lo, s9
	s_cbranch_execz .LBB58_50
; %bb.49:                               ;   in Loop: Header=BB58_2 Depth=1
	ds_load_u8 v48, v49 offset:1
	s_wait_dscnt 0x1
	v_mov_b32_e32 v47, v45
.LBB58_50:                              ;   in Loop: Header=BB58_2 Depth=1
	s_or_b32 exec_lo, exec_lo, s9
	v_add_nc_u32_e32 v51, 1, v50
	v_add_nc_u32_e32 v53, 1, v49
	s_wait_dscnt 0x0
	v_bfe_i32 v54, v47, 0, 8
	s_delay_alu instid0(VALU_DEP_3) | instskip(SKIP_2) | instid1(VALU_DEP_3)
	v_cndmask_b32_e64 v52, v51, v50, s8
	v_bfe_i32 v50, v48, 0, 8
	v_cndmask_b32_e64 v51, v49, v53, s8
                                        ; implicit-def: $vgpr49
	v_cmp_ge_i32_e64 s9, v52, v13
	s_delay_alu instid0(VALU_DEP_3) | instskip(NEXT) | instid1(VALU_DEP_3)
	v_cmp_lt_i16_e64 s10, v50, v54
	v_cmp_lt_i32_e64 s11, v51, v14
	s_or_b32 s9, s9, s10
	s_wait_alu 0xfffe
	s_and_b32 s9, s11, s9
	s_wait_alu 0xfffe
	s_xor_b32 s10, s9, -1
	s_wait_alu 0xfffe
	s_and_saveexec_b32 s11, s10
	s_wait_alu 0xfffe
	s_xor_b32 s10, exec_lo, s11
; %bb.51:                               ;   in Loop: Header=BB58_2 Depth=1
	ds_load_u8 v49, v52 offset:1
; %bb.52:                               ;   in Loop: Header=BB58_2 Depth=1
	s_wait_alu 0xfffe
	s_or_saveexec_b32 s10, s10
	v_mov_b32_e32 v50, v48
	s_wait_alu 0xfffe
	s_xor_b32 exec_lo, exec_lo, s10
	s_cbranch_execz .LBB58_54
; %bb.53:                               ;   in Loop: Header=BB58_2 Depth=1
	ds_load_u8 v50, v51 offset:1
	s_wait_dscnt 0x1
	v_mov_b32_e32 v49, v47
.LBB58_54:                              ;   in Loop: Header=BB58_2 Depth=1
	s_or_b32 exec_lo, exec_lo, s10
	v_add_nc_u32_e32 v53, 1, v52
	v_add_nc_u32_e32 v55, 1, v51
	s_wait_dscnt 0x0
	v_bfe_i32 v56, v49, 0, 8
	s_delay_alu instid0(VALU_DEP_3) | instskip(SKIP_2) | instid1(VALU_DEP_3)
	v_cndmask_b32_e64 v54, v53, v52, s9
	v_bfe_i32 v52, v50, 0, 8
	v_cndmask_b32_e64 v53, v51, v55, s9
                                        ; implicit-def: $vgpr51
	v_cmp_ge_i32_e64 s10, v54, v13
	s_delay_alu instid0(VALU_DEP_3) | instskip(NEXT) | instid1(VALU_DEP_3)
	v_cmp_lt_i16_e64 s11, v52, v56
	v_cmp_lt_i32_e64 s12, v53, v14
	s_or_b32 s10, s10, s11
	s_wait_alu 0xfffe
	s_and_b32 s10, s12, s10
	s_wait_alu 0xfffe
	s_xor_b32 s11, s10, -1
	s_wait_alu 0xfffe
	s_and_saveexec_b32 s12, s11
	s_wait_alu 0xfffe
	s_xor_b32 s11, exec_lo, s12
; %bb.55:                               ;   in Loop: Header=BB58_2 Depth=1
	ds_load_u8 v51, v54 offset:1
; %bb.56:                               ;   in Loop: Header=BB58_2 Depth=1
	s_wait_alu 0xfffe
	s_or_saveexec_b32 s11, s11
	v_mov_b32_e32 v52, v50
	s_wait_alu 0xfffe
	s_xor_b32 exec_lo, exec_lo, s11
	s_cbranch_execz .LBB58_58
; %bb.57:                               ;   in Loop: Header=BB58_2 Depth=1
	ds_load_u8 v52, v53 offset:1
	s_wait_dscnt 0x1
	v_mov_b32_e32 v51, v49
.LBB58_58:                              ;   in Loop: Header=BB58_2 Depth=1
	s_or_b32 exec_lo, exec_lo, s11
	v_add_nc_u32_e32 v55, 1, v54
	v_add_nc_u32_e32 v57, 1, v53
	s_wait_dscnt 0x0
	v_bfe_i32 v58, v51, 0, 8
	s_delay_alu instid0(VALU_DEP_3) | instskip(SKIP_2) | instid1(VALU_DEP_3)
	v_cndmask_b32_e64 v56, v55, v54, s10
	v_bfe_i32 v54, v52, 0, 8
	v_cndmask_b32_e64 v55, v53, v57, s10
                                        ; implicit-def: $vgpr53
	v_cmp_ge_i32_e64 s11, v56, v13
	s_delay_alu instid0(VALU_DEP_3) | instskip(NEXT) | instid1(VALU_DEP_3)
	v_cmp_lt_i16_e64 s12, v54, v58
	v_cmp_lt_i32_e64 s13, v55, v14
	s_or_b32 s11, s11, s12
	s_wait_alu 0xfffe
	s_and_b32 s11, s13, s11
	s_wait_alu 0xfffe
	s_xor_b32 s12, s11, -1
	s_wait_alu 0xfffe
	s_and_saveexec_b32 s13, s12
	s_wait_alu 0xfffe
	s_xor_b32 s12, exec_lo, s13
; %bb.59:                               ;   in Loop: Header=BB58_2 Depth=1
	ds_load_u8 v53, v56 offset:1
; %bb.60:                               ;   in Loop: Header=BB58_2 Depth=1
	s_wait_alu 0xfffe
	s_or_saveexec_b32 s12, s12
	v_mov_b32_e32 v54, v52
	s_wait_alu 0xfffe
	s_xor_b32 exec_lo, exec_lo, s12
	s_cbranch_execz .LBB58_62
; %bb.61:                               ;   in Loop: Header=BB58_2 Depth=1
	ds_load_u8 v54, v55 offset:1
	s_wait_dscnt 0x1
	v_mov_b32_e32 v53, v51
.LBB58_62:                              ;   in Loop: Header=BB58_2 Depth=1
	s_or_b32 exec_lo, exec_lo, s12
	v_add_nc_u32_e32 v57, 1, v56
	v_add_nc_u32_e32 v58, 1, v55
	s_wait_dscnt 0x0
	v_bfe_i32 v59, v53, 0, 8
	v_bfe_i32 v60, v54, 0, 8
	v_cndmask_b32_e64 v57, v57, v56, s11
	v_cndmask_b32_e64 v56, v55, v58, s11
                                        ; implicit-def: $vgpr55
	s_delay_alu instid0(VALU_DEP_3) | instskip(NEXT) | instid1(VALU_DEP_3)
	v_cmp_lt_i16_e64 s13, v60, v59
	v_cmp_ge_i32_e64 s12, v57, v13
	s_delay_alu instid0(VALU_DEP_3)
	v_cmp_lt_i32_e64 s14, v56, v14
	s_or_b32 s12, s12, s13
	s_wait_alu 0xfffe
	s_and_b32 s12, s14, s12
	s_wait_alu 0xfffe
	s_xor_b32 s13, s12, -1
	s_wait_alu 0xfffe
	s_and_saveexec_b32 s14, s13
	s_delay_alu instid0(SALU_CYCLE_1)
	s_xor_b32 s13, exec_lo, s14
; %bb.63:                               ;   in Loop: Header=BB58_2 Depth=1
	ds_load_u8 v55, v57 offset:1
; %bb.64:                               ;   in Loop: Header=BB58_2 Depth=1
	s_wait_alu 0xfffe
	s_or_saveexec_b32 s13, s13
	v_mov_b32_e32 v58, v54
	s_wait_alu 0xfffe
	s_xor_b32 exec_lo, exec_lo, s13
	s_cbranch_execz .LBB58_66
; %bb.65:                               ;   in Loop: Header=BB58_2 Depth=1
	ds_load_u8 v58, v56 offset:1
	s_wait_dscnt 0x1
	v_mov_b32_e32 v55, v53
.LBB58_66:                              ;   in Loop: Header=BB58_2 Depth=1
	s_or_b32 exec_lo, exec_lo, s13
	v_cndmask_b32_e64 v47, v47, v48, s9
	v_cndmask_b32_e64 v43, v43, v44, s7
	;; [unrolled: 1-line block ×4, first 2 shown]
	v_add_nc_u32_e32 v59, 1, v57
	v_lshlrev_b16 v45, 8, v47
	v_lshlrev_b16 v43, 8, v43
	v_and_b32_e32 v41, 0xff, v41
	v_and_b32_e32 v42, 0xff, v42
	v_cndmask_b32_e64 v53, v53, v54, s12
	v_add_nc_u32_e32 v54, 1, v56
	s_wait_dscnt 0x0
	v_bfe_i32 v60, v55, 0, 8
	v_or_b32_e32 v41, v41, v43
	v_or_b32_e32 v42, v42, v45
	v_bfe_i32 v61, v58, 0, 8
	v_cndmask_b32_e64 v57, v59, v57, s12
	v_cndmask_b32_e64 v51, v51, v52, s11
	v_and_b32_e32 v41, 0xffff, v41
	v_lshlrev_b32_e32 v42, 16, v42
	v_cndmask_b32_e64 v49, v49, v50, s10
	v_cmp_lt_i16_e64 s10, v61, v60
	v_cmp_ge_i32_e64 s11, v57, v13
	v_lshlrev_b16 v46, 8, v51
	v_or_b32_e32 v42, v41, v42
	v_mov_b32_e32 v41, v37
	v_cndmask_b32_e64 v52, v56, v54, s12
	s_or_b32 s6, s11, s10
	v_and_b32_e32 v47, 0xff, v49
	v_and_b32_e32 v48, 0xff, v53
	s_wait_loadcnt 0x0
	v_cmp_lt_i32_e64 s9, v52, v14
	s_barrier_signal -1
	v_or_b32_e32 v43, v47, v46
	s_barrier_wait -1
	global_inv scope:SCOPE_SE
	s_wait_alu 0xfffe
	s_and_b32 s6, s9, s6
	s_wait_alu 0xfffe
	v_cndmask_b32_e64 v44, v55, v58, s6
	v_and_b32_e32 v43, 0xffff, v43
	s_delay_alu instid0(VALU_DEP_2) | instskip(NEXT) | instid1(VALU_DEP_1)
	v_lshlrev_b16 v44, 8, v44
	v_or_b32_e32 v44, v48, v44
	s_delay_alu instid0(VALU_DEP_1) | instskip(NEXT) | instid1(VALU_DEP_1)
	v_lshlrev_b32_e32 v44, 16, v44
	v_or_b32_e32 v43, v43, v44
	ds_store_b64 v1, v[42:43]
	s_wait_loadcnt_dscnt 0x0
	s_barrier_signal -1
	s_barrier_wait -1
	global_inv scope:SCOPE_SE
	s_and_saveexec_b32 s7, s2
	s_cbranch_execz .LBB58_70
; %bb.67:                               ;   in Loop: Header=BB58_2 Depth=1
	v_dual_mov_b32 v41, v37 :: v_dual_mov_b32 v42, v31
	s_mov_b32 s8, 0
.LBB58_68:                              ;   Parent Loop BB58_2 Depth=1
                                        ; =>  This Inner Loop Header: Depth=2
	s_delay_alu instid0(VALU_DEP_1) | instskip(NEXT) | instid1(VALU_DEP_1)
	v_sub_nc_u32_e32 v43, v42, v41
	v_lshrrev_b32_e32 v43, 1, v43
	s_delay_alu instid0(VALU_DEP_1) | instskip(NEXT) | instid1(VALU_DEP_1)
	v_add_nc_u32_e32 v43, v43, v41
	v_add_nc_u32_e32 v44, v4, v43
	v_xad_u32 v45, v43, -1, v25
	v_add_nc_u32_e32 v46, 1, v43
	ds_load_i8 v44, v44
	ds_load_i8 v45, v45
	s_wait_dscnt 0x0
	v_cmp_lt_i16_e64 s6, v45, v44
	s_wait_alu 0xf1ff
	s_delay_alu instid0(VALU_DEP_1) | instskip(SKIP_1) | instid1(VALU_DEP_1)
	v_cndmask_b32_e64 v42, v42, v43, s6
	v_cndmask_b32_e64 v41, v46, v41, s6
	v_cmp_ge_i32_e64 s6, v41, v42
	s_wait_alu 0xfffe
	s_or_b32 s8, s6, s8
	s_wait_alu 0xfffe
	s_and_not1_b32 exec_lo, exec_lo, s8
	s_cbranch_execnz .LBB58_68
; %bb.69:                               ;   in Loop: Header=BB58_2 Depth=1
	s_or_b32 exec_lo, exec_lo, s8
.LBB58_70:                              ;   in Loop: Header=BB58_2 Depth=1
	s_wait_alu 0xfffe
	s_or_b32 exec_lo, exec_lo, s7
	v_add_nc_u32_e32 v46, v41, v4
	v_sub_nc_u32_e32 v45, v25, v41
                                        ; implicit-def: $vgpr43
	ds_load_u8 v41, v46
	ds_load_u8 v42, v45
	v_cmp_le_i32_e64 s6, v15, v46
	v_cmp_gt_i32_e64 s8, v16, v45
	s_wait_dscnt 0x1
	v_bfe_i32 v41, v41, 0, 8
	s_wait_dscnt 0x0
	v_bfe_i32 v42, v42, 0, 8
	s_delay_alu instid0(VALU_DEP_1)
	v_cmp_lt_i16_e64 s7, v42, v41
	s_or_b32 s6, s6, s7
	s_wait_alu 0xfffe
	s_and_b32 s6, s8, s6
	s_wait_alu 0xfffe
	s_xor_b32 s7, s6, -1
	s_wait_alu 0xfffe
	s_and_saveexec_b32 s8, s7
	s_wait_alu 0xfffe
	s_xor_b32 s7, exec_lo, s8
; %bb.71:                               ;   in Loop: Header=BB58_2 Depth=1
	ds_load_u8 v43, v46 offset:1
; %bb.72:                               ;   in Loop: Header=BB58_2 Depth=1
	s_wait_alu 0xfffe
	s_or_saveexec_b32 s7, s7
	v_mov_b32_e32 v44, v42
	s_wait_alu 0xfffe
	s_xor_b32 exec_lo, exec_lo, s7
	s_cbranch_execz .LBB58_74
; %bb.73:                               ;   in Loop: Header=BB58_2 Depth=1
	ds_load_u8 v44, v45 offset:1
	s_wait_dscnt 0x1
	v_mov_b32_e32 v43, v41
.LBB58_74:                              ;   in Loop: Header=BB58_2 Depth=1
	s_or_b32 exec_lo, exec_lo, s7
	v_add_nc_u32_e32 v47, 1, v46
	v_add_nc_u32_e32 v49, 1, v45
	s_wait_dscnt 0x0
	v_bfe_i32 v50, v43, 0, 8
	s_delay_alu instid0(VALU_DEP_3) | instskip(SKIP_2) | instid1(VALU_DEP_3)
	v_cndmask_b32_e64 v48, v47, v46, s6
	v_bfe_i32 v46, v44, 0, 8
	v_cndmask_b32_e64 v47, v45, v49, s6
                                        ; implicit-def: $vgpr45
	v_cmp_ge_i32_e64 s7, v48, v15
	s_delay_alu instid0(VALU_DEP_3) | instskip(NEXT) | instid1(VALU_DEP_3)
	v_cmp_lt_i16_e64 s8, v46, v50
	v_cmp_lt_i32_e64 s9, v47, v16
	s_or_b32 s7, s7, s8
	s_wait_alu 0xfffe
	s_and_b32 s7, s9, s7
	s_wait_alu 0xfffe
	s_xor_b32 s8, s7, -1
	s_wait_alu 0xfffe
	s_and_saveexec_b32 s9, s8
	s_wait_alu 0xfffe
	s_xor_b32 s8, exec_lo, s9
; %bb.75:                               ;   in Loop: Header=BB58_2 Depth=1
	ds_load_u8 v45, v48 offset:1
; %bb.76:                               ;   in Loop: Header=BB58_2 Depth=1
	s_wait_alu 0xfffe
	s_or_saveexec_b32 s8, s8
	v_mov_b32_e32 v46, v44
	s_wait_alu 0xfffe
	s_xor_b32 exec_lo, exec_lo, s8
	s_cbranch_execz .LBB58_78
; %bb.77:                               ;   in Loop: Header=BB58_2 Depth=1
	ds_load_u8 v46, v47 offset:1
	s_wait_dscnt 0x1
	v_mov_b32_e32 v45, v43
.LBB58_78:                              ;   in Loop: Header=BB58_2 Depth=1
	s_or_b32 exec_lo, exec_lo, s8
	v_add_nc_u32_e32 v49, 1, v48
	v_add_nc_u32_e32 v51, 1, v47
	s_wait_dscnt 0x0
	v_bfe_i32 v52, v45, 0, 8
	s_delay_alu instid0(VALU_DEP_3) | instskip(SKIP_2) | instid1(VALU_DEP_3)
	v_cndmask_b32_e64 v50, v49, v48, s7
	v_bfe_i32 v48, v46, 0, 8
	v_cndmask_b32_e64 v49, v47, v51, s7
                                        ; implicit-def: $vgpr47
	v_cmp_ge_i32_e64 s8, v50, v15
	s_delay_alu instid0(VALU_DEP_3) | instskip(NEXT) | instid1(VALU_DEP_3)
	v_cmp_lt_i16_e64 s9, v48, v52
	v_cmp_lt_i32_e64 s10, v49, v16
	s_or_b32 s8, s8, s9
	s_wait_alu 0xfffe
	s_and_b32 s8, s10, s8
	s_wait_alu 0xfffe
	s_xor_b32 s9, s8, -1
	s_wait_alu 0xfffe
	s_and_saveexec_b32 s10, s9
	s_wait_alu 0xfffe
	s_xor_b32 s9, exec_lo, s10
; %bb.79:                               ;   in Loop: Header=BB58_2 Depth=1
	ds_load_u8 v47, v50 offset:1
; %bb.80:                               ;   in Loop: Header=BB58_2 Depth=1
	s_wait_alu 0xfffe
	s_or_saveexec_b32 s9, s9
	v_mov_b32_e32 v48, v46
	s_wait_alu 0xfffe
	s_xor_b32 exec_lo, exec_lo, s9
	s_cbranch_execz .LBB58_82
; %bb.81:                               ;   in Loop: Header=BB58_2 Depth=1
	ds_load_u8 v48, v49 offset:1
	s_wait_dscnt 0x1
	v_mov_b32_e32 v47, v45
.LBB58_82:                              ;   in Loop: Header=BB58_2 Depth=1
	s_or_b32 exec_lo, exec_lo, s9
	v_add_nc_u32_e32 v51, 1, v50
	v_add_nc_u32_e32 v53, 1, v49
	s_wait_dscnt 0x0
	v_bfe_i32 v54, v47, 0, 8
	s_delay_alu instid0(VALU_DEP_3) | instskip(SKIP_2) | instid1(VALU_DEP_3)
	v_cndmask_b32_e64 v52, v51, v50, s8
	v_bfe_i32 v50, v48, 0, 8
	v_cndmask_b32_e64 v51, v49, v53, s8
                                        ; implicit-def: $vgpr49
	v_cmp_ge_i32_e64 s9, v52, v15
	s_delay_alu instid0(VALU_DEP_3) | instskip(NEXT) | instid1(VALU_DEP_3)
	v_cmp_lt_i16_e64 s10, v50, v54
	v_cmp_lt_i32_e64 s11, v51, v16
	s_or_b32 s9, s9, s10
	s_wait_alu 0xfffe
	s_and_b32 s9, s11, s9
	s_wait_alu 0xfffe
	s_xor_b32 s10, s9, -1
	s_wait_alu 0xfffe
	s_and_saveexec_b32 s11, s10
	s_wait_alu 0xfffe
	s_xor_b32 s10, exec_lo, s11
; %bb.83:                               ;   in Loop: Header=BB58_2 Depth=1
	ds_load_u8 v49, v52 offset:1
; %bb.84:                               ;   in Loop: Header=BB58_2 Depth=1
	s_wait_alu 0xfffe
	s_or_saveexec_b32 s10, s10
	v_mov_b32_e32 v50, v48
	s_wait_alu 0xfffe
	s_xor_b32 exec_lo, exec_lo, s10
	s_cbranch_execz .LBB58_86
; %bb.85:                               ;   in Loop: Header=BB58_2 Depth=1
	ds_load_u8 v50, v51 offset:1
	s_wait_dscnt 0x1
	v_mov_b32_e32 v49, v47
.LBB58_86:                              ;   in Loop: Header=BB58_2 Depth=1
	s_or_b32 exec_lo, exec_lo, s10
	v_add_nc_u32_e32 v53, 1, v52
	v_add_nc_u32_e32 v55, 1, v51
	s_wait_dscnt 0x0
	v_bfe_i32 v56, v49, 0, 8
	s_delay_alu instid0(VALU_DEP_3) | instskip(SKIP_2) | instid1(VALU_DEP_3)
	v_cndmask_b32_e64 v54, v53, v52, s9
	v_bfe_i32 v52, v50, 0, 8
	v_cndmask_b32_e64 v53, v51, v55, s9
                                        ; implicit-def: $vgpr51
	v_cmp_ge_i32_e64 s10, v54, v15
	s_delay_alu instid0(VALU_DEP_3) | instskip(NEXT) | instid1(VALU_DEP_3)
	v_cmp_lt_i16_e64 s11, v52, v56
	v_cmp_lt_i32_e64 s12, v53, v16
	s_or_b32 s10, s10, s11
	s_wait_alu 0xfffe
	s_and_b32 s10, s12, s10
	s_wait_alu 0xfffe
	s_xor_b32 s11, s10, -1
	s_wait_alu 0xfffe
	s_and_saveexec_b32 s12, s11
	s_wait_alu 0xfffe
	s_xor_b32 s11, exec_lo, s12
; %bb.87:                               ;   in Loop: Header=BB58_2 Depth=1
	ds_load_u8 v51, v54 offset:1
; %bb.88:                               ;   in Loop: Header=BB58_2 Depth=1
	s_wait_alu 0xfffe
	s_or_saveexec_b32 s11, s11
	v_mov_b32_e32 v52, v50
	s_wait_alu 0xfffe
	s_xor_b32 exec_lo, exec_lo, s11
	s_cbranch_execz .LBB58_90
; %bb.89:                               ;   in Loop: Header=BB58_2 Depth=1
	ds_load_u8 v52, v53 offset:1
	s_wait_dscnt 0x1
	v_mov_b32_e32 v51, v49
.LBB58_90:                              ;   in Loop: Header=BB58_2 Depth=1
	s_or_b32 exec_lo, exec_lo, s11
	v_add_nc_u32_e32 v55, 1, v54
	v_add_nc_u32_e32 v57, 1, v53
	s_wait_dscnt 0x0
	v_bfe_i32 v58, v51, 0, 8
	s_delay_alu instid0(VALU_DEP_3) | instskip(SKIP_2) | instid1(VALU_DEP_3)
	v_cndmask_b32_e64 v56, v55, v54, s10
	v_bfe_i32 v54, v52, 0, 8
	v_cndmask_b32_e64 v55, v53, v57, s10
                                        ; implicit-def: $vgpr53
	v_cmp_ge_i32_e64 s11, v56, v15
	s_delay_alu instid0(VALU_DEP_3) | instskip(NEXT) | instid1(VALU_DEP_3)
	v_cmp_lt_i16_e64 s12, v54, v58
	v_cmp_lt_i32_e64 s13, v55, v16
	s_or_b32 s11, s11, s12
	s_wait_alu 0xfffe
	s_and_b32 s11, s13, s11
	s_wait_alu 0xfffe
	s_xor_b32 s12, s11, -1
	s_wait_alu 0xfffe
	s_and_saveexec_b32 s13, s12
	s_wait_alu 0xfffe
	s_xor_b32 s12, exec_lo, s13
; %bb.91:                               ;   in Loop: Header=BB58_2 Depth=1
	ds_load_u8 v53, v56 offset:1
; %bb.92:                               ;   in Loop: Header=BB58_2 Depth=1
	s_wait_alu 0xfffe
	s_or_saveexec_b32 s12, s12
	v_mov_b32_e32 v54, v52
	s_wait_alu 0xfffe
	s_xor_b32 exec_lo, exec_lo, s12
	s_cbranch_execz .LBB58_94
; %bb.93:                               ;   in Loop: Header=BB58_2 Depth=1
	ds_load_u8 v54, v55 offset:1
	s_wait_dscnt 0x1
	v_mov_b32_e32 v53, v51
.LBB58_94:                              ;   in Loop: Header=BB58_2 Depth=1
	s_or_b32 exec_lo, exec_lo, s12
	v_add_nc_u32_e32 v57, 1, v56
	v_add_nc_u32_e32 v58, 1, v55
	s_wait_dscnt 0x0
	v_bfe_i32 v59, v53, 0, 8
	v_bfe_i32 v60, v54, 0, 8
	v_cndmask_b32_e64 v57, v57, v56, s11
	v_cndmask_b32_e64 v56, v55, v58, s11
                                        ; implicit-def: $vgpr55
	s_delay_alu instid0(VALU_DEP_3) | instskip(NEXT) | instid1(VALU_DEP_3)
	v_cmp_lt_i16_e64 s13, v60, v59
	v_cmp_ge_i32_e64 s12, v57, v15
	s_delay_alu instid0(VALU_DEP_3)
	v_cmp_lt_i32_e64 s14, v56, v16
	s_or_b32 s12, s12, s13
	s_wait_alu 0xfffe
	s_and_b32 s12, s14, s12
	s_wait_alu 0xfffe
	s_xor_b32 s13, s12, -1
	s_wait_alu 0xfffe
	s_and_saveexec_b32 s14, s13
	s_delay_alu instid0(SALU_CYCLE_1)
	s_xor_b32 s13, exec_lo, s14
; %bb.95:                               ;   in Loop: Header=BB58_2 Depth=1
	ds_load_u8 v55, v57 offset:1
; %bb.96:                               ;   in Loop: Header=BB58_2 Depth=1
	s_wait_alu 0xfffe
	s_or_saveexec_b32 s13, s13
	v_mov_b32_e32 v58, v54
	s_wait_alu 0xfffe
	s_xor_b32 exec_lo, exec_lo, s13
	s_cbranch_execz .LBB58_98
; %bb.97:                               ;   in Loop: Header=BB58_2 Depth=1
	ds_load_u8 v58, v56 offset:1
	s_wait_dscnt 0x1
	v_mov_b32_e32 v55, v53
.LBB58_98:                              ;   in Loop: Header=BB58_2 Depth=1
	s_or_b32 exec_lo, exec_lo, s13
	v_cndmask_b32_e64 v47, v47, v48, s9
	v_cndmask_b32_e64 v43, v43, v44, s7
	v_cndmask_b32_e64 v41, v41, v42, s6
	v_cndmask_b32_e64 v42, v45, v46, s8
	v_add_nc_u32_e32 v59, 1, v57
	v_lshlrev_b16 v45, 8, v47
	v_lshlrev_b16 v43, 8, v43
	v_and_b32_e32 v41, 0xff, v41
	v_and_b32_e32 v42, 0xff, v42
	v_cndmask_b32_e64 v53, v53, v54, s12
	v_add_nc_u32_e32 v54, 1, v56
	s_wait_dscnt 0x0
	v_bfe_i32 v60, v55, 0, 8
	v_or_b32_e32 v41, v41, v43
	v_or_b32_e32 v42, v42, v45
	v_bfe_i32 v61, v58, 0, 8
	v_cndmask_b32_e64 v57, v59, v57, s12
	v_cndmask_b32_e64 v51, v51, v52, s11
	v_and_b32_e32 v41, 0xffff, v41
	v_lshlrev_b32_e32 v42, 16, v42
	v_cndmask_b32_e64 v49, v49, v50, s10
	v_cmp_lt_i16_e64 s10, v61, v60
	v_cmp_ge_i32_e64 s11, v57, v15
	v_lshlrev_b16 v46, 8, v51
	v_or_b32_e32 v42, v41, v42
	v_mov_b32_e32 v41, v38
	v_cndmask_b32_e64 v52, v56, v54, s12
	s_or_b32 s6, s11, s10
	v_and_b32_e32 v47, 0xff, v49
	v_and_b32_e32 v48, 0xff, v53
	s_wait_loadcnt 0x0
	v_cmp_lt_i32_e64 s9, v52, v16
	s_barrier_signal -1
	v_or_b32_e32 v43, v47, v46
	s_barrier_wait -1
	global_inv scope:SCOPE_SE
	s_wait_alu 0xfffe
	s_and_b32 s6, s9, s6
	s_wait_alu 0xfffe
	v_cndmask_b32_e64 v44, v55, v58, s6
	v_and_b32_e32 v43, 0xffff, v43
	s_delay_alu instid0(VALU_DEP_2) | instskip(NEXT) | instid1(VALU_DEP_1)
	v_lshlrev_b16 v44, 8, v44
	v_or_b32_e32 v44, v48, v44
	s_delay_alu instid0(VALU_DEP_1) | instskip(NEXT) | instid1(VALU_DEP_1)
	v_lshlrev_b32_e32 v44, 16, v44
	v_or_b32_e32 v43, v43, v44
	ds_store_b64 v1, v[42:43]
	s_wait_loadcnt_dscnt 0x0
	s_barrier_signal -1
	s_barrier_wait -1
	global_inv scope:SCOPE_SE
	s_and_saveexec_b32 s7, s3
	s_cbranch_execz .LBB58_102
; %bb.99:                               ;   in Loop: Header=BB58_2 Depth=1
	v_dual_mov_b32 v41, v38 :: v_dual_mov_b32 v42, v32
	s_mov_b32 s8, 0
.LBB58_100:                             ;   Parent Loop BB58_2 Depth=1
                                        ; =>  This Inner Loop Header: Depth=2
	s_delay_alu instid0(VALU_DEP_1) | instskip(NEXT) | instid1(VALU_DEP_1)
	v_sub_nc_u32_e32 v43, v42, v41
	v_lshrrev_b32_e32 v43, 1, v43
	s_delay_alu instid0(VALU_DEP_1) | instskip(NEXT) | instid1(VALU_DEP_1)
	v_add_nc_u32_e32 v43, v43, v41
	v_add_nc_u32_e32 v44, v5, v43
	v_xad_u32 v45, v43, -1, v26
	v_add_nc_u32_e32 v46, 1, v43
	ds_load_i8 v44, v44
	ds_load_i8 v45, v45
	s_wait_dscnt 0x0
	v_cmp_lt_i16_e64 s6, v45, v44
	s_wait_alu 0xf1ff
	s_delay_alu instid0(VALU_DEP_1) | instskip(SKIP_1) | instid1(VALU_DEP_1)
	v_cndmask_b32_e64 v42, v42, v43, s6
	v_cndmask_b32_e64 v41, v46, v41, s6
	v_cmp_ge_i32_e64 s6, v41, v42
	s_wait_alu 0xfffe
	s_or_b32 s8, s6, s8
	s_wait_alu 0xfffe
	s_and_not1_b32 exec_lo, exec_lo, s8
	s_cbranch_execnz .LBB58_100
; %bb.101:                              ;   in Loop: Header=BB58_2 Depth=1
	s_or_b32 exec_lo, exec_lo, s8
.LBB58_102:                             ;   in Loop: Header=BB58_2 Depth=1
	s_wait_alu 0xfffe
	s_or_b32 exec_lo, exec_lo, s7
	v_add_nc_u32_e32 v46, v41, v5
	v_sub_nc_u32_e32 v45, v26, v41
                                        ; implicit-def: $vgpr43
	ds_load_u8 v41, v46
	ds_load_u8 v42, v45
	v_cmp_le_i32_e64 s6, v17, v46
	v_cmp_gt_i32_e64 s8, v18, v45
	s_wait_dscnt 0x1
	v_bfe_i32 v41, v41, 0, 8
	s_wait_dscnt 0x0
	v_bfe_i32 v42, v42, 0, 8
	s_delay_alu instid0(VALU_DEP_1)
	v_cmp_lt_i16_e64 s7, v42, v41
	s_or_b32 s6, s6, s7
	s_wait_alu 0xfffe
	s_and_b32 s6, s8, s6
	s_wait_alu 0xfffe
	s_xor_b32 s7, s6, -1
	s_wait_alu 0xfffe
	s_and_saveexec_b32 s8, s7
	s_wait_alu 0xfffe
	s_xor_b32 s7, exec_lo, s8
; %bb.103:                              ;   in Loop: Header=BB58_2 Depth=1
	ds_load_u8 v43, v46 offset:1
; %bb.104:                              ;   in Loop: Header=BB58_2 Depth=1
	s_wait_alu 0xfffe
	s_or_saveexec_b32 s7, s7
	v_mov_b32_e32 v44, v42
	s_wait_alu 0xfffe
	s_xor_b32 exec_lo, exec_lo, s7
	s_cbranch_execz .LBB58_106
; %bb.105:                              ;   in Loop: Header=BB58_2 Depth=1
	ds_load_u8 v44, v45 offset:1
	s_wait_dscnt 0x1
	v_mov_b32_e32 v43, v41
.LBB58_106:                             ;   in Loop: Header=BB58_2 Depth=1
	s_or_b32 exec_lo, exec_lo, s7
	v_add_nc_u32_e32 v47, 1, v46
	v_add_nc_u32_e32 v49, 1, v45
	s_wait_dscnt 0x0
	v_bfe_i32 v50, v43, 0, 8
	s_delay_alu instid0(VALU_DEP_3) | instskip(SKIP_2) | instid1(VALU_DEP_3)
	v_cndmask_b32_e64 v48, v47, v46, s6
	v_bfe_i32 v46, v44, 0, 8
	v_cndmask_b32_e64 v47, v45, v49, s6
                                        ; implicit-def: $vgpr45
	v_cmp_ge_i32_e64 s7, v48, v17
	s_delay_alu instid0(VALU_DEP_3) | instskip(NEXT) | instid1(VALU_DEP_3)
	v_cmp_lt_i16_e64 s8, v46, v50
	v_cmp_lt_i32_e64 s9, v47, v18
	s_or_b32 s7, s7, s8
	s_wait_alu 0xfffe
	s_and_b32 s7, s9, s7
	s_wait_alu 0xfffe
	s_xor_b32 s8, s7, -1
	s_wait_alu 0xfffe
	s_and_saveexec_b32 s9, s8
	s_wait_alu 0xfffe
	s_xor_b32 s8, exec_lo, s9
; %bb.107:                              ;   in Loop: Header=BB58_2 Depth=1
	ds_load_u8 v45, v48 offset:1
; %bb.108:                              ;   in Loop: Header=BB58_2 Depth=1
	s_wait_alu 0xfffe
	s_or_saveexec_b32 s8, s8
	v_mov_b32_e32 v46, v44
	s_wait_alu 0xfffe
	s_xor_b32 exec_lo, exec_lo, s8
	s_cbranch_execz .LBB58_110
; %bb.109:                              ;   in Loop: Header=BB58_2 Depth=1
	ds_load_u8 v46, v47 offset:1
	s_wait_dscnt 0x1
	v_mov_b32_e32 v45, v43
.LBB58_110:                             ;   in Loop: Header=BB58_2 Depth=1
	s_or_b32 exec_lo, exec_lo, s8
	v_add_nc_u32_e32 v49, 1, v48
	v_add_nc_u32_e32 v51, 1, v47
	s_wait_dscnt 0x0
	v_bfe_i32 v52, v45, 0, 8
	s_delay_alu instid0(VALU_DEP_3) | instskip(SKIP_2) | instid1(VALU_DEP_3)
	v_cndmask_b32_e64 v50, v49, v48, s7
	v_bfe_i32 v48, v46, 0, 8
	v_cndmask_b32_e64 v49, v47, v51, s7
                                        ; implicit-def: $vgpr47
	v_cmp_ge_i32_e64 s8, v50, v17
	s_delay_alu instid0(VALU_DEP_3) | instskip(NEXT) | instid1(VALU_DEP_3)
	v_cmp_lt_i16_e64 s9, v48, v52
	v_cmp_lt_i32_e64 s10, v49, v18
	s_or_b32 s8, s8, s9
	s_wait_alu 0xfffe
	s_and_b32 s8, s10, s8
	s_wait_alu 0xfffe
	s_xor_b32 s9, s8, -1
	s_wait_alu 0xfffe
	s_and_saveexec_b32 s10, s9
	s_wait_alu 0xfffe
	s_xor_b32 s9, exec_lo, s10
; %bb.111:                              ;   in Loop: Header=BB58_2 Depth=1
	ds_load_u8 v47, v50 offset:1
; %bb.112:                              ;   in Loop: Header=BB58_2 Depth=1
	s_wait_alu 0xfffe
	s_or_saveexec_b32 s9, s9
	v_mov_b32_e32 v48, v46
	s_wait_alu 0xfffe
	s_xor_b32 exec_lo, exec_lo, s9
	s_cbranch_execz .LBB58_114
; %bb.113:                              ;   in Loop: Header=BB58_2 Depth=1
	ds_load_u8 v48, v49 offset:1
	s_wait_dscnt 0x1
	v_mov_b32_e32 v47, v45
.LBB58_114:                             ;   in Loop: Header=BB58_2 Depth=1
	s_or_b32 exec_lo, exec_lo, s9
	v_add_nc_u32_e32 v51, 1, v50
	v_add_nc_u32_e32 v53, 1, v49
	s_wait_dscnt 0x0
	v_bfe_i32 v54, v47, 0, 8
	s_delay_alu instid0(VALU_DEP_3) | instskip(SKIP_2) | instid1(VALU_DEP_3)
	v_cndmask_b32_e64 v52, v51, v50, s8
	v_bfe_i32 v50, v48, 0, 8
	v_cndmask_b32_e64 v51, v49, v53, s8
                                        ; implicit-def: $vgpr49
	v_cmp_ge_i32_e64 s9, v52, v17
	s_delay_alu instid0(VALU_DEP_3) | instskip(NEXT) | instid1(VALU_DEP_3)
	v_cmp_lt_i16_e64 s10, v50, v54
	v_cmp_lt_i32_e64 s11, v51, v18
	s_or_b32 s9, s9, s10
	s_wait_alu 0xfffe
	s_and_b32 s9, s11, s9
	s_wait_alu 0xfffe
	s_xor_b32 s10, s9, -1
	s_wait_alu 0xfffe
	s_and_saveexec_b32 s11, s10
	s_wait_alu 0xfffe
	s_xor_b32 s10, exec_lo, s11
; %bb.115:                              ;   in Loop: Header=BB58_2 Depth=1
	ds_load_u8 v49, v52 offset:1
; %bb.116:                              ;   in Loop: Header=BB58_2 Depth=1
	s_wait_alu 0xfffe
	s_or_saveexec_b32 s10, s10
	v_mov_b32_e32 v50, v48
	s_wait_alu 0xfffe
	s_xor_b32 exec_lo, exec_lo, s10
	s_cbranch_execz .LBB58_118
; %bb.117:                              ;   in Loop: Header=BB58_2 Depth=1
	ds_load_u8 v50, v51 offset:1
	s_wait_dscnt 0x1
	v_mov_b32_e32 v49, v47
.LBB58_118:                             ;   in Loop: Header=BB58_2 Depth=1
	s_or_b32 exec_lo, exec_lo, s10
	v_add_nc_u32_e32 v53, 1, v52
	v_add_nc_u32_e32 v55, 1, v51
	s_wait_dscnt 0x0
	v_bfe_i32 v56, v49, 0, 8
	s_delay_alu instid0(VALU_DEP_3) | instskip(SKIP_2) | instid1(VALU_DEP_3)
	v_cndmask_b32_e64 v54, v53, v52, s9
	v_bfe_i32 v52, v50, 0, 8
	v_cndmask_b32_e64 v53, v51, v55, s9
                                        ; implicit-def: $vgpr51
	v_cmp_ge_i32_e64 s10, v54, v17
	s_delay_alu instid0(VALU_DEP_3) | instskip(NEXT) | instid1(VALU_DEP_3)
	v_cmp_lt_i16_e64 s11, v52, v56
	v_cmp_lt_i32_e64 s12, v53, v18
	s_or_b32 s10, s10, s11
	s_wait_alu 0xfffe
	s_and_b32 s10, s12, s10
	s_wait_alu 0xfffe
	s_xor_b32 s11, s10, -1
	s_wait_alu 0xfffe
	s_and_saveexec_b32 s12, s11
	s_wait_alu 0xfffe
	s_xor_b32 s11, exec_lo, s12
; %bb.119:                              ;   in Loop: Header=BB58_2 Depth=1
	ds_load_u8 v51, v54 offset:1
; %bb.120:                              ;   in Loop: Header=BB58_2 Depth=1
	s_wait_alu 0xfffe
	s_or_saveexec_b32 s11, s11
	v_mov_b32_e32 v52, v50
	s_wait_alu 0xfffe
	s_xor_b32 exec_lo, exec_lo, s11
	s_cbranch_execz .LBB58_122
; %bb.121:                              ;   in Loop: Header=BB58_2 Depth=1
	ds_load_u8 v52, v53 offset:1
	s_wait_dscnt 0x1
	v_mov_b32_e32 v51, v49
.LBB58_122:                             ;   in Loop: Header=BB58_2 Depth=1
	s_or_b32 exec_lo, exec_lo, s11
	v_add_nc_u32_e32 v55, 1, v54
	v_add_nc_u32_e32 v57, 1, v53
	s_wait_dscnt 0x0
	v_bfe_i32 v58, v51, 0, 8
	s_delay_alu instid0(VALU_DEP_3) | instskip(SKIP_2) | instid1(VALU_DEP_3)
	v_cndmask_b32_e64 v56, v55, v54, s10
	v_bfe_i32 v54, v52, 0, 8
	v_cndmask_b32_e64 v55, v53, v57, s10
                                        ; implicit-def: $vgpr53
	v_cmp_ge_i32_e64 s11, v56, v17
	s_delay_alu instid0(VALU_DEP_3) | instskip(NEXT) | instid1(VALU_DEP_3)
	v_cmp_lt_i16_e64 s12, v54, v58
	v_cmp_lt_i32_e64 s13, v55, v18
	s_or_b32 s11, s11, s12
	s_wait_alu 0xfffe
	s_and_b32 s11, s13, s11
	s_wait_alu 0xfffe
	s_xor_b32 s12, s11, -1
	s_wait_alu 0xfffe
	s_and_saveexec_b32 s13, s12
	s_wait_alu 0xfffe
	s_xor_b32 s12, exec_lo, s13
; %bb.123:                              ;   in Loop: Header=BB58_2 Depth=1
	ds_load_u8 v53, v56 offset:1
; %bb.124:                              ;   in Loop: Header=BB58_2 Depth=1
	s_wait_alu 0xfffe
	s_or_saveexec_b32 s12, s12
	v_mov_b32_e32 v54, v52
	s_wait_alu 0xfffe
	s_xor_b32 exec_lo, exec_lo, s12
	s_cbranch_execz .LBB58_126
; %bb.125:                              ;   in Loop: Header=BB58_2 Depth=1
	ds_load_u8 v54, v55 offset:1
	s_wait_dscnt 0x1
	v_mov_b32_e32 v53, v51
.LBB58_126:                             ;   in Loop: Header=BB58_2 Depth=1
	s_or_b32 exec_lo, exec_lo, s12
	v_add_nc_u32_e32 v57, 1, v56
	v_add_nc_u32_e32 v58, 1, v55
	s_wait_dscnt 0x0
	v_bfe_i32 v59, v53, 0, 8
	v_bfe_i32 v60, v54, 0, 8
	v_cndmask_b32_e64 v57, v57, v56, s11
	v_cndmask_b32_e64 v56, v55, v58, s11
                                        ; implicit-def: $vgpr55
	s_delay_alu instid0(VALU_DEP_3) | instskip(NEXT) | instid1(VALU_DEP_3)
	v_cmp_lt_i16_e64 s13, v60, v59
	v_cmp_ge_i32_e64 s12, v57, v17
	s_delay_alu instid0(VALU_DEP_3)
	v_cmp_lt_i32_e64 s14, v56, v18
	s_or_b32 s12, s12, s13
	s_wait_alu 0xfffe
	s_and_b32 s12, s14, s12
	s_wait_alu 0xfffe
	s_xor_b32 s13, s12, -1
	s_wait_alu 0xfffe
	s_and_saveexec_b32 s14, s13
	s_delay_alu instid0(SALU_CYCLE_1)
	s_xor_b32 s13, exec_lo, s14
; %bb.127:                              ;   in Loop: Header=BB58_2 Depth=1
	ds_load_u8 v55, v57 offset:1
; %bb.128:                              ;   in Loop: Header=BB58_2 Depth=1
	s_wait_alu 0xfffe
	s_or_saveexec_b32 s13, s13
	v_mov_b32_e32 v58, v54
	s_wait_alu 0xfffe
	s_xor_b32 exec_lo, exec_lo, s13
	s_cbranch_execz .LBB58_130
; %bb.129:                              ;   in Loop: Header=BB58_2 Depth=1
	ds_load_u8 v58, v56 offset:1
	s_wait_dscnt 0x1
	v_mov_b32_e32 v55, v53
.LBB58_130:                             ;   in Loop: Header=BB58_2 Depth=1
	s_or_b32 exec_lo, exec_lo, s13
	v_cndmask_b32_e64 v47, v47, v48, s9
	v_cndmask_b32_e64 v43, v43, v44, s7
	;; [unrolled: 1-line block ×4, first 2 shown]
	v_add_nc_u32_e32 v59, 1, v57
	v_lshlrev_b16 v45, 8, v47
	v_lshlrev_b16 v43, 8, v43
	v_and_b32_e32 v41, 0xff, v41
	v_and_b32_e32 v42, 0xff, v42
	v_cndmask_b32_e64 v53, v53, v54, s12
	v_add_nc_u32_e32 v54, 1, v56
	s_wait_dscnt 0x0
	v_bfe_i32 v60, v55, 0, 8
	v_or_b32_e32 v41, v41, v43
	v_or_b32_e32 v42, v42, v45
	v_bfe_i32 v61, v58, 0, 8
	v_cndmask_b32_e64 v57, v59, v57, s12
	v_cndmask_b32_e64 v51, v51, v52, s11
	v_and_b32_e32 v41, 0xffff, v41
	v_lshlrev_b32_e32 v42, 16, v42
	v_cndmask_b32_e64 v49, v49, v50, s10
	v_cmp_lt_i16_e64 s10, v61, v60
	v_cmp_ge_i32_e64 s11, v57, v17
	v_lshlrev_b16 v46, 8, v51
	v_or_b32_e32 v42, v41, v42
	v_mov_b32_e32 v41, v39
	v_cndmask_b32_e64 v52, v56, v54, s12
	s_or_b32 s6, s11, s10
	v_and_b32_e32 v47, 0xff, v49
	v_and_b32_e32 v48, 0xff, v53
	s_wait_loadcnt 0x0
	v_cmp_lt_i32_e64 s9, v52, v18
	s_barrier_signal -1
	v_or_b32_e32 v43, v47, v46
	s_barrier_wait -1
	global_inv scope:SCOPE_SE
	s_wait_alu 0xfffe
	s_and_b32 s6, s9, s6
	s_wait_alu 0xfffe
	v_cndmask_b32_e64 v44, v55, v58, s6
	v_and_b32_e32 v43, 0xffff, v43
	s_delay_alu instid0(VALU_DEP_2) | instskip(NEXT) | instid1(VALU_DEP_1)
	v_lshlrev_b16 v44, 8, v44
	v_or_b32_e32 v44, v48, v44
	s_delay_alu instid0(VALU_DEP_1) | instskip(NEXT) | instid1(VALU_DEP_1)
	v_lshlrev_b32_e32 v44, 16, v44
	v_or_b32_e32 v43, v43, v44
	ds_store_b64 v1, v[42:43]
	s_wait_loadcnt_dscnt 0x0
	s_barrier_signal -1
	s_barrier_wait -1
	global_inv scope:SCOPE_SE
	s_and_saveexec_b32 s7, s4
	s_cbranch_execz .LBB58_134
; %bb.131:                              ;   in Loop: Header=BB58_2 Depth=1
	v_dual_mov_b32 v41, v39 :: v_dual_mov_b32 v42, v33
	s_mov_b32 s8, 0
.LBB58_132:                             ;   Parent Loop BB58_2 Depth=1
                                        ; =>  This Inner Loop Header: Depth=2
	s_delay_alu instid0(VALU_DEP_1) | instskip(NEXT) | instid1(VALU_DEP_1)
	v_sub_nc_u32_e32 v43, v42, v41
	v_lshrrev_b32_e32 v43, 1, v43
	s_delay_alu instid0(VALU_DEP_1) | instskip(NEXT) | instid1(VALU_DEP_1)
	v_add_nc_u32_e32 v43, v43, v41
	v_add_nc_u32_e32 v44, v6, v43
	v_xad_u32 v45, v43, -1, v27
	v_add_nc_u32_e32 v46, 1, v43
	ds_load_i8 v44, v44
	ds_load_i8 v45, v45
	s_wait_dscnt 0x0
	v_cmp_lt_i16_e64 s6, v45, v44
	s_wait_alu 0xf1ff
	s_delay_alu instid0(VALU_DEP_1) | instskip(SKIP_1) | instid1(VALU_DEP_1)
	v_cndmask_b32_e64 v42, v42, v43, s6
	v_cndmask_b32_e64 v41, v46, v41, s6
	v_cmp_ge_i32_e64 s6, v41, v42
	s_wait_alu 0xfffe
	s_or_b32 s8, s6, s8
	s_wait_alu 0xfffe
	s_and_not1_b32 exec_lo, exec_lo, s8
	s_cbranch_execnz .LBB58_132
; %bb.133:                              ;   in Loop: Header=BB58_2 Depth=1
	s_or_b32 exec_lo, exec_lo, s8
.LBB58_134:                             ;   in Loop: Header=BB58_2 Depth=1
	s_wait_alu 0xfffe
	s_or_b32 exec_lo, exec_lo, s7
	v_add_nc_u32_e32 v46, v41, v6
	v_sub_nc_u32_e32 v45, v27, v41
                                        ; implicit-def: $vgpr43
	ds_load_u8 v41, v46
	ds_load_u8 v42, v45
	v_cmp_le_i32_e64 s6, v19, v46
	v_cmp_gt_i32_e64 s8, v20, v45
	s_wait_dscnt 0x1
	v_bfe_i32 v41, v41, 0, 8
	s_wait_dscnt 0x0
	v_bfe_i32 v42, v42, 0, 8
	s_delay_alu instid0(VALU_DEP_1)
	v_cmp_lt_i16_e64 s7, v42, v41
	s_or_b32 s6, s6, s7
	s_wait_alu 0xfffe
	s_and_b32 s6, s8, s6
	s_wait_alu 0xfffe
	s_xor_b32 s7, s6, -1
	s_wait_alu 0xfffe
	s_and_saveexec_b32 s8, s7
	s_wait_alu 0xfffe
	s_xor_b32 s7, exec_lo, s8
; %bb.135:                              ;   in Loop: Header=BB58_2 Depth=1
	ds_load_u8 v43, v46 offset:1
; %bb.136:                              ;   in Loop: Header=BB58_2 Depth=1
	s_wait_alu 0xfffe
	s_or_saveexec_b32 s7, s7
	v_mov_b32_e32 v44, v42
	s_wait_alu 0xfffe
	s_xor_b32 exec_lo, exec_lo, s7
	s_cbranch_execz .LBB58_138
; %bb.137:                              ;   in Loop: Header=BB58_2 Depth=1
	ds_load_u8 v44, v45 offset:1
	s_wait_dscnt 0x1
	v_mov_b32_e32 v43, v41
.LBB58_138:                             ;   in Loop: Header=BB58_2 Depth=1
	s_or_b32 exec_lo, exec_lo, s7
	v_add_nc_u32_e32 v47, 1, v46
	v_add_nc_u32_e32 v49, 1, v45
	s_wait_dscnt 0x0
	v_bfe_i32 v50, v43, 0, 8
	s_delay_alu instid0(VALU_DEP_3) | instskip(SKIP_2) | instid1(VALU_DEP_3)
	v_cndmask_b32_e64 v48, v47, v46, s6
	v_bfe_i32 v46, v44, 0, 8
	v_cndmask_b32_e64 v47, v45, v49, s6
                                        ; implicit-def: $vgpr45
	v_cmp_ge_i32_e64 s7, v48, v19
	s_delay_alu instid0(VALU_DEP_3) | instskip(NEXT) | instid1(VALU_DEP_3)
	v_cmp_lt_i16_e64 s8, v46, v50
	v_cmp_lt_i32_e64 s9, v47, v20
	s_or_b32 s7, s7, s8
	s_wait_alu 0xfffe
	s_and_b32 s7, s9, s7
	s_wait_alu 0xfffe
	s_xor_b32 s8, s7, -1
	s_wait_alu 0xfffe
	s_and_saveexec_b32 s9, s8
	s_wait_alu 0xfffe
	s_xor_b32 s8, exec_lo, s9
; %bb.139:                              ;   in Loop: Header=BB58_2 Depth=1
	ds_load_u8 v45, v48 offset:1
; %bb.140:                              ;   in Loop: Header=BB58_2 Depth=1
	s_wait_alu 0xfffe
	s_or_saveexec_b32 s8, s8
	v_mov_b32_e32 v46, v44
	s_wait_alu 0xfffe
	s_xor_b32 exec_lo, exec_lo, s8
	s_cbranch_execz .LBB58_142
; %bb.141:                              ;   in Loop: Header=BB58_2 Depth=1
	ds_load_u8 v46, v47 offset:1
	s_wait_dscnt 0x1
	v_mov_b32_e32 v45, v43
.LBB58_142:                             ;   in Loop: Header=BB58_2 Depth=1
	s_or_b32 exec_lo, exec_lo, s8
	v_add_nc_u32_e32 v49, 1, v48
	v_add_nc_u32_e32 v51, 1, v47
	s_wait_dscnt 0x0
	v_bfe_i32 v52, v45, 0, 8
	s_delay_alu instid0(VALU_DEP_3) | instskip(SKIP_2) | instid1(VALU_DEP_3)
	v_cndmask_b32_e64 v50, v49, v48, s7
	v_bfe_i32 v48, v46, 0, 8
	v_cndmask_b32_e64 v49, v47, v51, s7
                                        ; implicit-def: $vgpr47
	v_cmp_ge_i32_e64 s8, v50, v19
	s_delay_alu instid0(VALU_DEP_3) | instskip(NEXT) | instid1(VALU_DEP_3)
	v_cmp_lt_i16_e64 s9, v48, v52
	v_cmp_lt_i32_e64 s10, v49, v20
	s_or_b32 s8, s8, s9
	s_wait_alu 0xfffe
	s_and_b32 s8, s10, s8
	s_wait_alu 0xfffe
	s_xor_b32 s9, s8, -1
	s_wait_alu 0xfffe
	s_and_saveexec_b32 s10, s9
	s_wait_alu 0xfffe
	s_xor_b32 s9, exec_lo, s10
; %bb.143:                              ;   in Loop: Header=BB58_2 Depth=1
	ds_load_u8 v47, v50 offset:1
; %bb.144:                              ;   in Loop: Header=BB58_2 Depth=1
	s_wait_alu 0xfffe
	s_or_saveexec_b32 s9, s9
	v_mov_b32_e32 v48, v46
	s_wait_alu 0xfffe
	s_xor_b32 exec_lo, exec_lo, s9
	s_cbranch_execz .LBB58_146
; %bb.145:                              ;   in Loop: Header=BB58_2 Depth=1
	ds_load_u8 v48, v49 offset:1
	s_wait_dscnt 0x1
	v_mov_b32_e32 v47, v45
.LBB58_146:                             ;   in Loop: Header=BB58_2 Depth=1
	s_or_b32 exec_lo, exec_lo, s9
	v_add_nc_u32_e32 v51, 1, v50
	v_add_nc_u32_e32 v53, 1, v49
	s_wait_dscnt 0x0
	v_bfe_i32 v54, v47, 0, 8
	s_delay_alu instid0(VALU_DEP_3) | instskip(SKIP_2) | instid1(VALU_DEP_3)
	v_cndmask_b32_e64 v52, v51, v50, s8
	v_bfe_i32 v50, v48, 0, 8
	v_cndmask_b32_e64 v51, v49, v53, s8
                                        ; implicit-def: $vgpr49
	v_cmp_ge_i32_e64 s9, v52, v19
	s_delay_alu instid0(VALU_DEP_3) | instskip(NEXT) | instid1(VALU_DEP_3)
	v_cmp_lt_i16_e64 s10, v50, v54
	v_cmp_lt_i32_e64 s11, v51, v20
	s_or_b32 s9, s9, s10
	s_wait_alu 0xfffe
	s_and_b32 s9, s11, s9
	s_wait_alu 0xfffe
	s_xor_b32 s10, s9, -1
	s_wait_alu 0xfffe
	s_and_saveexec_b32 s11, s10
	s_wait_alu 0xfffe
	s_xor_b32 s10, exec_lo, s11
; %bb.147:                              ;   in Loop: Header=BB58_2 Depth=1
	ds_load_u8 v49, v52 offset:1
; %bb.148:                              ;   in Loop: Header=BB58_2 Depth=1
	s_wait_alu 0xfffe
	s_or_saveexec_b32 s10, s10
	v_mov_b32_e32 v50, v48
	s_wait_alu 0xfffe
	s_xor_b32 exec_lo, exec_lo, s10
	s_cbranch_execz .LBB58_150
; %bb.149:                              ;   in Loop: Header=BB58_2 Depth=1
	ds_load_u8 v50, v51 offset:1
	s_wait_dscnt 0x1
	v_mov_b32_e32 v49, v47
.LBB58_150:                             ;   in Loop: Header=BB58_2 Depth=1
	s_or_b32 exec_lo, exec_lo, s10
	v_add_nc_u32_e32 v53, 1, v52
	v_add_nc_u32_e32 v55, 1, v51
	s_wait_dscnt 0x0
	v_bfe_i32 v56, v49, 0, 8
	s_delay_alu instid0(VALU_DEP_3) | instskip(SKIP_2) | instid1(VALU_DEP_3)
	v_cndmask_b32_e64 v54, v53, v52, s9
	v_bfe_i32 v52, v50, 0, 8
	v_cndmask_b32_e64 v53, v51, v55, s9
                                        ; implicit-def: $vgpr51
	v_cmp_ge_i32_e64 s10, v54, v19
	s_delay_alu instid0(VALU_DEP_3) | instskip(NEXT) | instid1(VALU_DEP_3)
	v_cmp_lt_i16_e64 s11, v52, v56
	v_cmp_lt_i32_e64 s12, v53, v20
	s_or_b32 s10, s10, s11
	s_wait_alu 0xfffe
	s_and_b32 s10, s12, s10
	s_wait_alu 0xfffe
	s_xor_b32 s11, s10, -1
	s_wait_alu 0xfffe
	s_and_saveexec_b32 s12, s11
	s_wait_alu 0xfffe
	s_xor_b32 s11, exec_lo, s12
; %bb.151:                              ;   in Loop: Header=BB58_2 Depth=1
	ds_load_u8 v51, v54 offset:1
; %bb.152:                              ;   in Loop: Header=BB58_2 Depth=1
	s_wait_alu 0xfffe
	s_or_saveexec_b32 s11, s11
	v_mov_b32_e32 v52, v50
	s_wait_alu 0xfffe
	s_xor_b32 exec_lo, exec_lo, s11
	s_cbranch_execz .LBB58_154
; %bb.153:                              ;   in Loop: Header=BB58_2 Depth=1
	ds_load_u8 v52, v53 offset:1
	s_wait_dscnt 0x1
	v_mov_b32_e32 v51, v49
.LBB58_154:                             ;   in Loop: Header=BB58_2 Depth=1
	s_or_b32 exec_lo, exec_lo, s11
	v_add_nc_u32_e32 v55, 1, v54
	v_add_nc_u32_e32 v57, 1, v53
	s_wait_dscnt 0x0
	v_bfe_i32 v58, v51, 0, 8
	s_delay_alu instid0(VALU_DEP_3) | instskip(SKIP_2) | instid1(VALU_DEP_3)
	v_cndmask_b32_e64 v56, v55, v54, s10
	v_bfe_i32 v54, v52, 0, 8
	v_cndmask_b32_e64 v55, v53, v57, s10
                                        ; implicit-def: $vgpr53
	v_cmp_ge_i32_e64 s11, v56, v19
	s_delay_alu instid0(VALU_DEP_3) | instskip(NEXT) | instid1(VALU_DEP_3)
	v_cmp_lt_i16_e64 s12, v54, v58
	v_cmp_lt_i32_e64 s13, v55, v20
	s_or_b32 s11, s11, s12
	s_wait_alu 0xfffe
	s_and_b32 s11, s13, s11
	s_wait_alu 0xfffe
	s_xor_b32 s12, s11, -1
	s_wait_alu 0xfffe
	s_and_saveexec_b32 s13, s12
	s_wait_alu 0xfffe
	s_xor_b32 s12, exec_lo, s13
; %bb.155:                              ;   in Loop: Header=BB58_2 Depth=1
	ds_load_u8 v53, v56 offset:1
; %bb.156:                              ;   in Loop: Header=BB58_2 Depth=1
	s_wait_alu 0xfffe
	s_or_saveexec_b32 s12, s12
	v_mov_b32_e32 v54, v52
	s_wait_alu 0xfffe
	s_xor_b32 exec_lo, exec_lo, s12
	s_cbranch_execz .LBB58_158
; %bb.157:                              ;   in Loop: Header=BB58_2 Depth=1
	ds_load_u8 v54, v55 offset:1
	s_wait_dscnt 0x1
	v_mov_b32_e32 v53, v51
.LBB58_158:                             ;   in Loop: Header=BB58_2 Depth=1
	s_or_b32 exec_lo, exec_lo, s12
	v_add_nc_u32_e32 v57, 1, v56
	v_add_nc_u32_e32 v58, 1, v55
	s_wait_dscnt 0x0
	v_bfe_i32 v59, v53, 0, 8
	v_bfe_i32 v60, v54, 0, 8
	v_cndmask_b32_e64 v57, v57, v56, s11
	v_cndmask_b32_e64 v56, v55, v58, s11
                                        ; implicit-def: $vgpr55
	s_delay_alu instid0(VALU_DEP_3) | instskip(NEXT) | instid1(VALU_DEP_3)
	v_cmp_lt_i16_e64 s13, v60, v59
	v_cmp_ge_i32_e64 s12, v57, v19
	s_delay_alu instid0(VALU_DEP_3)
	v_cmp_lt_i32_e64 s14, v56, v20
	s_or_b32 s12, s12, s13
	s_wait_alu 0xfffe
	s_and_b32 s12, s14, s12
	s_wait_alu 0xfffe
	s_xor_b32 s13, s12, -1
	s_wait_alu 0xfffe
	s_and_saveexec_b32 s14, s13
	s_delay_alu instid0(SALU_CYCLE_1)
	s_xor_b32 s13, exec_lo, s14
; %bb.159:                              ;   in Loop: Header=BB58_2 Depth=1
	ds_load_u8 v55, v57 offset:1
; %bb.160:                              ;   in Loop: Header=BB58_2 Depth=1
	s_wait_alu 0xfffe
	s_or_saveexec_b32 s13, s13
	v_mov_b32_e32 v58, v54
	s_wait_alu 0xfffe
	s_xor_b32 exec_lo, exec_lo, s13
	s_cbranch_execz .LBB58_162
; %bb.161:                              ;   in Loop: Header=BB58_2 Depth=1
	ds_load_u8 v58, v56 offset:1
	s_wait_dscnt 0x1
	v_mov_b32_e32 v55, v53
.LBB58_162:                             ;   in Loop: Header=BB58_2 Depth=1
	s_or_b32 exec_lo, exec_lo, s13
	v_cndmask_b32_e64 v47, v47, v48, s9
	v_cndmask_b32_e64 v43, v43, v44, s7
	;; [unrolled: 1-line block ×4, first 2 shown]
	v_add_nc_u32_e32 v59, 1, v57
	v_lshlrev_b16 v45, 8, v47
	v_lshlrev_b16 v43, 8, v43
	v_and_b32_e32 v41, 0xff, v41
	v_and_b32_e32 v42, 0xff, v42
	v_cndmask_b32_e64 v53, v53, v54, s12
	v_add_nc_u32_e32 v54, 1, v56
	s_wait_dscnt 0x0
	v_bfe_i32 v60, v55, 0, 8
	v_or_b32_e32 v41, v41, v43
	v_or_b32_e32 v42, v42, v45
	v_bfe_i32 v61, v58, 0, 8
	v_cndmask_b32_e64 v57, v59, v57, s12
	v_cndmask_b32_e64 v51, v51, v52, s11
	v_and_b32_e32 v41, 0xffff, v41
	v_lshlrev_b32_e32 v42, 16, v42
	v_cndmask_b32_e64 v49, v49, v50, s10
	v_cmp_lt_i16_e64 s10, v61, v60
	v_cmp_ge_i32_e64 s11, v57, v19
	v_lshlrev_b16 v46, 8, v51
	v_or_b32_e32 v42, v41, v42
	v_mov_b32_e32 v41, v40
	v_cndmask_b32_e64 v52, v56, v54, s12
	s_or_b32 s6, s11, s10
	v_and_b32_e32 v47, 0xff, v49
	v_and_b32_e32 v48, 0xff, v53
	s_wait_loadcnt 0x0
	v_cmp_lt_i32_e64 s9, v52, v20
	s_barrier_signal -1
	v_or_b32_e32 v43, v47, v46
	s_barrier_wait -1
	global_inv scope:SCOPE_SE
	s_wait_alu 0xfffe
	s_and_b32 s6, s9, s6
	s_wait_alu 0xfffe
	v_cndmask_b32_e64 v44, v55, v58, s6
	v_and_b32_e32 v43, 0xffff, v43
	s_delay_alu instid0(VALU_DEP_2) | instskip(NEXT) | instid1(VALU_DEP_1)
	v_lshlrev_b16 v44, 8, v44
	v_or_b32_e32 v44, v48, v44
	s_delay_alu instid0(VALU_DEP_1) | instskip(NEXT) | instid1(VALU_DEP_1)
	v_lshlrev_b32_e32 v44, 16, v44
	v_or_b32_e32 v43, v43, v44
	ds_store_b64 v1, v[42:43]
	s_wait_loadcnt_dscnt 0x0
	s_barrier_signal -1
	s_barrier_wait -1
	global_inv scope:SCOPE_SE
	s_and_saveexec_b32 s7, s5
	s_cbranch_execz .LBB58_166
; %bb.163:                              ;   in Loop: Header=BB58_2 Depth=1
	v_dual_mov_b32 v41, v40 :: v_dual_mov_b32 v42, v34
	s_mov_b32 s8, 0
.LBB58_164:                             ;   Parent Loop BB58_2 Depth=1
                                        ; =>  This Inner Loop Header: Depth=2
	s_delay_alu instid0(VALU_DEP_1) | instskip(NEXT) | instid1(VALU_DEP_1)
	v_sub_nc_u32_e32 v43, v42, v41
	v_lshrrev_b32_e32 v43, 1, v43
	s_delay_alu instid0(VALU_DEP_1) | instskip(NEXT) | instid1(VALU_DEP_1)
	v_add_nc_u32_e32 v43, v43, v41
	v_add_nc_u32_e32 v44, v7, v43
	v_xad_u32 v45, v43, -1, v28
	v_add_nc_u32_e32 v46, 1, v43
	ds_load_i8 v44, v44
	ds_load_i8 v45, v45
	s_wait_dscnt 0x0
	v_cmp_lt_i16_e64 s6, v45, v44
	s_wait_alu 0xf1ff
	s_delay_alu instid0(VALU_DEP_1) | instskip(SKIP_1) | instid1(VALU_DEP_1)
	v_cndmask_b32_e64 v42, v42, v43, s6
	v_cndmask_b32_e64 v41, v46, v41, s6
	v_cmp_ge_i32_e64 s6, v41, v42
	s_wait_alu 0xfffe
	s_or_b32 s8, s6, s8
	s_wait_alu 0xfffe
	s_and_not1_b32 exec_lo, exec_lo, s8
	s_cbranch_execnz .LBB58_164
; %bb.165:                              ;   in Loop: Header=BB58_2 Depth=1
	s_or_b32 exec_lo, exec_lo, s8
.LBB58_166:                             ;   in Loop: Header=BB58_2 Depth=1
	s_wait_alu 0xfffe
	s_or_b32 exec_lo, exec_lo, s7
	v_add_nc_u32_e32 v46, v41, v7
	v_sub_nc_u32_e32 v45, v28, v41
                                        ; implicit-def: $vgpr43
	ds_load_u8 v41, v46
	ds_load_u8 v42, v45
	v_cmp_le_i32_e64 s6, v21, v46
	v_cmp_gt_i32_e64 s8, v22, v45
	s_wait_dscnt 0x1
	v_bfe_i32 v41, v41, 0, 8
	s_wait_dscnt 0x0
	v_bfe_i32 v42, v42, 0, 8
	s_delay_alu instid0(VALU_DEP_1)
	v_cmp_lt_i16_e64 s7, v42, v41
	s_or_b32 s6, s6, s7
	s_wait_alu 0xfffe
	s_and_b32 s6, s8, s6
	s_wait_alu 0xfffe
	s_xor_b32 s7, s6, -1
	s_wait_alu 0xfffe
	s_and_saveexec_b32 s8, s7
	s_wait_alu 0xfffe
	s_xor_b32 s7, exec_lo, s8
; %bb.167:                              ;   in Loop: Header=BB58_2 Depth=1
	ds_load_u8 v43, v46 offset:1
; %bb.168:                              ;   in Loop: Header=BB58_2 Depth=1
	s_wait_alu 0xfffe
	s_or_saveexec_b32 s7, s7
	v_mov_b32_e32 v44, v42
	s_wait_alu 0xfffe
	s_xor_b32 exec_lo, exec_lo, s7
	s_cbranch_execz .LBB58_170
; %bb.169:                              ;   in Loop: Header=BB58_2 Depth=1
	ds_load_u8 v44, v45 offset:1
	s_wait_dscnt 0x1
	v_mov_b32_e32 v43, v41
.LBB58_170:                             ;   in Loop: Header=BB58_2 Depth=1
	s_or_b32 exec_lo, exec_lo, s7
	v_add_nc_u32_e32 v47, 1, v46
	v_add_nc_u32_e32 v49, 1, v45
	s_wait_dscnt 0x0
	v_bfe_i32 v50, v43, 0, 8
	s_delay_alu instid0(VALU_DEP_3) | instskip(SKIP_2) | instid1(VALU_DEP_3)
	v_cndmask_b32_e64 v48, v47, v46, s6
	v_bfe_i32 v46, v44, 0, 8
	v_cndmask_b32_e64 v47, v45, v49, s6
                                        ; implicit-def: $vgpr45
	v_cmp_ge_i32_e64 s7, v48, v21
	s_delay_alu instid0(VALU_DEP_3) | instskip(NEXT) | instid1(VALU_DEP_3)
	v_cmp_lt_i16_e64 s8, v46, v50
	v_cmp_lt_i32_e64 s9, v47, v22
	s_or_b32 s7, s7, s8
	s_wait_alu 0xfffe
	s_and_b32 s7, s9, s7
	s_wait_alu 0xfffe
	s_xor_b32 s8, s7, -1
	s_wait_alu 0xfffe
	s_and_saveexec_b32 s9, s8
	s_wait_alu 0xfffe
	s_xor_b32 s8, exec_lo, s9
; %bb.171:                              ;   in Loop: Header=BB58_2 Depth=1
	ds_load_u8 v45, v48 offset:1
; %bb.172:                              ;   in Loop: Header=BB58_2 Depth=1
	s_wait_alu 0xfffe
	s_or_saveexec_b32 s8, s8
	v_mov_b32_e32 v46, v44
	s_wait_alu 0xfffe
	s_xor_b32 exec_lo, exec_lo, s8
	s_cbranch_execz .LBB58_174
; %bb.173:                              ;   in Loop: Header=BB58_2 Depth=1
	ds_load_u8 v46, v47 offset:1
	s_wait_dscnt 0x1
	v_mov_b32_e32 v45, v43
.LBB58_174:                             ;   in Loop: Header=BB58_2 Depth=1
	s_or_b32 exec_lo, exec_lo, s8
	v_add_nc_u32_e32 v49, 1, v48
	v_add_nc_u32_e32 v51, 1, v47
	s_wait_dscnt 0x0
	v_bfe_i32 v52, v45, 0, 8
	s_delay_alu instid0(VALU_DEP_3) | instskip(SKIP_2) | instid1(VALU_DEP_3)
	v_cndmask_b32_e64 v50, v49, v48, s7
	v_bfe_i32 v48, v46, 0, 8
	v_cndmask_b32_e64 v49, v47, v51, s7
                                        ; implicit-def: $vgpr47
	v_cmp_ge_i32_e64 s8, v50, v21
	s_delay_alu instid0(VALU_DEP_3) | instskip(NEXT) | instid1(VALU_DEP_3)
	v_cmp_lt_i16_e64 s9, v48, v52
	v_cmp_lt_i32_e64 s10, v49, v22
	s_or_b32 s8, s8, s9
	s_wait_alu 0xfffe
	s_and_b32 s8, s10, s8
	s_wait_alu 0xfffe
	s_xor_b32 s9, s8, -1
	s_wait_alu 0xfffe
	s_and_saveexec_b32 s10, s9
	s_wait_alu 0xfffe
	s_xor_b32 s9, exec_lo, s10
; %bb.175:                              ;   in Loop: Header=BB58_2 Depth=1
	ds_load_u8 v47, v50 offset:1
; %bb.176:                              ;   in Loop: Header=BB58_2 Depth=1
	s_wait_alu 0xfffe
	s_or_saveexec_b32 s9, s9
	v_mov_b32_e32 v48, v46
	s_wait_alu 0xfffe
	s_xor_b32 exec_lo, exec_lo, s9
	s_cbranch_execz .LBB58_178
; %bb.177:                              ;   in Loop: Header=BB58_2 Depth=1
	ds_load_u8 v48, v49 offset:1
	s_wait_dscnt 0x1
	v_mov_b32_e32 v47, v45
.LBB58_178:                             ;   in Loop: Header=BB58_2 Depth=1
	s_or_b32 exec_lo, exec_lo, s9
	v_add_nc_u32_e32 v51, 1, v50
	v_add_nc_u32_e32 v53, 1, v49
	s_wait_dscnt 0x0
	v_bfe_i32 v54, v47, 0, 8
	s_delay_alu instid0(VALU_DEP_3) | instskip(SKIP_2) | instid1(VALU_DEP_3)
	v_cndmask_b32_e64 v52, v51, v50, s8
	v_bfe_i32 v50, v48, 0, 8
	v_cndmask_b32_e64 v51, v49, v53, s8
                                        ; implicit-def: $vgpr49
	v_cmp_ge_i32_e64 s9, v52, v21
	s_delay_alu instid0(VALU_DEP_3) | instskip(NEXT) | instid1(VALU_DEP_3)
	v_cmp_lt_i16_e64 s10, v50, v54
	v_cmp_lt_i32_e64 s11, v51, v22
	s_or_b32 s9, s9, s10
	s_wait_alu 0xfffe
	s_and_b32 s9, s11, s9
	s_wait_alu 0xfffe
	s_xor_b32 s10, s9, -1
	s_wait_alu 0xfffe
	s_and_saveexec_b32 s11, s10
	s_wait_alu 0xfffe
	s_xor_b32 s10, exec_lo, s11
; %bb.179:                              ;   in Loop: Header=BB58_2 Depth=1
	ds_load_u8 v49, v52 offset:1
; %bb.180:                              ;   in Loop: Header=BB58_2 Depth=1
	s_wait_alu 0xfffe
	s_or_saveexec_b32 s10, s10
	v_mov_b32_e32 v50, v48
	s_wait_alu 0xfffe
	s_xor_b32 exec_lo, exec_lo, s10
	s_cbranch_execz .LBB58_182
; %bb.181:                              ;   in Loop: Header=BB58_2 Depth=1
	ds_load_u8 v50, v51 offset:1
	s_wait_dscnt 0x1
	v_mov_b32_e32 v49, v47
.LBB58_182:                             ;   in Loop: Header=BB58_2 Depth=1
	s_or_b32 exec_lo, exec_lo, s10
	v_add_nc_u32_e32 v53, 1, v52
	v_add_nc_u32_e32 v55, 1, v51
	s_wait_dscnt 0x0
	v_bfe_i32 v56, v49, 0, 8
	s_delay_alu instid0(VALU_DEP_3) | instskip(SKIP_2) | instid1(VALU_DEP_3)
	v_cndmask_b32_e64 v54, v53, v52, s9
	v_bfe_i32 v52, v50, 0, 8
	v_cndmask_b32_e64 v53, v51, v55, s9
                                        ; implicit-def: $vgpr51
	v_cmp_ge_i32_e64 s10, v54, v21
	s_delay_alu instid0(VALU_DEP_3) | instskip(NEXT) | instid1(VALU_DEP_3)
	v_cmp_lt_i16_e64 s11, v52, v56
	v_cmp_lt_i32_e64 s12, v53, v22
	s_or_b32 s10, s10, s11
	s_wait_alu 0xfffe
	s_and_b32 s10, s12, s10
	s_wait_alu 0xfffe
	s_xor_b32 s11, s10, -1
	s_wait_alu 0xfffe
	s_and_saveexec_b32 s12, s11
	s_wait_alu 0xfffe
	s_xor_b32 s11, exec_lo, s12
; %bb.183:                              ;   in Loop: Header=BB58_2 Depth=1
	ds_load_u8 v51, v54 offset:1
; %bb.184:                              ;   in Loop: Header=BB58_2 Depth=1
	s_wait_alu 0xfffe
	s_or_saveexec_b32 s11, s11
	v_mov_b32_e32 v52, v50
	s_wait_alu 0xfffe
	s_xor_b32 exec_lo, exec_lo, s11
	s_cbranch_execz .LBB58_186
; %bb.185:                              ;   in Loop: Header=BB58_2 Depth=1
	ds_load_u8 v52, v53 offset:1
	s_wait_dscnt 0x1
	v_mov_b32_e32 v51, v49
.LBB58_186:                             ;   in Loop: Header=BB58_2 Depth=1
	s_or_b32 exec_lo, exec_lo, s11
	v_add_nc_u32_e32 v55, 1, v54
	v_add_nc_u32_e32 v57, 1, v53
	s_wait_dscnt 0x0
	v_bfe_i32 v58, v51, 0, 8
	s_delay_alu instid0(VALU_DEP_3) | instskip(SKIP_2) | instid1(VALU_DEP_3)
	v_cndmask_b32_e64 v56, v55, v54, s10
	v_bfe_i32 v54, v52, 0, 8
	v_cndmask_b32_e64 v55, v53, v57, s10
                                        ; implicit-def: $vgpr53
	v_cmp_ge_i32_e64 s11, v56, v21
	s_delay_alu instid0(VALU_DEP_3) | instskip(NEXT) | instid1(VALU_DEP_3)
	v_cmp_lt_i16_e64 s12, v54, v58
	v_cmp_lt_i32_e64 s13, v55, v22
	s_or_b32 s11, s11, s12
	s_wait_alu 0xfffe
	s_and_b32 s11, s13, s11
	s_wait_alu 0xfffe
	s_xor_b32 s12, s11, -1
	s_wait_alu 0xfffe
	s_and_saveexec_b32 s13, s12
	s_wait_alu 0xfffe
	s_xor_b32 s12, exec_lo, s13
; %bb.187:                              ;   in Loop: Header=BB58_2 Depth=1
	ds_load_u8 v53, v56 offset:1
; %bb.188:                              ;   in Loop: Header=BB58_2 Depth=1
	s_wait_alu 0xfffe
	s_or_saveexec_b32 s12, s12
	v_mov_b32_e32 v54, v52
	s_wait_alu 0xfffe
	s_xor_b32 exec_lo, exec_lo, s12
	s_cbranch_execz .LBB58_190
; %bb.189:                              ;   in Loop: Header=BB58_2 Depth=1
	ds_load_u8 v54, v55 offset:1
	s_wait_dscnt 0x1
	v_mov_b32_e32 v53, v51
.LBB58_190:                             ;   in Loop: Header=BB58_2 Depth=1
	s_or_b32 exec_lo, exec_lo, s12
	v_add_nc_u32_e32 v57, 1, v56
	v_add_nc_u32_e32 v58, 1, v55
	s_wait_dscnt 0x0
	v_bfe_i32 v59, v53, 0, 8
	v_bfe_i32 v60, v54, 0, 8
	v_cndmask_b32_e64 v57, v57, v56, s11
	v_cndmask_b32_e64 v56, v55, v58, s11
                                        ; implicit-def: $vgpr55
	s_delay_alu instid0(VALU_DEP_3) | instskip(NEXT) | instid1(VALU_DEP_3)
	v_cmp_lt_i16_e64 s13, v60, v59
	v_cmp_ge_i32_e64 s12, v57, v21
	s_delay_alu instid0(VALU_DEP_3)
	v_cmp_lt_i32_e64 s14, v56, v22
	s_or_b32 s12, s12, s13
	s_wait_alu 0xfffe
	s_and_b32 s12, s14, s12
	s_wait_alu 0xfffe
	s_xor_b32 s13, s12, -1
	s_wait_alu 0xfffe
	s_and_saveexec_b32 s14, s13
	s_delay_alu instid0(SALU_CYCLE_1)
	s_xor_b32 s13, exec_lo, s14
; %bb.191:                              ;   in Loop: Header=BB58_2 Depth=1
	ds_load_u8 v55, v57 offset:1
; %bb.192:                              ;   in Loop: Header=BB58_2 Depth=1
	s_wait_alu 0xfffe
	s_or_saveexec_b32 s13, s13
	v_mov_b32_e32 v58, v54
	s_wait_alu 0xfffe
	s_xor_b32 exec_lo, exec_lo, s13
	s_cbranch_execz .LBB58_194
; %bb.193:                              ;   in Loop: Header=BB58_2 Depth=1
	ds_load_u8 v58, v56 offset:1
	s_wait_dscnt 0x1
	v_mov_b32_e32 v55, v53
.LBB58_194:                             ;   in Loop: Header=BB58_2 Depth=1
	s_or_b32 exec_lo, exec_lo, s13
	v_cndmask_b32_e64 v47, v47, v48, s9
	v_cndmask_b32_e64 v41, v41, v42, s6
	;; [unrolled: 1-line block ×3, first 2 shown]
	v_add_nc_u32_e32 v59, 1, v57
	v_cndmask_b32_e64 v53, v53, v54, s12
	v_add_nc_u32_e32 v54, 1, v56
	v_lshlrev_b16 v45, 8, v47
	v_and_b32_e32 v42, 0xff, v42
	s_wait_dscnt 0x0
	v_bfe_i32 v60, v55, 0, 8
	v_bfe_i32 v61, v58, 0, 8
	v_cndmask_b32_e64 v57, v59, v57, s12
	v_cndmask_b32_e64 v51, v51, v52, s11
	v_or_b32_e32 v42, v42, v45
	v_mov_b32_e32 v45, v8
	v_cndmask_b32_e64 v52, v56, v54, s12
	v_cndmask_b32_e64 v49, v49, v50, s10
	v_cmp_lt_i16_e64 s10, v61, v60
	v_cmp_ge_i32_e64 s11, v57, v21
	v_cndmask_b32_e64 v43, v43, v44, s7
	v_cmp_lt_i32_e64 s9, v52, v22
	v_and_b32_e32 v41, 0xff, v41
	v_lshlrev_b16 v46, 8, v51
	s_or_b32 s6, s11, s10
	v_lshlrev_b16 v43, 8, v43
	s_wait_alu 0xfffe
	s_and_b32 s6, s9, s6
	v_and_b32_e32 v47, 0xff, v49
	s_wait_alu 0xfffe
	v_cndmask_b32_e64 v44, v55, v58, s6
	v_and_b32_e32 v48, 0xff, v53
	v_or_b32_e32 v41, v41, v43
	v_lshlrev_b32_e32 v42, 16, v42
	v_or_b32_e32 v43, v47, v46
	v_lshlrev_b16 v44, 8, v44
	s_wait_loadcnt 0x0
	v_and_b32_e32 v41, 0xffff, v41
	s_barrier_signal -1
	v_and_b32_e32 v43, 0xffff, v43
	v_or_b32_e32 v44, v48, v44
	s_barrier_wait -1
	v_or_b32_e32 v41, v41, v42
	global_inv scope:SCOPE_SE
	v_lshlrev_b32_e32 v44, 16, v44
	s_delay_alu instid0(VALU_DEP_1)
	v_or_b32_e32 v42, v43, v44
	ds_store_b64 v1, v[41:42]
	s_wait_loadcnt_dscnt 0x0
	s_barrier_signal -1
	s_barrier_wait -1
	global_inv scope:SCOPE_SE
	s_and_saveexec_b32 s7, vcc_lo
	s_cbranch_execz .LBB58_198
; %bb.195:                              ;   in Loop: Header=BB58_2 Depth=1
	v_mov_b32_e32 v45, v8
	v_mov_b32_e32 v41, v9
	s_mov_b32 s8, 0
.LBB58_196:                             ;   Parent Loop BB58_2 Depth=1
                                        ; =>  This Inner Loop Header: Depth=2
	s_delay_alu instid0(VALU_DEP_1) | instskip(NEXT) | instid1(VALU_DEP_1)
	v_sub_nc_u32_e32 v42, v41, v45
	v_lshrrev_b32_e32 v42, 1, v42
	s_delay_alu instid0(VALU_DEP_1) | instskip(NEXT) | instid1(VALU_DEP_1)
	v_add_nc_u32_e32 v42, v42, v45
	v_xad_u32 v43, v42, -1, v10
	v_add_nc_u32_e32 v46, 1, v42
	ds_load_i8 v44, v42
	ds_load_i8 v43, v43
	s_wait_dscnt 0x0
	v_cmp_lt_i16_e64 s6, v43, v44
	s_wait_alu 0xf1ff
	s_delay_alu instid0(VALU_DEP_1) | instskip(SKIP_1) | instid1(VALU_DEP_1)
	v_cndmask_b32_e64 v41, v41, v42, s6
	v_cndmask_b32_e64 v45, v46, v45, s6
	v_cmp_ge_i32_e64 s6, v45, v41
	s_wait_alu 0xfffe
	s_or_b32 s8, s6, s8
	s_wait_alu 0xfffe
	s_and_not1_b32 exec_lo, exec_lo, s8
	s_cbranch_execnz .LBB58_196
; %bb.197:                              ;   in Loop: Header=BB58_2 Depth=1
	s_or_b32 exec_lo, exec_lo, s8
.LBB58_198:                             ;   in Loop: Header=BB58_2 Depth=1
	s_wait_alu 0xfffe
	s_or_b32 exec_lo, exec_lo, s7
	v_sub_nc_u32_e32 v46, v10, v45
	v_cmp_le_i32_e64 s6, 0x200, v45
                                        ; implicit-def: $vgpr43
	ds_load_u8 v41, v45
	ds_load_u8 v42, v46
	v_cmp_gt_i32_e64 s8, 0x400, v46
	s_wait_dscnt 0x1
	v_bfe_i32 v41, v41, 0, 8
	s_wait_dscnt 0x0
	v_bfe_i32 v42, v42, 0, 8
	s_delay_alu instid0(VALU_DEP_1)
	v_cmp_lt_i16_e64 s7, v42, v41
	s_or_b32 s6, s6, s7
	s_wait_alu 0xfffe
	s_and_b32 s6, s8, s6
	s_wait_alu 0xfffe
	s_xor_b32 s7, s6, -1
	s_wait_alu 0xfffe
	s_and_saveexec_b32 s8, s7
	s_wait_alu 0xfffe
	s_xor_b32 s7, exec_lo, s8
; %bb.199:                              ;   in Loop: Header=BB58_2 Depth=1
	ds_load_u8 v43, v45 offset:1
; %bb.200:                              ;   in Loop: Header=BB58_2 Depth=1
	s_wait_alu 0xfffe
	s_or_saveexec_b32 s7, s7
	v_mov_b32_e32 v44, v42
	s_wait_alu 0xfffe
	s_xor_b32 exec_lo, exec_lo, s7
	s_cbranch_execz .LBB58_202
; %bb.201:                              ;   in Loop: Header=BB58_2 Depth=1
	ds_load_u8 v44, v46 offset:1
	s_wait_dscnt 0x1
	v_mov_b32_e32 v43, v41
.LBB58_202:                             ;   in Loop: Header=BB58_2 Depth=1
	s_or_b32 exec_lo, exec_lo, s7
	v_add_nc_u32_e32 v47, 1, v45
	v_add_nc_u32_e32 v49, 1, v46
	s_wait_dscnt 0x0
	v_bfe_i32 v50, v43, 0, 8
	s_delay_alu instid0(VALU_DEP_3) | instskip(SKIP_2) | instid1(VALU_DEP_3)
	v_cndmask_b32_e64 v48, v47, v45, s6
	v_bfe_i32 v45, v44, 0, 8
	v_cndmask_b32_e64 v47, v46, v49, s6
	v_cmp_le_i32_e64 s7, 0x200, v48
	s_delay_alu instid0(VALU_DEP_3) | instskip(NEXT) | instid1(VALU_DEP_3)
	v_cmp_lt_i16_e64 s8, v45, v50
	v_cmp_gt_i32_e64 s9, 0x400, v47
                                        ; implicit-def: $vgpr45
	s_or_b32 s7, s7, s8
	s_wait_alu 0xfffe
	s_and_b32 s7, s9, s7
	s_wait_alu 0xfffe
	s_xor_b32 s8, s7, -1
	s_wait_alu 0xfffe
	s_and_saveexec_b32 s9, s8
	s_wait_alu 0xfffe
	s_xor_b32 s8, exec_lo, s9
; %bb.203:                              ;   in Loop: Header=BB58_2 Depth=1
	ds_load_u8 v45, v48 offset:1
; %bb.204:                              ;   in Loop: Header=BB58_2 Depth=1
	s_wait_alu 0xfffe
	s_or_saveexec_b32 s8, s8
	v_mov_b32_e32 v46, v44
	s_wait_alu 0xfffe
	s_xor_b32 exec_lo, exec_lo, s8
	s_cbranch_execz .LBB58_206
; %bb.205:                              ;   in Loop: Header=BB58_2 Depth=1
	ds_load_u8 v46, v47 offset:1
	s_wait_dscnt 0x1
	v_mov_b32_e32 v45, v43
.LBB58_206:                             ;   in Loop: Header=BB58_2 Depth=1
	s_or_b32 exec_lo, exec_lo, s8
	v_add_nc_u32_e32 v49, 1, v48
	v_add_nc_u32_e32 v51, 1, v47
	s_wait_dscnt 0x0
	v_bfe_i32 v52, v45, 0, 8
	s_delay_alu instid0(VALU_DEP_3) | instskip(SKIP_2) | instid1(VALU_DEP_3)
	v_cndmask_b32_e64 v50, v49, v48, s7
	v_bfe_i32 v48, v46, 0, 8
	v_cndmask_b32_e64 v49, v47, v51, s7
                                        ; implicit-def: $vgpr47
	v_cmp_le_i32_e64 s8, 0x200, v50
	s_delay_alu instid0(VALU_DEP_3) | instskip(NEXT) | instid1(VALU_DEP_3)
	v_cmp_lt_i16_e64 s9, v48, v52
	v_cmp_gt_i32_e64 s10, 0x400, v49
	s_or_b32 s8, s8, s9
	s_wait_alu 0xfffe
	s_and_b32 s8, s10, s8
	s_wait_alu 0xfffe
	s_xor_b32 s9, s8, -1
	s_wait_alu 0xfffe
	s_and_saveexec_b32 s10, s9
	s_wait_alu 0xfffe
	s_xor_b32 s9, exec_lo, s10
; %bb.207:                              ;   in Loop: Header=BB58_2 Depth=1
	ds_load_u8 v47, v50 offset:1
; %bb.208:                              ;   in Loop: Header=BB58_2 Depth=1
	s_wait_alu 0xfffe
	s_or_saveexec_b32 s9, s9
	v_mov_b32_e32 v48, v46
	s_wait_alu 0xfffe
	s_xor_b32 exec_lo, exec_lo, s9
	s_cbranch_execz .LBB58_210
; %bb.209:                              ;   in Loop: Header=BB58_2 Depth=1
	ds_load_u8 v48, v49 offset:1
	s_wait_dscnt 0x1
	v_mov_b32_e32 v47, v45
.LBB58_210:                             ;   in Loop: Header=BB58_2 Depth=1
	s_or_b32 exec_lo, exec_lo, s9
	v_add_nc_u32_e32 v51, 1, v50
	v_add_nc_u32_e32 v53, 1, v49
	s_wait_dscnt 0x0
	v_bfe_i32 v54, v47, 0, 8
	s_delay_alu instid0(VALU_DEP_3) | instskip(SKIP_2) | instid1(VALU_DEP_3)
	v_cndmask_b32_e64 v52, v51, v50, s8
	v_bfe_i32 v50, v48, 0, 8
	v_cndmask_b32_e64 v51, v49, v53, s8
                                        ; implicit-def: $vgpr49
	v_cmp_le_i32_e64 s9, 0x200, v52
	s_delay_alu instid0(VALU_DEP_3) | instskip(NEXT) | instid1(VALU_DEP_3)
	v_cmp_lt_i16_e64 s10, v50, v54
	v_cmp_gt_i32_e64 s11, 0x400, v51
	s_or_b32 s9, s9, s10
	s_wait_alu 0xfffe
	s_and_b32 s9, s11, s9
	s_wait_alu 0xfffe
	s_xor_b32 s10, s9, -1
	s_wait_alu 0xfffe
	s_and_saveexec_b32 s11, s10
	s_wait_alu 0xfffe
	s_xor_b32 s10, exec_lo, s11
; %bb.211:                              ;   in Loop: Header=BB58_2 Depth=1
	ds_load_u8 v49, v52 offset:1
; %bb.212:                              ;   in Loop: Header=BB58_2 Depth=1
	s_wait_alu 0xfffe
	s_or_saveexec_b32 s10, s10
	v_mov_b32_e32 v50, v48
	s_wait_alu 0xfffe
	s_xor_b32 exec_lo, exec_lo, s10
	s_cbranch_execz .LBB58_214
; %bb.213:                              ;   in Loop: Header=BB58_2 Depth=1
	ds_load_u8 v50, v51 offset:1
	s_wait_dscnt 0x1
	v_mov_b32_e32 v49, v47
.LBB58_214:                             ;   in Loop: Header=BB58_2 Depth=1
	s_or_b32 exec_lo, exec_lo, s10
	v_add_nc_u32_e32 v53, 1, v52
	v_add_nc_u32_e32 v55, 1, v51
	s_wait_dscnt 0x0
	v_bfe_i32 v56, v49, 0, 8
	s_delay_alu instid0(VALU_DEP_3) | instskip(SKIP_2) | instid1(VALU_DEP_3)
	v_cndmask_b32_e64 v54, v53, v52, s9
	v_bfe_i32 v52, v50, 0, 8
	v_cndmask_b32_e64 v53, v51, v55, s9
                                        ; implicit-def: $vgpr51
	v_cmp_le_i32_e64 s10, 0x200, v54
	s_delay_alu instid0(VALU_DEP_3) | instskip(NEXT) | instid1(VALU_DEP_3)
	v_cmp_lt_i16_e64 s11, v52, v56
	v_cmp_gt_i32_e64 s12, 0x400, v53
	s_or_b32 s10, s10, s11
	s_wait_alu 0xfffe
	s_and_b32 s10, s12, s10
	s_wait_alu 0xfffe
	s_xor_b32 s11, s10, -1
	s_wait_alu 0xfffe
	s_and_saveexec_b32 s12, s11
	s_wait_alu 0xfffe
	s_xor_b32 s11, exec_lo, s12
; %bb.215:                              ;   in Loop: Header=BB58_2 Depth=1
	ds_load_u8 v51, v54 offset:1
; %bb.216:                              ;   in Loop: Header=BB58_2 Depth=1
	s_wait_alu 0xfffe
	s_or_saveexec_b32 s11, s11
	v_mov_b32_e32 v52, v50
	s_wait_alu 0xfffe
	s_xor_b32 exec_lo, exec_lo, s11
	s_cbranch_execz .LBB58_218
; %bb.217:                              ;   in Loop: Header=BB58_2 Depth=1
	ds_load_u8 v52, v53 offset:1
	s_wait_dscnt 0x1
	v_mov_b32_e32 v51, v49
.LBB58_218:                             ;   in Loop: Header=BB58_2 Depth=1
	s_or_b32 exec_lo, exec_lo, s11
	v_add_nc_u32_e32 v55, 1, v54
	v_add_nc_u32_e32 v57, 1, v53
	s_wait_dscnt 0x0
	v_bfe_i32 v58, v51, 0, 8
	s_delay_alu instid0(VALU_DEP_3) | instskip(SKIP_2) | instid1(VALU_DEP_3)
	v_cndmask_b32_e64 v56, v55, v54, s10
	v_bfe_i32 v54, v52, 0, 8
	v_cndmask_b32_e64 v55, v53, v57, s10
                                        ; implicit-def: $vgpr53
	v_cmp_le_i32_e64 s11, 0x200, v56
	s_delay_alu instid0(VALU_DEP_3) | instskip(NEXT) | instid1(VALU_DEP_3)
	v_cmp_lt_i16_e64 s12, v54, v58
	v_cmp_gt_i32_e64 s13, 0x400, v55
	s_or_b32 s11, s11, s12
	s_wait_alu 0xfffe
	s_and_b32 s11, s13, s11
	s_wait_alu 0xfffe
	s_xor_b32 s12, s11, -1
	s_wait_alu 0xfffe
	s_and_saveexec_b32 s13, s12
	s_wait_alu 0xfffe
	s_xor_b32 s12, exec_lo, s13
; %bb.219:                              ;   in Loop: Header=BB58_2 Depth=1
	ds_load_u8 v53, v56 offset:1
; %bb.220:                              ;   in Loop: Header=BB58_2 Depth=1
	s_wait_alu 0xfffe
	s_or_saveexec_b32 s12, s12
	v_mov_b32_e32 v54, v52
	s_wait_alu 0xfffe
	s_xor_b32 exec_lo, exec_lo, s12
	s_cbranch_execz .LBB58_222
; %bb.221:                              ;   in Loop: Header=BB58_2 Depth=1
	ds_load_u8 v54, v55 offset:1
	s_wait_dscnt 0x1
	v_mov_b32_e32 v53, v51
.LBB58_222:                             ;   in Loop: Header=BB58_2 Depth=1
	s_or_b32 exec_lo, exec_lo, s12
	v_add_nc_u32_e32 v57, 1, v56
	v_add_nc_u32_e32 v58, 1, v55
	s_wait_dscnt 0x0
	v_bfe_i32 v60, v53, 0, 8
	s_delay_alu instid0(VALU_DEP_3) | instskip(SKIP_2) | instid1(VALU_DEP_3)
	v_cndmask_b32_e64 v59, v57, v56, s11
	v_bfe_i32 v56, v54, 0, 8
	v_cndmask_b32_e64 v55, v55, v58, s11
                                        ; implicit-def: $vgpr57
	v_cmp_le_i32_e64 s12, 0x200, v59
	s_delay_alu instid0(VALU_DEP_3) | instskip(NEXT) | instid1(VALU_DEP_3)
	v_cmp_lt_i16_e64 s13, v56, v60
	v_cmp_gt_i32_e64 s14, 0x400, v55
                                        ; implicit-def: $vgpr56
	s_or_b32 s12, s12, s13
	s_wait_alu 0xfffe
	s_and_b32 s12, s14, s12
	s_wait_alu 0xfffe
	s_xor_b32 s13, s12, -1
	s_wait_alu 0xfffe
	s_and_saveexec_b32 s14, s13
	s_delay_alu instid0(SALU_CYCLE_1)
	s_xor_b32 s13, exec_lo, s14
; %bb.223:                              ;   in Loop: Header=BB58_2 Depth=1
	ds_load_u8 v56, v59 offset:1
	v_add_nc_u32_e32 v57, 1, v59
                                        ; implicit-def: $vgpr59
; %bb.224:                              ;   in Loop: Header=BB58_2 Depth=1
	s_wait_alu 0xfffe
	s_or_saveexec_b32 s13, s13
	v_mov_b32_e32 v58, v54
	s_wait_alu 0xfffe
	s_xor_b32 exec_lo, exec_lo, s13
	s_cbranch_execz .LBB58_1
; %bb.225:                              ;   in Loop: Header=BB58_2 Depth=1
	ds_load_u8 v58, v55 offset:1
	s_wait_dscnt 0x1
	v_dual_mov_b32 v56, v53 :: v_dual_add_nc_u32 v55, 1, v55
	v_mov_b32_e32 v57, v59
	s_branch .LBB58_1
.LBB58_226:
	s_add_nc_u64 s[0:1], s[18:19], s[20:21]
	s_wait_alu 0xfffe
	v_add_co_u32 v0, s0, s0, v0
	s_wait_alu 0xf1ff
	v_add_co_ci_u32_e64 v1, null, s1, 0, s0
	s_clause 0x7
	global_store_b8 v[0:1], v42, off
	global_store_b8 v[0:1], v43, off offset:128
	global_store_b8 v[0:1], v44, off offset:256
	;; [unrolled: 1-line block ×7, first 2 shown]
	s_endpgm
	.section	.rodata,"a",@progbits
	.p2align	6, 0x0
	.amdhsa_kernel _Z16sort_keys_kernelIaLj128ELj8EN10test_utils4lessELj10EEvPKT_PS2_T2_
		.amdhsa_group_segment_fixed_size 1025
		.amdhsa_private_segment_fixed_size 0
		.amdhsa_kernarg_size 20
		.amdhsa_user_sgpr_count 2
		.amdhsa_user_sgpr_dispatch_ptr 0
		.amdhsa_user_sgpr_queue_ptr 0
		.amdhsa_user_sgpr_kernarg_segment_ptr 1
		.amdhsa_user_sgpr_dispatch_id 0
		.amdhsa_user_sgpr_private_segment_size 0
		.amdhsa_wavefront_size32 1
		.amdhsa_uses_dynamic_stack 0
		.amdhsa_enable_private_segment 0
		.amdhsa_system_sgpr_workgroup_id_x 1
		.amdhsa_system_sgpr_workgroup_id_y 0
		.amdhsa_system_sgpr_workgroup_id_z 0
		.amdhsa_system_sgpr_workgroup_info 0
		.amdhsa_system_vgpr_workitem_id 0
		.amdhsa_next_free_vgpr 67
		.amdhsa_next_free_sgpr 22
		.amdhsa_reserve_vcc 1
		.amdhsa_float_round_mode_32 0
		.amdhsa_float_round_mode_16_64 0
		.amdhsa_float_denorm_mode_32 3
		.amdhsa_float_denorm_mode_16_64 3
		.amdhsa_fp16_overflow 0
		.amdhsa_workgroup_processor_mode 1
		.amdhsa_memory_ordered 1
		.amdhsa_forward_progress 1
		.amdhsa_inst_pref_size 114
		.amdhsa_round_robin_scheduling 0
		.amdhsa_exception_fp_ieee_invalid_op 0
		.amdhsa_exception_fp_denorm_src 0
		.amdhsa_exception_fp_ieee_div_zero 0
		.amdhsa_exception_fp_ieee_overflow 0
		.amdhsa_exception_fp_ieee_underflow 0
		.amdhsa_exception_fp_ieee_inexact 0
		.amdhsa_exception_int_div_zero 0
	.end_amdhsa_kernel
	.section	.text._Z16sort_keys_kernelIaLj128ELj8EN10test_utils4lessELj10EEvPKT_PS2_T2_,"axG",@progbits,_Z16sort_keys_kernelIaLj128ELj8EN10test_utils4lessELj10EEvPKT_PS2_T2_,comdat
.Lfunc_end58:
	.size	_Z16sort_keys_kernelIaLj128ELj8EN10test_utils4lessELj10EEvPKT_PS2_T2_, .Lfunc_end58-_Z16sort_keys_kernelIaLj128ELj8EN10test_utils4lessELj10EEvPKT_PS2_T2_
                                        ; -- End function
	.set _Z16sort_keys_kernelIaLj128ELj8EN10test_utils4lessELj10EEvPKT_PS2_T2_.num_vgpr, 67
	.set _Z16sort_keys_kernelIaLj128ELj8EN10test_utils4lessELj10EEvPKT_PS2_T2_.num_agpr, 0
	.set _Z16sort_keys_kernelIaLj128ELj8EN10test_utils4lessELj10EEvPKT_PS2_T2_.numbered_sgpr, 22
	.set _Z16sort_keys_kernelIaLj128ELj8EN10test_utils4lessELj10EEvPKT_PS2_T2_.num_named_barrier, 0
	.set _Z16sort_keys_kernelIaLj128ELj8EN10test_utils4lessELj10EEvPKT_PS2_T2_.private_seg_size, 0
	.set _Z16sort_keys_kernelIaLj128ELj8EN10test_utils4lessELj10EEvPKT_PS2_T2_.uses_vcc, 1
	.set _Z16sort_keys_kernelIaLj128ELj8EN10test_utils4lessELj10EEvPKT_PS2_T2_.uses_flat_scratch, 0
	.set _Z16sort_keys_kernelIaLj128ELj8EN10test_utils4lessELj10EEvPKT_PS2_T2_.has_dyn_sized_stack, 0
	.set _Z16sort_keys_kernelIaLj128ELj8EN10test_utils4lessELj10EEvPKT_PS2_T2_.has_recursion, 0
	.set _Z16sort_keys_kernelIaLj128ELj8EN10test_utils4lessELj10EEvPKT_PS2_T2_.has_indirect_call, 0
	.section	.AMDGPU.csdata,"",@progbits
; Kernel info:
; codeLenInByte = 14572
; TotalNumSgprs: 24
; NumVgprs: 67
; ScratchSize: 0
; MemoryBound: 0
; FloatMode: 240
; IeeeMode: 1
; LDSByteSize: 1025 bytes/workgroup (compile time only)
; SGPRBlocks: 0
; VGPRBlocks: 8
; NumSGPRsForWavesPerEU: 24
; NumVGPRsForWavesPerEU: 67
; Occupancy: 16
; WaveLimiterHint : 1
; COMPUTE_PGM_RSRC2:SCRATCH_EN: 0
; COMPUTE_PGM_RSRC2:USER_SGPR: 2
; COMPUTE_PGM_RSRC2:TRAP_HANDLER: 0
; COMPUTE_PGM_RSRC2:TGID_X_EN: 1
; COMPUTE_PGM_RSRC2:TGID_Y_EN: 0
; COMPUTE_PGM_RSRC2:TGID_Z_EN: 0
; COMPUTE_PGM_RSRC2:TIDIG_COMP_CNT: 0
	.section	.text._Z17sort_pairs_kernelIaLj128ELj8EN10test_utils4lessELj10EEvPKT_PS2_T2_,"axG",@progbits,_Z17sort_pairs_kernelIaLj128ELj8EN10test_utils4lessELj10EEvPKT_PS2_T2_,comdat
	.protected	_Z17sort_pairs_kernelIaLj128ELj8EN10test_utils4lessELj10EEvPKT_PS2_T2_ ; -- Begin function _Z17sort_pairs_kernelIaLj128ELj8EN10test_utils4lessELj10EEvPKT_PS2_T2_
	.globl	_Z17sort_pairs_kernelIaLj128ELj8EN10test_utils4lessELj10EEvPKT_PS2_T2_
	.p2align	8
	.type	_Z17sort_pairs_kernelIaLj128ELj8EN10test_utils4lessELj10EEvPKT_PS2_T2_,@function
_Z17sort_pairs_kernelIaLj128ELj8EN10test_utils4lessELj10EEvPKT_PS2_T2_: ; @_Z17sort_pairs_kernelIaLj128ELj8EN10test_utils4lessELj10EEvPKT_PS2_T2_
; %bb.0:
	s_load_b128 s[44:47], s[0:1], 0x0
	s_lshl_b32 s48, ttmp9, 10
	s_mov_b32 s49, 0
	v_lshlrev_b32_e32 v5, 3, v0
	s_delay_alu instid0(VALU_DEP_1)
	v_and_b32_e32 v6, 0x3f0, v5
	v_and_b32_e32 v7, 0x3e0, v5
	;; [unrolled: 1-line block ×5, first 2 shown]
	v_or_b32_e32 v15, 8, v6
	v_add_nc_u32_e32 v16, 16, v6
	v_or_b32_e32 v17, 16, v7
	v_add_nc_u32_e32 v18, 32, v7
	v_and_b32_e32 v9, 0x380, v5
	v_or_b32_e32 v19, 32, v8
	v_sub_nc_u32_e32 v49, v16, v15
	s_wait_kmcnt 0x0
	s_add_nc_u64 s[0:1], s[44:45], s[48:49]
	v_add_nc_u32_e32 v20, 64, v8
	s_clause 0x7
	global_load_u8 v1, v0, s[0:1]
	global_load_u8 v2, v0, s[0:1] offset:256
	global_load_u8 v3, v0, s[0:1] offset:512
	;; [unrolled: 1-line block ×7, first 2 shown]
	v_sub_nc_u32_e32 v33, v15, v6
	v_sub_nc_u32_e32 v50, v18, v17
	;; [unrolled: 1-line block ×3, first 2 shown]
	v_cmp_ge_i32_e64 s0, v39, v49
	v_and_b32_e32 v41, 56, v5
	v_and_b32_e32 v10, 0x300, v5
	v_or_b32_e32 v21, 64, v9
	v_add_nc_u32_e32 v22, 0x80, v9
	v_add_nc_u32_e32 v27, v15, v39
	v_sub_nc_u32_e32 v34, v17, v7
	v_sub_nc_u32_e32 v51, v20, v19
	v_min_i32_e32 v33, v39, v33
	v_sub_nc_u32_e32 v56, v40, v50
	v_cndmask_b32_e64 v39, 0, v55, s0
	v_cmp_ge_i32_e64 s0, v40, v50
	v_and_b32_e32 v42, 0x78, v5
	v_and_b32_e32 v11, 0x200, v5
	v_or_b32_e32 v23, 0x80, v10
	v_add_nc_u32_e32 v24, 0x100, v10
	v_add_nc_u32_e32 v28, v17, v40
	v_sub_nc_u32_e32 v35, v19, v8
	v_sub_nc_u32_e32 v52, v22, v21
	v_min_i32_e32 v34, v40, v34
	v_sub_nc_u32_e32 v57, v41, v51
	s_wait_alu 0xf1ff
	v_cndmask_b32_e64 v40, 0, v56, s0
	v_cmp_ge_i32_e64 s0, v41, v51
	v_and_b32_e32 v43, 0xf8, v5
	v_or_b32_e32 v25, 0x100, v11
	v_add_nc_u32_e32 v26, 0x200, v11
	v_add_nc_u32_e32 v29, v19, v41
	v_sub_nc_u32_e32 v36, v21, v9
	v_sub_nc_u32_e32 v53, v24, v23
	v_min_i32_e32 v35, v41, v35
	v_sub_nc_u32_e32 v58, v42, v52
	s_wait_alu 0xf1ff
	v_cndmask_b32_e64 v41, 0, v57, s0
	v_cmp_ge_i32_e64 s0, v42, v52
	v_and_b32_e32 v44, 0x1f8, v5
	v_add_nc_u32_e32 v30, v21, v42
	v_sub_nc_u32_e32 v37, v23, v10
	v_sub_nc_u32_e32 v54, v26, v25
	v_min_i32_e32 v36, v42, v36
	v_sub_nc_u32_e32 v59, v43, v53
	s_wait_alu 0xf1ff
	v_cndmask_b32_e64 v42, 0, v58, s0
	v_cmp_ge_i32_e64 s0, v43, v53
	v_add_nc_u32_e32 v31, v23, v43
	v_min_i32_e32 v37, v43, v37
	v_sub_nc_u32_e32 v60, v44, v54
	v_sub_nc_u32_e32 v38, v25, v11
	s_wait_alu 0xf1ff
	v_cndmask_b32_e64 v43, 0, v59, s0
	v_cmp_ge_i32_e64 s0, v44, v54
	v_add_nc_u32_e32 v32, v25, v44
	v_subrev_nc_u32_e64 v12, 0x200, v5 clamp
	v_min_i32_e32 v38, v44, v38
	v_min_i32_e32 v13, 0x200, v5
	s_wait_alu 0xf1ff
	v_cndmask_b32_e64 v44, 0, v60, s0
	v_add_nc_u32_e32 v14, 0x200, v5
	v_cmp_lt_i32_e64 s0, v39, v33
	v_cmp_lt_i32_e64 s1, v40, v34
	;; [unrolled: 1-line block ×6, first 2 shown]
	s_mov_b32 s44, s49
	v_cmp_lt_i32_e32 vcc_lo, v12, v13
	s_wait_loadcnt 0x7
	v_add_nc_u16 v49, v1, 1
	s_wait_loadcnt 0x6
	v_add_nc_u16 v50, v2, 1
	;; [unrolled: 2-line block ×4, first 2 shown]
	s_wait_loadcnt 0x3
	v_perm_b32 v1, v1, v45, 0xc0c0004
	s_wait_loadcnt 0x2
	v_lshlrev_b16 v53, 8, v46
	v_lshlrev_b16 v45, 8, v45
	s_wait_loadcnt 0x1
	v_lshlrev_b16 v54, 8, v47
	s_wait_loadcnt 0x0
	v_lshlrev_b16 v55, 8, v48
	v_and_b32_e32 v49, 0xff, v49
	v_and_b32_e32 v50, 0xff, v50
	;; [unrolled: 1-line block ×4, first 2 shown]
	v_perm_b32 v2, v2, v46, 0xc0c0004
	v_or_b32_e32 v45, v45, v49
	v_or_b32_e32 v46, v53, v50
	;; [unrolled: 1-line block ×4, first 2 shown]
	v_perm_b32 v3, v3, v48, 0xc0c0004
	v_add_nc_u16 v45, 0x100, v45
	v_add_nc_u16 v46, 0x100, v46
	;; [unrolled: 1-line block ×4, first 2 shown]
	v_perm_b32 v4, v4, v47, 0xc0c0004
	v_and_b32_e32 v45, 0xffff, v45
	v_lshlrev_b32_e32 v46, 16, v46
	v_and_b32_e32 v47, 0xffff, v48
	v_lshlrev_b32_e32 v48, 16, v49
	v_lshl_or_b32 v58, v2, 16, v1
	v_lshl_or_b32 v49, v4, 16, v3
	v_or_b32_e32 v1, v45, v46
	s_delay_alu instid0(VALU_DEP_4)
	v_or_b32_e32 v2, v47, v48
	s_branch .LBB59_2
.LBB59_1:                               ;   in Loop: Header=BB59_2 Depth=1
	s_or_b32 exec_lo, exec_lo, s13
	v_cndmask_b32_e64 v57, v57, v59, s8
	v_cndmask_b32_e64 v59, v61, v62, s9
	s_wait_dscnt 0x0
	v_bfe_i32 v61, v79, 0, 8
	v_bfe_i32 v62, v80, 0, 8
	v_cndmask_b32_e64 v71, v51, v52, s6
	v_cndmask_b32_e64 v51, v65, v66, s10
	;; [unrolled: 1-line block ×4, first 2 shown]
	v_cmp_le_i32_e64 s9, 0x200, v78
	v_cmp_lt_i16_e64 s10, v62, v61
	v_cndmask_b32_e64 v49, v49, v50, s6
	v_cmp_gt_i32_e64 s6, 0x400, v75
	v_perm_b32 v46, v46, v47, 0xc0c0004
	v_perm_b32 v45, v48, v45, 0xc0c0004
	;; [unrolled: 1-line block ×4, first 2 shown]
	v_cndmask_b32_e64 v56, v53, v56, s7
	v_cndmask_b32_e64 v54, v54, v55, s7
	s_or_b32 s7, s9, s10
	v_lshl_or_b32 v2, v45, 16, v46
	s_wait_alu 0xfffe
	s_and_b32 s6, s6, s7
	v_lshl_or_b32 v1, v4, 16, v1
	s_wait_alu 0xfffe
	v_cndmask_b32_e64 v47, v78, v75, s6
	v_cndmask_b32_e64 v58, v58, v60, s8
	;; [unrolled: 1-line block ×3, first 2 shown]
	s_wait_loadcnt 0x0
	s_barrier_signal -1
	s_barrier_wait -1
	global_inv scope:SCOPE_SE
	ds_store_b64 v5, v[1:2]
	s_wait_loadcnt_dscnt 0x0
	s_barrier_signal -1
	s_barrier_wait -1
	global_inv scope:SCOPE_SE
	ds_load_u8 v46, v49
	ds_load_u8 v4, v76
	;; [unrolled: 1-line block ×8, first 2 shown]
	v_cndmask_b32_e64 v52, v69, v70, s11
	v_cndmask_b32_e64 v53, v74, v77, s12
	;; [unrolled: 1-line block ×3, first 2 shown]
	v_lshlrev_b16 v1, 8, v56
	v_and_b32_e32 v2, 0xff, v71
	v_lshlrev_b16 v49, 8, v59
	v_and_b32_e32 v58, 0xff, v57
	;; [unrolled: 2-line block ×3, first 2 shown]
	v_and_b32_e32 v62, 0xff, v53
	v_lshlrev_b16 v63, 8, v3
	v_or_b32_e32 v1, v2, v1
	v_or_b32_e32 v2, v58, v49
	;; [unrolled: 1-line block ×3, first 2 shown]
	s_wait_dscnt 0x5
	v_perm_b32 v64, v4, v45, 0xc0c0004
	v_or_b32_e32 v58, v62, v63
	v_and_b32_e32 v1, 0xffff, v1
	v_lshlrev_b32_e32 v2, 16, v2
	v_and_b32_e32 v49, 0xffff, v49
	s_wait_dscnt 0x4
	v_perm_b32 v61, v46, v50, 0xc0c0004
	v_lshlrev_b32_e32 v60, 16, v58
	s_wait_dscnt 0x2
	v_perm_b32 v62, v54, v55, 0xc0c0004
	s_wait_dscnt 0x0
	v_perm_b32 v63, v47, v48, 0xc0c0004
	v_or_b32_e32 v58, v1, v2
	s_add_co_i32 s44, s44, 1
	v_or_b32_e32 v49, v49, v60
	v_lshl_or_b32 v1, v62, 16, v61
	v_lshl_or_b32 v2, v64, 16, v63
	s_cmp_eq_u32 s44, 10
	s_cbranch_scc1 .LBB59_226
.LBB59_2:                               ; =>This Loop Header: Depth=1
                                        ;     Child Loop BB59_4 Depth 2
                                        ;     Child Loop BB59_36 Depth 2
	;; [unrolled: 1-line block ×7, first 2 shown]
	v_lshrrev_b32_e32 v3, 8, v58
	v_bfe_i32 v4, v58, 0, 8
	v_perm_b32 v45, v58, v58, 0x7060405
	v_lshrrev_b32_e32 v47, 8, v49
	v_bfe_i32 v48, v49, 0, 8
	v_bfe_i32 v3, v3, 0, 8
	v_perm_b32 v50, v49, v49, 0x7060405
	s_delay_alu instid0(VALU_DEP_4) | instskip(SKIP_1) | instid1(VALU_DEP_3)
	v_bfe_i32 v47, v47, 0, 8
	s_barrier_signal -1
	v_cmp_lt_i16_e64 s6, v3, v4
	s_barrier_wait -1
	global_inv scope:SCOPE_SE
	v_cmp_lt_i16_e64 s8, v47, v48
	s_wait_alu 0xf1ff
	v_cndmask_b32_e64 v3, v58, v45, s6
	s_delay_alu instid0(VALU_DEP_1) | instskip(SKIP_1) | instid1(VALU_DEP_2)
	v_lshrrev_b32_e32 v4, 16, v3
	v_lshrrev_b32_e32 v46, 24, v3
	v_perm_b32 v45, 0, v4, 0xc0c0001
	s_delay_alu instid0(VALU_DEP_2) | instskip(SKIP_1) | instid1(VALU_DEP_3)
	v_bfe_i32 v46, v46, 0, 8
	v_bfe_i32 v4, v4, 0, 8
	v_lshlrev_b32_e32 v45, 16, v45
	s_delay_alu instid0(VALU_DEP_2) | instskip(SKIP_1) | instid1(VALU_DEP_3)
	v_cmp_lt_i16_e64 s7, v46, v4
	v_cndmask_b32_e64 v4, v49, v50, s8
	v_and_or_b32 v45, 0xffff, v3, v45
	s_delay_alu instid0(VALU_DEP_2) | instskip(SKIP_2) | instid1(VALU_DEP_3)
	v_lshrrev_b32_e32 v47, 24, v4
	v_lshrrev_b32_e32 v48, 16, v4
	s_wait_alu 0xf1ff
	v_cndmask_b32_e64 v3, v3, v45, s7
	v_perm_b32 v50, v4, v4, 0x6070504
	v_bfe_i32 v47, v47, 0, 8
	v_bfe_i32 v48, v48, 0, 8
	s_delay_alu instid0(VALU_DEP_4) | instskip(SKIP_2) | instid1(VALU_DEP_4)
	v_lshrrev_b32_e32 v45, 16, v3
	v_lshrrev_b32_e32 v46, 8, v3
	v_perm_b32 v49, v3, v3, 0x7050604
	v_cmp_lt_i16_e64 s11, v47, v48
	s_delay_alu instid0(VALU_DEP_4) | instskip(NEXT) | instid1(VALU_DEP_4)
	v_bfe_i32 v45, v45, 0, 8
	v_bfe_i32 v46, v46, 0, 8
	s_wait_alu 0xf1ff
	s_delay_alu instid0(VALU_DEP_3) | instskip(NEXT) | instid1(VALU_DEP_2)
	v_cndmask_b32_e64 v4, v4, v50, s11
	v_cmp_lt_i16_e64 s10, v45, v46
	s_delay_alu instid0(VALU_DEP_2) | instskip(SKIP_2) | instid1(VALU_DEP_3)
	v_lshlrev_b16 v46, 8, v4
	v_bfe_i32 v47, v4, 0, 8
	s_wait_alu 0xf1ff
	v_cndmask_b32_e64 v3, v3, v49, s10
	s_delay_alu instid0(VALU_DEP_1) | instskip(NEXT) | instid1(VALU_DEP_1)
	v_lshrrev_b32_e32 v45, 16, v3
	v_and_b32_e32 v45, 0xff, v45
	s_delay_alu instid0(VALU_DEP_1) | instskip(SKIP_1) | instid1(VALU_DEP_2)
	v_or_b32_e32 v45, v45, v46
	v_lshrrev_b32_e32 v46, 24, v3
	v_lshlrev_b32_e32 v45, 16, v45
	s_delay_alu instid0(VALU_DEP_2) | instskip(NEXT) | instid1(VALU_DEP_2)
	v_bfe_i32 v46, v46, 0, 8
	v_and_or_b32 v45, 0xffff, v3, v45
	s_delay_alu instid0(VALU_DEP_2) | instskip(SKIP_1) | instid1(VALU_DEP_1)
	v_cmp_lt_i16_e64 s9, v47, v46
	s_wait_alu 0xf1ff
	v_cndmask_b32_e64 v45, v3, v45, s9
	v_perm_b32 v3, v3, v4, 0x3020107
	s_delay_alu instid0(VALU_DEP_2) | instskip(SKIP_1) | instid1(VALU_DEP_3)
	v_lshrrev_b32_e32 v46, 8, v45
	v_perm_b32 v47, 0, v45, 0xc0c0001
	v_cndmask_b32_e64 v3, v4, v3, s9
	v_bfe_i32 v4, v45, 0, 8
	s_delay_alu instid0(VALU_DEP_4) | instskip(NEXT) | instid1(VALU_DEP_4)
	v_bfe_i32 v46, v46, 0, 8
	v_and_or_b32 v47, 0xffff0000, v45, v47
	s_delay_alu instid0(VALU_DEP_4) | instskip(NEXT) | instid1(VALU_DEP_3)
	v_lshrrev_b32_e32 v48, 16, v3
	v_cmp_lt_i16_e64 s12, v46, v4
	s_delay_alu instid0(VALU_DEP_2) | instskip(SKIP_2) | instid1(VALU_DEP_3)
	v_bfe_i32 v46, v48, 0, 8
	v_perm_b32 v48, v3, v3, 0x7050604
	s_wait_alu 0xf1ff
	v_cndmask_b32_e64 v4, v45, v47, s12
	v_lshrrev_b32_e32 v45, 8, v3
	s_delay_alu instid0(VALU_DEP_2) | instskip(NEXT) | instid1(VALU_DEP_2)
	v_lshrrev_b32_e32 v47, 16, v4
	v_bfe_i32 v45, v45, 0, 8
	s_delay_alu instid0(VALU_DEP_2) | instskip(NEXT) | instid1(VALU_DEP_2)
	v_perm_b32 v49, 0, v47, 0xc0c0001
	v_cmp_lt_i16_e64 s13, v46, v45
	v_lshrrev_b32_e32 v45, 24, v4
	v_bfe_i32 v47, v47, 0, 8
	s_delay_alu instid0(VALU_DEP_4) | instskip(SKIP_3) | instid1(VALU_DEP_3)
	v_lshlrev_b32_e32 v46, 16, v49
	s_wait_alu 0xf1ff
	v_cndmask_b32_e64 v3, v3, v48, s13
	v_bfe_i32 v45, v45, 0, 8
	v_and_or_b32 v46, 0xffff, v4, v46
	s_delay_alu instid0(VALU_DEP_3) | instskip(SKIP_1) | instid1(VALU_DEP_4)
	v_lshrrev_b32_e32 v48, 8, v3
	v_bfe_i32 v49, v3, 0, 8
	v_cmp_lt_i16_e64 s14, v45, v47
	v_perm_b32 v50, v3, v3, 0x7060405
	s_delay_alu instid0(VALU_DEP_4) | instskip(SKIP_1) | instid1(VALU_DEP_3)
	v_bfe_i32 v48, v48, 0, 8
	s_wait_alu 0xf1ff
	v_cndmask_b32_e64 v4, v4, v46, s14
	s_delay_alu instid0(VALU_DEP_2) | instskip(NEXT) | instid1(VALU_DEP_2)
	v_cmp_lt_i16_e64 s15, v48, v49
	v_lshrrev_b32_e32 v45, 16, v4
	v_lshrrev_b32_e32 v46, 8, v4
	v_perm_b32 v49, v4, v4, 0x7050604
	s_wait_alu 0xf1ff
	v_cndmask_b32_e64 v3, v3, v50, s15
	v_bfe_i32 v45, v45, 0, 8
	v_bfe_i32 v46, v46, 0, 8
	s_delay_alu instid0(VALU_DEP_3) | instskip(SKIP_2) | instid1(VALU_DEP_4)
	v_lshrrev_b32_e32 v47, 24, v3
	v_lshrrev_b32_e32 v48, 16, v3
	v_perm_b32 v50, v3, v3, 0x6070504
	v_cmp_lt_i16_e64 s17, v45, v46
	s_delay_alu instid0(VALU_DEP_4) | instskip(NEXT) | instid1(VALU_DEP_4)
	v_bfe_i32 v47, v47, 0, 8
	v_bfe_i32 v48, v48, 0, 8
	s_wait_alu 0xf1ff
	s_delay_alu instid0(VALU_DEP_3) | instskip(NEXT) | instid1(VALU_DEP_2)
	v_cndmask_b32_e64 v4, v4, v49, s17
	v_cmp_lt_i16_e64 s18, v47, v48
	s_delay_alu instid0(VALU_DEP_2) | instskip(SKIP_1) | instid1(VALU_DEP_2)
	v_lshrrev_b32_e32 v45, 16, v4
	s_wait_alu 0xf1ff
	v_cndmask_b32_e64 v3, v3, v50, s18
	s_delay_alu instid0(VALU_DEP_2) | instskip(NEXT) | instid1(VALU_DEP_2)
	v_and_b32_e32 v45, 0xff, v45
	v_lshlrev_b16 v46, 8, v3
	v_bfe_i32 v47, v3, 0, 8
	s_delay_alu instid0(VALU_DEP_2) | instskip(SKIP_1) | instid1(VALU_DEP_2)
	v_or_b32_e32 v45, v45, v46
	v_lshrrev_b32_e32 v46, 24, v4
	v_lshlrev_b32_e32 v45, 16, v45
	s_delay_alu instid0(VALU_DEP_2) | instskip(NEXT) | instid1(VALU_DEP_2)
	v_bfe_i32 v46, v46, 0, 8
	v_and_or_b32 v45, 0xffff, v4, v45
	s_delay_alu instid0(VALU_DEP_2) | instskip(SKIP_1) | instid1(VALU_DEP_1)
	v_cmp_lt_i16_e64 s16, v47, v46
	s_wait_alu 0xf1ff
	v_cndmask_b32_e64 v45, v4, v45, s16
	v_perm_b32 v4, v4, v3, 0x3020107
	s_delay_alu instid0(VALU_DEP_2) | instskip(SKIP_1) | instid1(VALU_DEP_3)
	v_lshrrev_b32_e32 v46, 8, v45
	v_perm_b32 v47, 0, v45, 0xc0c0001
	v_cndmask_b32_e64 v3, v3, v4, s16
	v_bfe_i32 v4, v45, 0, 8
	s_delay_alu instid0(VALU_DEP_4) | instskip(NEXT) | instid1(VALU_DEP_4)
	v_bfe_i32 v46, v46, 0, 8
	v_and_or_b32 v47, 0xffff0000, v45, v47
	s_delay_alu instid0(VALU_DEP_4) | instskip(NEXT) | instid1(VALU_DEP_3)
	v_lshrrev_b32_e32 v48, 16, v3
	v_cmp_lt_i16_e64 s19, v46, v4
	s_delay_alu instid0(VALU_DEP_2) | instskip(SKIP_2) | instid1(VALU_DEP_3)
	v_bfe_i32 v46, v48, 0, 8
	v_perm_b32 v48, v3, v3, 0x7050604
	s_wait_alu 0xf1ff
	v_cndmask_b32_e64 v4, v45, v47, s19
	v_lshrrev_b32_e32 v45, 8, v3
	s_delay_alu instid0(VALU_DEP_2) | instskip(NEXT) | instid1(VALU_DEP_2)
	v_lshrrev_b32_e32 v47, 16, v4
	v_bfe_i32 v45, v45, 0, 8
	s_delay_alu instid0(VALU_DEP_2) | instskip(NEXT) | instid1(VALU_DEP_2)
	v_perm_b32 v49, 0, v47, 0xc0c0001
	v_cmp_lt_i16_e64 s20, v46, v45
	v_lshrrev_b32_e32 v45, 24, v4
	v_bfe_i32 v47, v47, 0, 8
	s_delay_alu instid0(VALU_DEP_4) | instskip(SKIP_3) | instid1(VALU_DEP_3)
	v_lshlrev_b32_e32 v46, 16, v49
	s_wait_alu 0xf1ff
	v_cndmask_b32_e64 v3, v3, v48, s20
	v_bfe_i32 v45, v45, 0, 8
	v_and_or_b32 v46, 0xffff, v4, v46
	s_delay_alu instid0(VALU_DEP_3) | instskip(SKIP_1) | instid1(VALU_DEP_4)
	v_lshrrev_b32_e32 v48, 8, v3
	v_bfe_i32 v49, v3, 0, 8
	v_cmp_lt_i16_e64 s22, v45, v47
	v_perm_b32 v50, v3, v3, 0x7060405
	s_delay_alu instid0(VALU_DEP_4) | instskip(SKIP_1) | instid1(VALU_DEP_3)
	v_bfe_i32 v48, v48, 0, 8
	s_wait_alu 0xf1ff
	v_cndmask_b32_e64 v4, v4, v46, s22
	s_delay_alu instid0(VALU_DEP_2) | instskip(NEXT) | instid1(VALU_DEP_2)
	v_cmp_lt_i16_e64 s23, v48, v49
	v_lshrrev_b32_e32 v45, 16, v4
	v_lshrrev_b32_e32 v46, 8, v4
	v_perm_b32 v49, v4, v4, 0x7050604
	s_wait_alu 0xf1ff
	v_cndmask_b32_e64 v3, v3, v50, s23
	v_bfe_i32 v45, v45, 0, 8
	v_bfe_i32 v46, v46, 0, 8
	s_delay_alu instid0(VALU_DEP_3) | instskip(SKIP_2) | instid1(VALU_DEP_4)
	v_lshrrev_b32_e32 v47, 24, v3
	v_lshrrev_b32_e32 v48, 16, v3
	v_perm_b32 v50, v3, v3, 0x6070504
	v_cmp_lt_i16_e64 s26, v45, v46
	s_delay_alu instid0(VALU_DEP_4) | instskip(NEXT) | instid1(VALU_DEP_4)
	v_bfe_i32 v47, v47, 0, 8
	v_bfe_i32 v48, v48, 0, 8
	s_wait_alu 0xf1ff
	s_delay_alu instid0(VALU_DEP_3) | instskip(NEXT) | instid1(VALU_DEP_2)
	v_cndmask_b32_e64 v4, v4, v49, s26
	v_cmp_lt_i16_e64 s27, v47, v48
	s_delay_alu instid0(VALU_DEP_2) | instskip(SKIP_1) | instid1(VALU_DEP_2)
	v_lshrrev_b32_e32 v45, 16, v4
	s_wait_alu 0xf1ff
	v_cndmask_b32_e64 v3, v3, v50, s27
	s_delay_alu instid0(VALU_DEP_2) | instskip(NEXT) | instid1(VALU_DEP_2)
	v_and_b32_e32 v45, 0xff, v45
	v_lshlrev_b16 v46, 8, v3
	v_bfe_i32 v47, v3, 0, 8
	s_delay_alu instid0(VALU_DEP_2) | instskip(SKIP_1) | instid1(VALU_DEP_2)
	v_or_b32_e32 v45, v45, v46
	v_lshrrev_b32_e32 v46, 24, v4
	v_lshlrev_b32_e32 v45, 16, v45
	s_delay_alu instid0(VALU_DEP_2) | instskip(NEXT) | instid1(VALU_DEP_2)
	v_bfe_i32 v46, v46, 0, 8
	v_and_or_b32 v45, 0xffff, v4, v45
	s_delay_alu instid0(VALU_DEP_2) | instskip(SKIP_1) | instid1(VALU_DEP_1)
	v_cmp_lt_i16_e64 s25, v47, v46
	s_wait_alu 0xf1ff
	v_cndmask_b32_e64 v45, v4, v45, s25
	v_perm_b32 v4, v4, v3, 0x3020107
	s_delay_alu instid0(VALU_DEP_2) | instskip(SKIP_1) | instid1(VALU_DEP_3)
	v_lshrrev_b32_e32 v46, 8, v45
	v_perm_b32 v47, 0, v45, 0xc0c0001
	v_cndmask_b32_e64 v3, v3, v4, s25
	v_bfe_i32 v4, v45, 0, 8
	s_delay_alu instid0(VALU_DEP_4) | instskip(NEXT) | instid1(VALU_DEP_4)
	v_bfe_i32 v46, v46, 0, 8
	v_and_or_b32 v47, 0xffff0000, v45, v47
	s_delay_alu instid0(VALU_DEP_4) | instskip(NEXT) | instid1(VALU_DEP_3)
	v_lshrrev_b32_e32 v48, 16, v3
	v_cmp_lt_i16_e64 s33, v46, v4
	s_delay_alu instid0(VALU_DEP_2) | instskip(SKIP_2) | instid1(VALU_DEP_3)
	v_bfe_i32 v46, v48, 0, 8
	v_perm_b32 v48, v3, v3, 0x7050604
	s_wait_alu 0xf1ff
	v_cndmask_b32_e64 v4, v45, v47, s33
	v_lshrrev_b32_e32 v45, 8, v3
	s_delay_alu instid0(VALU_DEP_2) | instskip(NEXT) | instid1(VALU_DEP_2)
	v_lshrrev_b32_e32 v47, 16, v4
	v_bfe_i32 v45, v45, 0, 8
	s_delay_alu instid0(VALU_DEP_2) | instskip(NEXT) | instid1(VALU_DEP_2)
	v_perm_b32 v49, 0, v47, 0xc0c0001
	v_cmp_lt_i16_e64 s31, v46, v45
	v_lshrrev_b32_e32 v45, 24, v4
	v_bfe_i32 v47, v47, 0, 8
	s_delay_alu instid0(VALU_DEP_4) | instskip(SKIP_3) | instid1(VALU_DEP_3)
	v_lshlrev_b32_e32 v46, 16, v49
	s_wait_alu 0xf1ff
	v_cndmask_b32_e64 v3, v3, v48, s31
	v_bfe_i32 v45, v45, 0, 8
	v_and_or_b32 v46, 0xffff, v4, v46
	s_delay_alu instid0(VALU_DEP_3) | instskip(SKIP_1) | instid1(VALU_DEP_4)
	v_lshrrev_b32_e32 v48, 8, v3
	v_bfe_i32 v49, v3, 0, 8
	v_cmp_lt_i16_e64 s34, v45, v47
	v_perm_b32 v50, v3, v3, 0x7060405
	s_delay_alu instid0(VALU_DEP_4) | instskip(SKIP_1) | instid1(VALU_DEP_3)
	v_bfe_i32 v48, v48, 0, 8
	s_wait_alu 0xf1ff
	v_cndmask_b32_e64 v4, v4, v46, s34
	s_delay_alu instid0(VALU_DEP_2) | instskip(NEXT) | instid1(VALU_DEP_2)
	v_cmp_lt_i16_e64 s28, v48, v49
	v_lshrrev_b32_e32 v45, 16, v4
	v_lshrrev_b32_e32 v46, 8, v4
	v_perm_b32 v49, v4, v4, 0x7050604
	s_wait_alu 0xf1ff
	v_cndmask_b32_e64 v3, v3, v50, s28
	v_bfe_i32 v45, v45, 0, 8
	v_bfe_i32 v46, v46, 0, 8
	s_delay_alu instid0(VALU_DEP_3) | instskip(SKIP_2) | instid1(VALU_DEP_4)
	v_lshrrev_b32_e32 v47, 24, v3
	v_lshrrev_b32_e32 v48, 16, v3
	v_perm_b32 v50, v3, v3, 0x6070504
	v_cmp_lt_i16_e64 s30, v45, v46
	s_delay_alu instid0(VALU_DEP_4) | instskip(NEXT) | instid1(VALU_DEP_4)
	v_bfe_i32 v47, v47, 0, 8
	v_bfe_i32 v48, v48, 0, 8
	s_wait_alu 0xf1ff
	s_delay_alu instid0(VALU_DEP_3) | instskip(NEXT) | instid1(VALU_DEP_2)
	v_cndmask_b32_e64 v4, v4, v49, s30
	v_cmp_lt_i16_e64 s29, v47, v48
	s_wait_alu 0xf1ff
	s_delay_alu instid0(VALU_DEP_1) | instskip(NEXT) | instid1(VALU_DEP_3)
	v_cndmask_b32_e64 v45, v3, v50, s29
	v_lshrrev_b32_e32 v3, 16, v4
	s_delay_alu instid0(VALU_DEP_2) | instskip(NEXT) | instid1(VALU_DEP_2)
	v_lshlrev_b16 v46, 8, v45
	v_and_b32_e32 v3, 0xff, v3
	v_bfe_i32 v47, v45, 0, 8
	v_perm_b32 v48, v4, v45, 0x3020107
	s_delay_alu instid0(VALU_DEP_3) | instskip(SKIP_1) | instid1(VALU_DEP_2)
	v_or_b32_e32 v3, v3, v46
	v_lshrrev_b32_e32 v46, 24, v4
	v_lshlrev_b32_e32 v3, 16, v3
	s_delay_alu instid0(VALU_DEP_2) | instskip(NEXT) | instid1(VALU_DEP_2)
	v_bfe_i32 v46, v46, 0, 8
	v_and_or_b32 v3, 0xffff, v4, v3
	s_delay_alu instid0(VALU_DEP_2) | instskip(SKIP_1) | instid1(VALU_DEP_1)
	v_cmp_lt_i16_e64 s21, v47, v46
	s_wait_alu 0xf1ff
	v_cndmask_b32_e64 v3, v4, v3, s21
	v_cndmask_b32_e64 v4, v45, v48, s21
	s_delay_alu instid0(VALU_DEP_1) | instskip(SKIP_2) | instid1(VALU_DEP_3)
	v_lshrrev_b32_e32 v45, 16, v4
	v_lshrrev_b32_e32 v46, 8, v4
	v_perm_b32 v47, v4, v4, 0x7050604
	v_bfe_i32 v45, v45, 0, 8
	s_delay_alu instid0(VALU_DEP_3) | instskip(NEXT) | instid1(VALU_DEP_1)
	v_bfe_i32 v46, v46, 0, 8
	v_cmp_lt_i16_e64 s24, v45, v46
	v_mov_b32_e32 v45, v39
	s_wait_alu 0xf1ff
	s_delay_alu instid0(VALU_DEP_2)
	v_cndmask_b32_e64 v4, v4, v47, s24
	ds_store_b64 v5, v[3:4]
	s_wait_loadcnt_dscnt 0x0
	s_barrier_signal -1
	s_barrier_wait -1
	global_inv scope:SCOPE_SE
	s_and_saveexec_b32 s36, s0
	s_cbranch_execz .LBB59_6
; %bb.3:                                ;   in Loop: Header=BB59_2 Depth=1
	v_mov_b32_e32 v45, v39
	v_mov_b32_e32 v3, v33
	s_mov_b32 s37, 0
.LBB59_4:                               ;   Parent Loop BB59_2 Depth=1
                                        ; =>  This Inner Loop Header: Depth=2
	s_delay_alu instid0(VALU_DEP_1) | instskip(NEXT) | instid1(VALU_DEP_1)
	v_sub_nc_u32_e32 v4, v3, v45
	v_lshrrev_b32_e32 v4, 1, v4
	s_delay_alu instid0(VALU_DEP_1) | instskip(NEXT) | instid1(VALU_DEP_1)
	v_add_nc_u32_e32 v4, v4, v45
	v_add_nc_u32_e32 v46, v6, v4
	v_xad_u32 v47, v4, -1, v27
	v_add_nc_u32_e32 v48, 1, v4
	ds_load_i8 v46, v46
	ds_load_i8 v47, v47
	s_wait_dscnt 0x0
	v_cmp_lt_i16_e64 s35, v47, v46
	s_wait_alu 0xf1ff
	s_delay_alu instid0(VALU_DEP_1) | instskip(SKIP_1) | instid1(VALU_DEP_1)
	v_cndmask_b32_e64 v3, v3, v4, s35
	v_cndmask_b32_e64 v45, v48, v45, s35
	v_cmp_ge_i32_e64 s35, v45, v3
	s_wait_alu 0xfffe
	s_or_b32 s37, s35, s37
	s_wait_alu 0xfffe
	s_and_not1_b32 exec_lo, exec_lo, s37
	s_cbranch_execnz .LBB59_4
; %bb.5:                                ;   in Loop: Header=BB59_2 Depth=1
	s_or_b32 exec_lo, exec_lo, s37
.LBB59_6:                               ;   in Loop: Header=BB59_2 Depth=1
	s_wait_alu 0xfffe
	s_or_b32 exec_lo, exec_lo, s36
	v_lshrrev_b64 v[3:4], 24, v[1:2]
	v_add_nc_u32_e32 v4, v45, v6
	v_sub_nc_u32_e32 v45, v27, v45
	v_lshrrev_b32_e32 v56, 8, v2
	v_lshrrev_b32_e32 v57, 16, v2
	;; [unrolled: 1-line block ×3, first 2 shown]
	ds_load_u8 v46, v4
	ds_load_u8 v47, v45
	v_cmp_le_i32_e64 s35, v15, v4
	v_cmp_gt_i32_e64 s37, v16, v45
	v_lshrrev_b32_e32 v59, 16, v1
	v_lshrrev_b32_e32 v61, 8, v1
                                        ; implicit-def: $vgpr48
	s_wait_dscnt 0x1
	v_bfe_i32 v46, v46, 0, 8
	s_wait_dscnt 0x0
	v_bfe_i32 v47, v47, 0, 8
	s_delay_alu instid0(VALU_DEP_1)
	v_cmp_lt_i16_e64 s36, v47, v46
	s_or_b32 s35, s35, s36
	s_wait_alu 0xfffe
	s_and_b32 s35, s37, s35
	s_wait_alu 0xfffe
	s_xor_b32 s36, s35, -1
	s_wait_alu 0xfffe
	s_and_saveexec_b32 s37, s36
	s_wait_alu 0xfffe
	s_xor_b32 s36, exec_lo, s37
; %bb.7:                                ;   in Loop: Header=BB59_2 Depth=1
	ds_load_u8 v48, v4 offset:1
; %bb.8:                                ;   in Loop: Header=BB59_2 Depth=1
	s_wait_alu 0xfffe
	s_or_saveexec_b32 s36, s36
	v_mov_b32_e32 v49, v47
	s_wait_alu 0xfffe
	s_xor_b32 exec_lo, exec_lo, s36
	s_cbranch_execz .LBB59_10
; %bb.9:                                ;   in Loop: Header=BB59_2 Depth=1
	ds_load_u8 v49, v45 offset:1
	s_wait_dscnt 0x1
	v_mov_b32_e32 v48, v46
.LBB59_10:                              ;   in Loop: Header=BB59_2 Depth=1
	s_or_b32 exec_lo, exec_lo, s36
	v_add_nc_u32_e32 v50, 1, v4
	v_add_nc_u32_e32 v51, 1, v45
	s_wait_dscnt 0x0
	v_bfe_i32 v52, v48, 0, 8
	v_bfe_i32 v53, v49, 0, 8
	v_cndmask_b32_e64 v50, v50, v4, s35
	v_cndmask_b32_e64 v51, v45, v51, s35
	s_delay_alu instid0(VALU_DEP_3) | instskip(NEXT) | instid1(VALU_DEP_3)
	v_cmp_lt_i16_e64 s37, v53, v52
                                        ; implicit-def: $vgpr52
	v_cmp_ge_i32_e64 s36, v50, v15
	s_delay_alu instid0(VALU_DEP_3)
	v_cmp_lt_i32_e64 s38, v51, v16
	s_or_b32 s36, s36, s37
	s_wait_alu 0xfffe
	s_and_b32 s36, s38, s36
	s_wait_alu 0xfffe
	s_xor_b32 s37, s36, -1
	s_wait_alu 0xfffe
	s_and_saveexec_b32 s38, s37
	s_wait_alu 0xfffe
	s_xor_b32 s37, exec_lo, s38
; %bb.11:                               ;   in Loop: Header=BB59_2 Depth=1
	ds_load_u8 v52, v50 offset:1
; %bb.12:                               ;   in Loop: Header=BB59_2 Depth=1
	s_wait_alu 0xfffe
	s_or_saveexec_b32 s37, s37
	v_mov_b32_e32 v53, v49
	s_wait_alu 0xfffe
	s_xor_b32 exec_lo, exec_lo, s37
	s_cbranch_execz .LBB59_14
; %bb.13:                               ;   in Loop: Header=BB59_2 Depth=1
	ds_load_u8 v53, v51 offset:1
	s_wait_dscnt 0x1
	v_mov_b32_e32 v52, v48
.LBB59_14:                              ;   in Loop: Header=BB59_2 Depth=1
	s_or_b32 exec_lo, exec_lo, s37
	v_add_nc_u32_e32 v54, 1, v50
	v_add_nc_u32_e32 v55, 1, v51
	s_wait_dscnt 0x0
	v_bfe_i32 v60, v52, 0, 8
	v_bfe_i32 v62, v53, 0, 8
	v_cndmask_b32_e64 v54, v54, v50, s36
	v_cndmask_b32_e64 v55, v51, v55, s36
	s_delay_alu instid0(VALU_DEP_3) | instskip(NEXT) | instid1(VALU_DEP_3)
	v_cmp_lt_i16_e64 s38, v62, v60
                                        ; implicit-def: $vgpr60
	v_cmp_ge_i32_e64 s37, v54, v15
	s_delay_alu instid0(VALU_DEP_3)
	v_cmp_lt_i32_e64 s39, v55, v16
	s_or_b32 s37, s37, s38
	s_wait_alu 0xfffe
	s_and_b32 s37, s39, s37
	s_wait_alu 0xfffe
	s_xor_b32 s38, s37, -1
	s_wait_alu 0xfffe
	s_and_saveexec_b32 s39, s38
	s_wait_alu 0xfffe
	s_xor_b32 s38, exec_lo, s39
; %bb.15:                               ;   in Loop: Header=BB59_2 Depth=1
	ds_load_u8 v60, v54 offset:1
; %bb.16:                               ;   in Loop: Header=BB59_2 Depth=1
	s_wait_alu 0xfffe
	s_or_saveexec_b32 s38, s38
	v_mov_b32_e32 v62, v53
	s_wait_alu 0xfffe
	s_xor_b32 exec_lo, exec_lo, s38
	s_cbranch_execz .LBB59_18
; %bb.17:                               ;   in Loop: Header=BB59_2 Depth=1
	ds_load_u8 v62, v55 offset:1
	s_wait_dscnt 0x1
	v_mov_b32_e32 v60, v52
.LBB59_18:                              ;   in Loop: Header=BB59_2 Depth=1
	s_or_b32 exec_lo, exec_lo, s38
	v_add_nc_u32_e32 v63, 1, v54
	v_add_nc_u32_e32 v64, 1, v55
	s_wait_dscnt 0x0
	v_bfe_i32 v65, v60, 0, 8
	v_bfe_i32 v66, v62, 0, 8
	v_cndmask_b32_e64 v63, v63, v54, s37
	v_cndmask_b32_e64 v64, v55, v64, s37
	s_delay_alu instid0(VALU_DEP_3) | instskip(NEXT) | instid1(VALU_DEP_3)
	v_cmp_lt_i16_e64 s39, v66, v65
                                        ; implicit-def: $vgpr65
	v_cmp_ge_i32_e64 s38, v63, v15
	s_delay_alu instid0(VALU_DEP_3)
	v_cmp_lt_i32_e64 s40, v64, v16
	s_or_b32 s38, s38, s39
	s_wait_alu 0xfffe
	s_and_b32 s38, s40, s38
	s_wait_alu 0xfffe
	s_xor_b32 s39, s38, -1
	s_wait_alu 0xfffe
	s_and_saveexec_b32 s40, s39
	s_wait_alu 0xfffe
	s_xor_b32 s39, exec_lo, s40
; %bb.19:                               ;   in Loop: Header=BB59_2 Depth=1
	ds_load_u8 v65, v63 offset:1
; %bb.20:                               ;   in Loop: Header=BB59_2 Depth=1
	s_wait_alu 0xfffe
	s_or_saveexec_b32 s39, s39
	v_mov_b32_e32 v66, v62
	s_wait_alu 0xfffe
	s_xor_b32 exec_lo, exec_lo, s39
	s_cbranch_execz .LBB59_22
; %bb.21:                               ;   in Loop: Header=BB59_2 Depth=1
	ds_load_u8 v66, v64 offset:1
	s_wait_dscnt 0x1
	v_mov_b32_e32 v65, v60
.LBB59_22:                              ;   in Loop: Header=BB59_2 Depth=1
	s_or_b32 exec_lo, exec_lo, s39
	v_add_nc_u32_e32 v67, 1, v63
	v_add_nc_u32_e32 v68, 1, v64
	s_wait_dscnt 0x0
	v_bfe_i32 v69, v65, 0, 8
	v_bfe_i32 v70, v66, 0, 8
	v_cndmask_b32_e64 v67, v67, v63, s38
	v_cndmask_b32_e64 v68, v64, v68, s38
	s_delay_alu instid0(VALU_DEP_3) | instskip(NEXT) | instid1(VALU_DEP_3)
	v_cmp_lt_i16_e64 s40, v70, v69
                                        ; implicit-def: $vgpr70
	v_cmp_ge_i32_e64 s39, v67, v15
	s_delay_alu instid0(VALU_DEP_3)
	v_cmp_lt_i32_e64 s41, v68, v16
	s_or_b32 s39, s39, s40
	s_wait_alu 0xfffe
	s_and_b32 s39, s41, s39
	s_wait_alu 0xfffe
	s_xor_b32 s40, s39, -1
	s_wait_alu 0xfffe
	s_and_saveexec_b32 s41, s40
	s_wait_alu 0xfffe
	s_xor_b32 s40, exec_lo, s41
; %bb.23:                               ;   in Loop: Header=BB59_2 Depth=1
	ds_load_u8 v70, v67 offset:1
; %bb.24:                               ;   in Loop: Header=BB59_2 Depth=1
	s_wait_alu 0xfffe
	s_or_saveexec_b32 s40, s40
	v_mov_b32_e32 v72, v66
	s_wait_alu 0xfffe
	s_xor_b32 exec_lo, exec_lo, s40
	s_cbranch_execz .LBB59_26
; %bb.25:                               ;   in Loop: Header=BB59_2 Depth=1
	ds_load_u8 v72, v68 offset:1
	s_wait_dscnt 0x1
	v_mov_b32_e32 v70, v65
.LBB59_26:                              ;   in Loop: Header=BB59_2 Depth=1
	s_or_b32 exec_lo, exec_lo, s40
	v_add_nc_u32_e32 v69, 1, v67
	v_add_nc_u32_e32 v71, 1, v68
	s_wait_dscnt 0x0
	v_bfe_i32 v73, v70, 0, 8
                                        ; implicit-def: $vgpr77
	s_delay_alu instid0(VALU_DEP_3) | instskip(SKIP_2) | instid1(VALU_DEP_3)
	v_cndmask_b32_e64 v75, v69, v67, s39
	v_bfe_i32 v69, v72, 0, 8
	v_cndmask_b32_e64 v76, v68, v71, s39
	v_cmp_ge_i32_e64 s40, v75, v15
	s_delay_alu instid0(VALU_DEP_3) | instskip(NEXT) | instid1(VALU_DEP_3)
	v_cmp_lt_i16_e64 s41, v69, v73
	v_cmp_lt_i32_e64 s42, v76, v16
	s_or_b32 s40, s40, s41
	s_wait_alu 0xfffe
	s_and_b32 s41, s42, s40
	s_wait_alu 0xfffe
	s_xor_b32 s40, s41, -1
	s_wait_alu 0xfffe
	s_and_saveexec_b32 s42, s40
	s_delay_alu instid0(SALU_CYCLE_1)
	s_xor_b32 s40, exec_lo, s42
; %bb.27:                               ;   in Loop: Header=BB59_2 Depth=1
	ds_load_u8 v77, v75 offset:1
; %bb.28:                               ;   in Loop: Header=BB59_2 Depth=1
	s_wait_alu 0xfffe
	s_or_saveexec_b32 s40, s40
	v_mov_b32_e32 v78, v72
	s_wait_alu 0xfffe
	s_xor_b32 exec_lo, exec_lo, s40
	s_cbranch_execz .LBB59_30
; %bb.29:                               ;   in Loop: Header=BB59_2 Depth=1
	ds_load_u8 v78, v76 offset:1
	s_wait_dscnt 0x1
	v_mov_b32_e32 v77, v70
.LBB59_30:                              ;   in Loop: Header=BB59_2 Depth=1
	s_or_b32 exec_lo, exec_lo, s40
	v_add_nc_u32_e32 v69, 1, v75
	v_add_nc_u32_e32 v71, 1, v76
	s_wait_dscnt 0x0
	v_bfe_i32 v79, v77, 0, 8
	s_delay_alu instid0(VALU_DEP_3) | instskip(SKIP_2) | instid1(VALU_DEP_3)
	v_cndmask_b32_e64 v73, v69, v75, s41
	v_bfe_i32 v69, v78, 0, 8
	v_cndmask_b32_e64 v74, v76, v71, s41
	v_cmp_ge_i32_e64 s40, v73, v15
	s_delay_alu instid0(VALU_DEP_3) | instskip(NEXT) | instid1(VALU_DEP_3)
	v_cmp_lt_i16_e64 s42, v69, v79
	v_cmp_lt_i32_e64 s43, v74, v16
                                        ; implicit-def: $vgpr69
	s_or_b32 s40, s40, s42
	s_wait_alu 0xfffe
	s_and_b32 s40, s43, s40
	s_wait_alu 0xfffe
	s_xor_b32 s42, s40, -1
	s_delay_alu instid0(SALU_CYCLE_1) | instskip(NEXT) | instid1(SALU_CYCLE_1)
	s_and_saveexec_b32 s43, s42
	s_xor_b32 s42, exec_lo, s43
; %bb.31:                               ;   in Loop: Header=BB59_2 Depth=1
	ds_load_u8 v69, v73 offset:1
; %bb.32:                               ;   in Loop: Header=BB59_2 Depth=1
	s_or_saveexec_b32 s42, s42
	v_mov_b32_e32 v71, v78
	s_xor_b32 exec_lo, exec_lo, s42
	s_cbranch_execz .LBB59_34
; %bb.33:                               ;   in Loop: Header=BB59_2 Depth=1
	ds_load_u8 v71, v74 offset:1
	s_wait_dscnt 0x1
	v_mov_b32_e32 v69, v77
.LBB59_34:                              ;   in Loop: Header=BB59_2 Depth=1
	s_or_b32 exec_lo, exec_lo, s42
	v_perm_b32 v79, v61, v1, 0xc0c0004
	v_perm_b32 v1, v1, v61, 0xc0c0004
	;; [unrolled: 1-line block ×5, first 2 shown]
	v_cndmask_b32_e64 v60, v60, v62, s38
	v_cndmask_b32_e64 v1, v1, v79, s6
	v_perm_b32 v59, 0, v3, 0xc0c0001
	v_cndmask_b32_e64 v46, v46, v47, s35
	v_lshl_or_b32 v2, v56, 16, v2
	v_cndmask_b32_e64 v48, v48, v49, s36
	v_lshl_or_b32 v1, v3, 16, v1
	v_lshlrev_b32_e32 v3, 16, v59
	v_cndmask_b32_e64 v49, v50, v51, s36
	v_perm_b32 v56, v2, v2, 0x7060405
	v_add_nc_u32_e32 v58, 1, v73
	v_add_nc_u32_e32 v57, 1, v74
	v_and_or_b32 v3, 0xffff, v1, v3
	v_cndmask_b32_e64 v52, v52, v53, s37
	v_cndmask_b32_e64 v2, v2, v56, s8
	;; [unrolled: 1-line block ×6, first 2 shown]
	v_perm_b32 v56, v2, v2, 0x6070504
	v_cndmask_b32_e64 v70, v70, v72, s41
	v_cmp_ge_i32_e64 s7, v54, v15
	v_perm_b32 v3, v1, v1, 0x7050604
	v_cmp_lt_i32_e64 s8, v51, v16
	v_cndmask_b32_e64 v2, v2, v56, s11
	v_cndmask_b32_e64 v63, v63, v64, s38
	;; [unrolled: 1-line block ×5, first 2 shown]
	v_lshlrev_b16 v56, 8, v2
	s_wait_loadcnt_dscnt 0x0
	s_barrier_signal -1
	v_lshrrev_b32_e32 v3, 16, v1
	s_barrier_wait -1
	global_inv scope:SCOPE_SE
	v_and_b32_e32 v3, 0xff, v3
	s_delay_alu instid0(VALU_DEP_1) | instskip(NEXT) | instid1(VALU_DEP_1)
	v_or_b32_e32 v3, v3, v56
	v_lshlrev_b32_e32 v3, 16, v3
	s_delay_alu instid0(VALU_DEP_1) | instskip(NEXT) | instid1(VALU_DEP_1)
	v_and_or_b32 v3, 0xffff, v1, v3
	v_cndmask_b32_e64 v3, v1, v3, s9
	v_perm_b32 v1, v1, v2, 0x3020107
	s_delay_alu instid0(VALU_DEP_2) | instskip(NEXT) | instid1(VALU_DEP_2)
	v_perm_b32 v56, 0, v3, 0xc0c0001
	v_cndmask_b32_e64 v1, v2, v1, s9
	s_delay_alu instid0(VALU_DEP_2) | instskip(NEXT) | instid1(VALU_DEP_1)
	v_and_or_b32 v56, 0xffff0000, v3, v56
	v_cndmask_b32_e64 v3, v3, v56, s12
	s_delay_alu instid0(VALU_DEP_1) | instskip(NEXT) | instid1(VALU_DEP_1)
	v_lshrrev_b32_e32 v56, 16, v3
	v_perm_b32 v2, 0, v56, 0xc0c0001
	v_perm_b32 v56, v1, v1, 0x7050604
	s_delay_alu instid0(VALU_DEP_2) | instskip(NEXT) | instid1(VALU_DEP_2)
	v_lshlrev_b32_e32 v2, 16, v2
	v_cndmask_b32_e64 v1, v1, v56, s13
	s_delay_alu instid0(VALU_DEP_2) | instskip(NEXT) | instid1(VALU_DEP_2)
	v_and_or_b32 v2, 0xffff, v3, v2
	v_perm_b32 v56, v1, v1, 0x7060405
	s_delay_alu instid0(VALU_DEP_2) | instskip(NEXT) | instid1(VALU_DEP_2)
	v_cndmask_b32_e64 v2, v3, v2, s14
	v_cndmask_b32_e64 v1, v1, v56, s15
	s_delay_alu instid0(VALU_DEP_2) | instskip(NEXT) | instid1(VALU_DEP_2)
	v_perm_b32 v3, v2, v2, 0x7050604
	v_perm_b32 v56, v1, v1, 0x6070504
	s_delay_alu instid0(VALU_DEP_2) | instskip(NEXT) | instid1(VALU_DEP_2)
	v_cndmask_b32_e64 v2, v2, v3, s17
	v_cndmask_b32_e64 v1, v1, v56, s18
	s_delay_alu instid0(VALU_DEP_2) | instskip(NEXT) | instid1(VALU_DEP_2)
	v_lshrrev_b32_e32 v3, 16, v2
	v_lshlrev_b16 v56, 8, v1
	s_delay_alu instid0(VALU_DEP_2) | instskip(NEXT) | instid1(VALU_DEP_1)
	v_and_b32_e32 v3, 0xff, v3
	v_or_b32_e32 v3, v3, v56
	s_delay_alu instid0(VALU_DEP_1) | instskip(NEXT) | instid1(VALU_DEP_1)
	v_lshlrev_b32_e32 v3, 16, v3
	v_and_or_b32 v3, 0xffff, v2, v3
	s_delay_alu instid0(VALU_DEP_1) | instskip(SKIP_1) | instid1(VALU_DEP_2)
	v_cndmask_b32_e64 v3, v2, v3, s16
	v_perm_b32 v2, v2, v1, 0x3020107
	v_perm_b32 v56, 0, v3, 0xc0c0001
	s_delay_alu instid0(VALU_DEP_2) | instskip(NEXT) | instid1(VALU_DEP_2)
	v_cndmask_b32_e64 v1, v1, v2, s16
	v_and_or_b32 v56, 0xffff0000, v3, v56
	s_delay_alu instid0(VALU_DEP_1) | instskip(NEXT) | instid1(VALU_DEP_1)
	v_cndmask_b32_e64 v3, v3, v56, s19
	v_lshrrev_b32_e32 v56, 16, v3
	s_delay_alu instid0(VALU_DEP_1) | instskip(SKIP_1) | instid1(VALU_DEP_2)
	v_perm_b32 v2, 0, v56, 0xc0c0001
	v_perm_b32 v56, v1, v1, 0x7050604
	v_lshlrev_b32_e32 v2, 16, v2
	s_delay_alu instid0(VALU_DEP_2) | instskip(NEXT) | instid1(VALU_DEP_2)
	v_cndmask_b32_e64 v1, v1, v56, s20
	v_and_or_b32 v2, 0xffff, v3, v2
	s_delay_alu instid0(VALU_DEP_2) | instskip(NEXT) | instid1(VALU_DEP_2)
	v_perm_b32 v56, v1, v1, 0x7060405
	v_cndmask_b32_e64 v2, v3, v2, s22
	s_delay_alu instid0(VALU_DEP_2) | instskip(NEXT) | instid1(VALU_DEP_2)
	v_cndmask_b32_e64 v1, v1, v56, s23
	v_perm_b32 v3, v2, v2, 0x7050604
	s_delay_alu instid0(VALU_DEP_2) | instskip(NEXT) | instid1(VALU_DEP_2)
	v_perm_b32 v56, v1, v1, 0x6070504
	v_cndmask_b32_e64 v2, v2, v3, s26
	s_delay_alu instid0(VALU_DEP_2) | instskip(NEXT) | instid1(VALU_DEP_2)
	v_cndmask_b32_e64 v1, v1, v56, s27
	v_lshrrev_b32_e32 v3, 16, v2
	s_delay_alu instid0(VALU_DEP_2) | instskip(NEXT) | instid1(VALU_DEP_2)
	v_lshlrev_b16 v56, 8, v1
	v_and_b32_e32 v3, 0xff, v3
	s_delay_alu instid0(VALU_DEP_1) | instskip(NEXT) | instid1(VALU_DEP_1)
	v_or_b32_e32 v3, v3, v56
	v_lshlrev_b32_e32 v3, 16, v3
	s_delay_alu instid0(VALU_DEP_1) | instskip(NEXT) | instid1(VALU_DEP_1)
	v_and_or_b32 v3, 0xffff, v2, v3
	v_cndmask_b32_e64 v3, v2, v3, s25
	v_perm_b32 v2, v2, v1, 0x3020107
	s_delay_alu instid0(VALU_DEP_2) | instskip(NEXT) | instid1(VALU_DEP_2)
	v_perm_b32 v56, 0, v3, 0xc0c0001
	v_cndmask_b32_e64 v1, v1, v2, s25
	s_delay_alu instid0(VALU_DEP_2) | instskip(NEXT) | instid1(VALU_DEP_2)
	v_and_or_b32 v56, 0xffff0000, v3, v56
	v_perm_b32 v62, v1, v1, 0x7050604
	s_delay_alu instid0(VALU_DEP_2) | instskip(NEXT) | instid1(VALU_DEP_2)
	v_cndmask_b32_e64 v3, v3, v56, s33
	v_cndmask_b32_e64 v1, v1, v62, s31
	;; [unrolled: 1-line block ×3, first 2 shown]
	s_delay_alu instid0(VALU_DEP_3) | instskip(NEXT) | instid1(VALU_DEP_3)
	v_lshrrev_b32_e32 v59, 16, v3
	v_perm_b32 v47, v1, v1, 0x7060405
	s_delay_alu instid0(VALU_DEP_3) | instskip(NEXT) | instid1(VALU_DEP_3)
	v_and_b32_e32 v56, 0xff, v56
	v_perm_b32 v2, 0, v59, 0xc0c0001
	s_delay_alu instid0(VALU_DEP_3) | instskip(SKIP_2) | instid1(VALU_DEP_4)
	v_cndmask_b32_e64 v1, v1, v47, s28
	v_cndmask_b32_e64 v59, v65, v66, s39
	;; [unrolled: 1-line block ×3, first 2 shown]
	v_lshlrev_b32_e32 v2, 16, v2
	s_delay_alu instid0(VALU_DEP_4) | instskip(NEXT) | instid1(VALU_DEP_2)
	v_perm_b32 v50, v1, v1, 0x6070504
	v_and_or_b32 v2, 0xffff, v3, v2
	s_delay_alu instid0(VALU_DEP_2) | instskip(SKIP_1) | instid1(VALU_DEP_3)
	v_cndmask_b32_e64 v1, v1, v50, s29
	v_and_b32_e32 v50, 0xff, v52
	v_cndmask_b32_e64 v2, v3, v2, s34
	v_cndmask_b32_e64 v3, v4, v45, s35
	v_bfe_i32 v4, v69, 0, 8
	v_bfe_i32 v45, v71, 0, 8
	s_delay_alu instid0(VALU_DEP_4) | instskip(NEXT) | instid1(VALU_DEP_2)
	v_perm_b32 v47, v2, v2, 0x7050604
	v_cmp_lt_i16_e64 s6, v45, v4
	v_and_b32_e32 v45, 0xff, v46
	s_delay_alu instid0(VALU_DEP_3)
	v_cndmask_b32_e64 v47, v2, v47, s30
	v_lshlrev_b16 v46, 8, v1
	v_lshlrev_b16 v4, 8, v48
	s_or_b32 s6, s7, s6
	v_lshlrev_b16 v48, 8, v60
	v_lshrrev_b32_e32 v2, 16, v47
	v_perm_b32 v52, v47, v1, 0x3020107
	s_wait_alu 0xfffe
	s_and_b32 s6, s8, s6
	s_wait_alu 0xfffe
	v_cndmask_b32_e64 v55, v69, v71, s6
	v_and_b32_e32 v2, 0xff, v2
	v_cndmask_b32_e64 v1, v1, v52, s21
	v_and_b32_e32 v52, 0xff, v59
	v_or_b32_e32 v59, v45, v4
	v_lshlrev_b16 v4, 8, v55
	v_or_b32_e32 v2, v2, v46
	v_perm_b32 v57, v1, v1, 0x7050604
	v_lshlrev_b16 v46, 8, v70
	v_cndmask_b32_e64 v45, v54, v51, s6
	v_or_b32_e32 v50, v50, v48
	v_lshlrev_b32_e32 v2, 16, v2
	v_or_b32_e32 v51, v56, v4
	v_or_b32_e32 v52, v52, v46
	s_delay_alu instid0(VALU_DEP_4) | instskip(NEXT) | instid1(VALU_DEP_4)
	v_lshlrev_b32_e32 v50, 16, v50
	v_and_or_b32 v58, 0xffff, v47, v2
	v_cndmask_b32_e64 v2, v1, v57, s24
	s_delay_alu instid0(VALU_DEP_4) | instskip(SKIP_1) | instid1(VALU_DEP_4)
	v_and_b32_e32 v52, 0xffff, v52
	v_lshlrev_b32_e32 v51, 16, v51
	v_cndmask_b32_e64 v1, v47, v58, s21
	ds_store_b64 v5, v[1:2]
	s_wait_loadcnt_dscnt 0x0
	s_barrier_signal -1
	s_barrier_wait -1
	global_inv scope:SCOPE_SE
	ds_load_u8 v1, v3
	ds_load_u8 v45, v45
	;; [unrolled: 1-line block ×8, first 2 shown]
	v_and_b32_e32 v49, 0xffff, v59
	s_wait_loadcnt_dscnt 0x0
	s_barrier_signal -1
	s_barrier_wait -1
	global_inv scope:SCOPE_SE
	v_or_b32_e32 v49, v49, v50
	v_or_b32_e32 v50, v52, v51
	ds_store_b64 v5, v[49:50]
	v_mov_b32_e32 v50, v40
	s_wait_loadcnt_dscnt 0x0
	s_barrier_signal -1
	s_barrier_wait -1
	global_inv scope:SCOPE_SE
	s_and_saveexec_b32 s7, s1
	s_cbranch_execz .LBB59_38
; %bb.35:                               ;   in Loop: Header=BB59_2 Depth=1
	v_dual_mov_b32 v50, v40 :: v_dual_mov_b32 v49, v34
	s_mov_b32 s8, 0
.LBB59_36:                              ;   Parent Loop BB59_2 Depth=1
                                        ; =>  This Inner Loop Header: Depth=2
	s_delay_alu instid0(VALU_DEP_1) | instskip(NEXT) | instid1(VALU_DEP_1)
	v_sub_nc_u32_e32 v51, v49, v50
	v_lshrrev_b32_e32 v51, 1, v51
	s_delay_alu instid0(VALU_DEP_1) | instskip(NEXT) | instid1(VALU_DEP_1)
	v_add_nc_u32_e32 v51, v51, v50
	v_add_nc_u32_e32 v52, v7, v51
	v_xad_u32 v53, v51, -1, v28
	v_add_nc_u32_e32 v54, 1, v51
	ds_load_i8 v52, v52
	ds_load_i8 v53, v53
	s_wait_dscnt 0x0
	v_cmp_lt_i16_e64 s6, v53, v52
	s_wait_alu 0xf1ff
	s_delay_alu instid0(VALU_DEP_1) | instskip(SKIP_1) | instid1(VALU_DEP_1)
	v_cndmask_b32_e64 v49, v49, v51, s6
	v_cndmask_b32_e64 v50, v54, v50, s6
	v_cmp_ge_i32_e64 s6, v50, v49
	s_wait_alu 0xfffe
	s_or_b32 s8, s6, s8
	s_wait_alu 0xfffe
	s_and_not1_b32 exec_lo, exec_lo, s8
	s_cbranch_execnz .LBB59_36
; %bb.37:                               ;   in Loop: Header=BB59_2 Depth=1
	s_or_b32 exec_lo, exec_lo, s8
.LBB59_38:                              ;   in Loop: Header=BB59_2 Depth=1
	s_wait_alu 0xfffe
	s_or_b32 exec_lo, exec_lo, s7
	v_add_nc_u32_e32 v49, v50, v7
	v_sub_nc_u32_e32 v50, v28, v50
                                        ; implicit-def: $vgpr53
	ds_load_u8 v51, v49
	ds_load_u8 v52, v50
	v_cmp_le_i32_e64 s6, v17, v49
	v_cmp_gt_i32_e64 s8, v18, v50
	s_wait_dscnt 0x1
	v_bfe_i32 v51, v51, 0, 8
	s_wait_dscnt 0x0
	v_bfe_i32 v52, v52, 0, 8
	s_delay_alu instid0(VALU_DEP_1)
	v_cmp_lt_i16_e64 s7, v52, v51
	s_or_b32 s6, s6, s7
	s_wait_alu 0xfffe
	s_and_b32 s6, s8, s6
	s_wait_alu 0xfffe
	s_xor_b32 s7, s6, -1
	s_wait_alu 0xfffe
	s_and_saveexec_b32 s8, s7
	s_wait_alu 0xfffe
	s_xor_b32 s7, exec_lo, s8
; %bb.39:                               ;   in Loop: Header=BB59_2 Depth=1
	ds_load_u8 v53, v49 offset:1
; %bb.40:                               ;   in Loop: Header=BB59_2 Depth=1
	s_wait_alu 0xfffe
	s_or_saveexec_b32 s7, s7
	v_mov_b32_e32 v54, v52
	s_wait_alu 0xfffe
	s_xor_b32 exec_lo, exec_lo, s7
	s_cbranch_execz .LBB59_42
; %bb.41:                               ;   in Loop: Header=BB59_2 Depth=1
	ds_load_u8 v54, v50 offset:1
	s_wait_dscnt 0x1
	v_mov_b32_e32 v53, v51
.LBB59_42:                              ;   in Loop: Header=BB59_2 Depth=1
	s_or_b32 exec_lo, exec_lo, s7
	v_add_nc_u32_e32 v55, 1, v49
	v_add_nc_u32_e32 v56, 1, v50
	s_wait_dscnt 0x0
	v_bfe_i32 v57, v53, 0, 8
	v_bfe_i32 v58, v54, 0, 8
	v_cndmask_b32_e64 v55, v55, v49, s6
	v_cndmask_b32_e64 v56, v50, v56, s6
	s_delay_alu instid0(VALU_DEP_3) | instskip(NEXT) | instid1(VALU_DEP_3)
	v_cmp_lt_i16_e64 s8, v58, v57
                                        ; implicit-def: $vgpr57
	v_cmp_ge_i32_e64 s7, v55, v17
	s_delay_alu instid0(VALU_DEP_3)
	v_cmp_lt_i32_e64 s9, v56, v18
	s_or_b32 s7, s7, s8
	s_wait_alu 0xfffe
	s_and_b32 s7, s9, s7
	s_wait_alu 0xfffe
	s_xor_b32 s8, s7, -1
	s_wait_alu 0xfffe
	s_and_saveexec_b32 s9, s8
	s_wait_alu 0xfffe
	s_xor_b32 s8, exec_lo, s9
; %bb.43:                               ;   in Loop: Header=BB59_2 Depth=1
	ds_load_u8 v57, v55 offset:1
; %bb.44:                               ;   in Loop: Header=BB59_2 Depth=1
	s_wait_alu 0xfffe
	s_or_saveexec_b32 s8, s8
	v_mov_b32_e32 v58, v54
	s_wait_alu 0xfffe
	s_xor_b32 exec_lo, exec_lo, s8
	s_cbranch_execz .LBB59_46
; %bb.45:                               ;   in Loop: Header=BB59_2 Depth=1
	ds_load_u8 v58, v56 offset:1
	s_wait_dscnt 0x1
	v_mov_b32_e32 v57, v53
.LBB59_46:                              ;   in Loop: Header=BB59_2 Depth=1
	s_or_b32 exec_lo, exec_lo, s8
	v_add_nc_u32_e32 v59, 1, v55
	v_add_nc_u32_e32 v60, 1, v56
	s_wait_dscnt 0x0
	v_bfe_i32 v61, v57, 0, 8
	v_bfe_i32 v62, v58, 0, 8
	v_cndmask_b32_e64 v59, v59, v55, s7
	v_cndmask_b32_e64 v60, v56, v60, s7
	s_delay_alu instid0(VALU_DEP_3) | instskip(NEXT) | instid1(VALU_DEP_3)
	v_cmp_lt_i16_e64 s9, v62, v61
                                        ; implicit-def: $vgpr61
	v_cmp_ge_i32_e64 s8, v59, v17
	s_delay_alu instid0(VALU_DEP_3)
	v_cmp_lt_i32_e64 s10, v60, v18
	s_or_b32 s8, s8, s9
	s_wait_alu 0xfffe
	s_and_b32 s8, s10, s8
	s_wait_alu 0xfffe
	s_xor_b32 s9, s8, -1
	s_wait_alu 0xfffe
	s_and_saveexec_b32 s10, s9
	s_wait_alu 0xfffe
	s_xor_b32 s9, exec_lo, s10
; %bb.47:                               ;   in Loop: Header=BB59_2 Depth=1
	ds_load_u8 v61, v59 offset:1
; %bb.48:                               ;   in Loop: Header=BB59_2 Depth=1
	s_wait_alu 0xfffe
	s_or_saveexec_b32 s9, s9
	v_mov_b32_e32 v62, v58
	s_wait_alu 0xfffe
	s_xor_b32 exec_lo, exec_lo, s9
	s_cbranch_execz .LBB59_50
; %bb.49:                               ;   in Loop: Header=BB59_2 Depth=1
	ds_load_u8 v62, v60 offset:1
	s_wait_dscnt 0x1
	v_mov_b32_e32 v61, v57
.LBB59_50:                              ;   in Loop: Header=BB59_2 Depth=1
	s_or_b32 exec_lo, exec_lo, s9
	v_add_nc_u32_e32 v63, 1, v59
	v_add_nc_u32_e32 v64, 1, v60
	s_wait_dscnt 0x0
	v_bfe_i32 v65, v61, 0, 8
	v_bfe_i32 v66, v62, 0, 8
	v_cndmask_b32_e64 v63, v63, v59, s8
	v_cndmask_b32_e64 v64, v60, v64, s8
	s_delay_alu instid0(VALU_DEP_3) | instskip(NEXT) | instid1(VALU_DEP_3)
	v_cmp_lt_i16_e64 s10, v66, v65
                                        ; implicit-def: $vgpr65
	v_cmp_ge_i32_e64 s9, v63, v17
	s_delay_alu instid0(VALU_DEP_3)
	v_cmp_lt_i32_e64 s11, v64, v18
	s_or_b32 s9, s9, s10
	s_wait_alu 0xfffe
	s_and_b32 s9, s11, s9
	s_wait_alu 0xfffe
	s_xor_b32 s10, s9, -1
	s_wait_alu 0xfffe
	s_and_saveexec_b32 s11, s10
	s_wait_alu 0xfffe
	s_xor_b32 s10, exec_lo, s11
; %bb.51:                               ;   in Loop: Header=BB59_2 Depth=1
	ds_load_u8 v65, v63 offset:1
; %bb.52:                               ;   in Loop: Header=BB59_2 Depth=1
	s_wait_alu 0xfffe
	s_or_saveexec_b32 s10, s10
	v_mov_b32_e32 v66, v62
	s_wait_alu 0xfffe
	s_xor_b32 exec_lo, exec_lo, s10
	s_cbranch_execz .LBB59_54
; %bb.53:                               ;   in Loop: Header=BB59_2 Depth=1
	ds_load_u8 v66, v64 offset:1
	s_wait_dscnt 0x1
	v_mov_b32_e32 v65, v61
.LBB59_54:                              ;   in Loop: Header=BB59_2 Depth=1
	s_or_b32 exec_lo, exec_lo, s10
	v_add_nc_u32_e32 v67, 1, v63
	v_add_nc_u32_e32 v68, 1, v64
	s_wait_dscnt 0x0
	v_bfe_i32 v69, v65, 0, 8
	v_bfe_i32 v70, v66, 0, 8
	v_cndmask_b32_e64 v67, v67, v63, s9
	v_cndmask_b32_e64 v68, v64, v68, s9
	s_delay_alu instid0(VALU_DEP_3) | instskip(NEXT) | instid1(VALU_DEP_3)
	v_cmp_lt_i16_e64 s11, v70, v69
                                        ; implicit-def: $vgpr69
	v_cmp_ge_i32_e64 s10, v67, v17
	s_delay_alu instid0(VALU_DEP_3)
	v_cmp_lt_i32_e64 s12, v68, v18
	s_or_b32 s10, s10, s11
	s_wait_alu 0xfffe
	s_and_b32 s10, s12, s10
	s_wait_alu 0xfffe
	s_xor_b32 s11, s10, -1
	s_wait_alu 0xfffe
	s_and_saveexec_b32 s12, s11
	s_wait_alu 0xfffe
	s_xor_b32 s11, exec_lo, s12
; %bb.55:                               ;   in Loop: Header=BB59_2 Depth=1
	ds_load_u8 v69, v67 offset:1
; %bb.56:                               ;   in Loop: Header=BB59_2 Depth=1
	s_wait_alu 0xfffe
	s_or_saveexec_b32 s11, s11
	v_mov_b32_e32 v70, v66
	s_wait_alu 0xfffe
	s_xor_b32 exec_lo, exec_lo, s11
	s_cbranch_execz .LBB59_58
; %bb.57:                               ;   in Loop: Header=BB59_2 Depth=1
	ds_load_u8 v70, v68 offset:1
	s_wait_dscnt 0x1
	v_mov_b32_e32 v69, v65
.LBB59_58:                              ;   in Loop: Header=BB59_2 Depth=1
	s_or_b32 exec_lo, exec_lo, s11
	v_add_nc_u32_e32 v71, 1, v67
	v_add_nc_u32_e32 v72, 1, v68
	s_wait_dscnt 0x0
	v_bfe_i32 v73, v69, 0, 8
	v_bfe_i32 v74, v70, 0, 8
	v_cndmask_b32_e64 v71, v71, v67, s10
	v_cndmask_b32_e64 v72, v68, v72, s10
	s_delay_alu instid0(VALU_DEP_3) | instskip(NEXT) | instid1(VALU_DEP_3)
	v_cmp_lt_i16_e64 s12, v74, v73
                                        ; implicit-def: $vgpr74
	v_cmp_ge_i32_e64 s11, v71, v17
	s_delay_alu instid0(VALU_DEP_3)
	v_cmp_lt_i32_e64 s13, v72, v18
	s_or_b32 s11, s11, s12
	s_wait_alu 0xfffe
	s_and_b32 s11, s13, s11
	s_wait_alu 0xfffe
	s_xor_b32 s12, s11, -1
	s_wait_alu 0xfffe
	s_and_saveexec_b32 s13, s12
	s_wait_alu 0xfffe
	s_xor_b32 s12, exec_lo, s13
; %bb.59:                               ;   in Loop: Header=BB59_2 Depth=1
	ds_load_u8 v74, v71 offset:1
; %bb.60:                               ;   in Loop: Header=BB59_2 Depth=1
	s_wait_alu 0xfffe
	s_or_saveexec_b32 s12, s12
	v_mov_b32_e32 v76, v70
	s_wait_alu 0xfffe
	s_xor_b32 exec_lo, exec_lo, s12
	s_cbranch_execz .LBB59_62
; %bb.61:                               ;   in Loop: Header=BB59_2 Depth=1
	ds_load_u8 v76, v72 offset:1
	s_wait_dscnt 0x1
	v_mov_b32_e32 v74, v69
.LBB59_62:                              ;   in Loop: Header=BB59_2 Depth=1
	s_or_b32 exec_lo, exec_lo, s12
	v_add_nc_u32_e32 v73, 1, v71
	v_add_nc_u32_e32 v75, 1, v72
	s_wait_dscnt 0x0
	v_bfe_i32 v79, v74, 0, 8
	s_delay_alu instid0(VALU_DEP_3) | instskip(SKIP_2) | instid1(VALU_DEP_3)
	v_cndmask_b32_e64 v77, v73, v71, s11
	v_bfe_i32 v73, v76, 0, 8
	v_cndmask_b32_e64 v78, v72, v75, s11
	v_cmp_ge_i32_e64 s12, v77, v17
	s_delay_alu instid0(VALU_DEP_3) | instskip(NEXT) | instid1(VALU_DEP_3)
	v_cmp_lt_i16_e64 s13, v73, v79
	v_cmp_lt_i32_e64 s14, v78, v18
                                        ; implicit-def: $vgpr73
	s_or_b32 s12, s12, s13
	s_wait_alu 0xfffe
	s_and_b32 s12, s14, s12
	s_wait_alu 0xfffe
	s_xor_b32 s13, s12, -1
	s_wait_alu 0xfffe
	s_and_saveexec_b32 s14, s13
	s_wait_alu 0xfffe
	s_xor_b32 s13, exec_lo, s14
; %bb.63:                               ;   in Loop: Header=BB59_2 Depth=1
	ds_load_u8 v73, v77 offset:1
; %bb.64:                               ;   in Loop: Header=BB59_2 Depth=1
	s_wait_alu 0xfffe
	s_or_saveexec_b32 s13, s13
	v_mov_b32_e32 v75, v76
	s_wait_alu 0xfffe
	s_xor_b32 exec_lo, exec_lo, s13
	s_cbranch_execz .LBB59_66
; %bb.65:                               ;   in Loop: Header=BB59_2 Depth=1
	ds_load_u8 v75, v78 offset:1
	s_wait_dscnt 0x1
	v_mov_b32_e32 v73, v74
.LBB59_66:                              ;   in Loop: Header=BB59_2 Depth=1
	s_or_b32 exec_lo, exec_lo, s13
	v_add_nc_u32_e32 v80, 1, v77
	v_add_nc_u32_e32 v79, 1, v78
	v_cndmask_b32_e64 v74, v74, v76, s12
	v_cndmask_b32_e64 v76, v77, v78, s12
	;; [unrolled: 1-line block ×5, first 2 shown]
	s_wait_dscnt 0x0
	v_bfe_i32 v63, v73, 0, 8
	v_bfe_i32 v64, v75, 0, 8
	v_cndmask_b32_e64 v78, v78, v79, s12
	v_cndmask_b32_e64 v57, v57, v58, s8
	;; [unrolled: 1-line block ×3, first 2 shown]
	v_cmp_ge_i32_e64 s8, v77, v17
	v_cmp_lt_i16_e64 s9, v64, v63
	v_cndmask_b32_e64 v51, v51, v52, s6
	v_cndmask_b32_e64 v49, v49, v50, s6
	v_cmp_lt_i32_e64 s6, v78, v18
	v_perm_b32 v46, v46, v47, 0xc0c0004
	v_perm_b32 v45, v48, v45, 0xc0c0004
	;; [unrolled: 1-line block ×4, first 2 shown]
	v_cndmask_b32_e64 v53, v53, v54, s7
	v_cndmask_b32_e64 v54, v55, v56, s7
	s_or_b32 s7, s8, s9
	v_cndmask_b32_e64 v69, v69, v70, s11
	s_wait_alu 0xfffe
	s_and_b32 s6, s6, s7
	v_cndmask_b32_e64 v65, v65, v66, s10
	s_wait_alu 0xfffe
	v_cndmask_b32_e64 v4, v73, v75, s6
	v_lshl_or_b32 v2, v45, 16, v46
	v_lshl_or_b32 v1, v3, 16, v1
	s_wait_loadcnt 0x0
	s_barrier_signal -1
	s_barrier_wait -1
	global_inv scope:SCOPE_SE
	ds_store_b64 v5, v[1:2]
	v_lshlrev_b16 v1, 8, v53
	v_and_b32_e32 v2, 0xff, v51
	v_lshlrev_b16 v3, 8, v61
	v_and_b32_e32 v45, 0xff, v57
	;; [unrolled: 2-line block ×3, first 2 shown]
	v_and_b32_e32 v50, 0xff, v74
	v_lshlrev_b16 v4, 8, v4
	v_cndmask_b32_e64 v47, v77, v78, s6
	v_cndmask_b32_e64 v70, v71, v72, s11
	;; [unrolled: 1-line block ×3, first 2 shown]
	s_wait_loadcnt_dscnt 0x0
	s_barrier_signal -1
	s_barrier_wait -1
	global_inv scope:SCOPE_SE
	v_or_b32_e32 v51, v2, v1
	v_or_b32_e32 v52, v45, v3
	;; [unrolled: 1-line block ×4, first 2 shown]
	ds_load_u8 v1, v49
	ds_load_u8 v45, v47
	;; [unrolled: 1-line block ×8, first 2 shown]
	v_and_b32_e32 v49, 0xffff, v51
	v_lshlrev_b32_e32 v51, 16, v52
	v_and_b32_e32 v52, 0xffff, v53
	v_lshlrev_b32_e32 v50, 16, v50
	s_wait_loadcnt_dscnt 0x0
	s_barrier_signal -1
	v_or_b32_e32 v49, v49, v51
	s_barrier_wait -1
	v_or_b32_e32 v50, v52, v50
	global_inv scope:SCOPE_SE
	ds_store_b64 v5, v[49:50]
	v_mov_b32_e32 v50, v41
	s_wait_loadcnt_dscnt 0x0
	s_barrier_signal -1
	s_barrier_wait -1
	global_inv scope:SCOPE_SE
	s_and_saveexec_b32 s7, s2
	s_cbranch_execz .LBB59_70
; %bb.67:                               ;   in Loop: Header=BB59_2 Depth=1
	v_dual_mov_b32 v50, v41 :: v_dual_mov_b32 v49, v35
	s_mov_b32 s8, 0
.LBB59_68:                              ;   Parent Loop BB59_2 Depth=1
                                        ; =>  This Inner Loop Header: Depth=2
	s_delay_alu instid0(VALU_DEP_1) | instskip(NEXT) | instid1(VALU_DEP_1)
	v_sub_nc_u32_e32 v51, v49, v50
	v_lshrrev_b32_e32 v51, 1, v51
	s_delay_alu instid0(VALU_DEP_1) | instskip(NEXT) | instid1(VALU_DEP_1)
	v_add_nc_u32_e32 v51, v51, v50
	v_add_nc_u32_e32 v52, v8, v51
	v_xad_u32 v53, v51, -1, v29
	v_add_nc_u32_e32 v54, 1, v51
	ds_load_i8 v52, v52
	ds_load_i8 v53, v53
	s_wait_dscnt 0x0
	v_cmp_lt_i16_e64 s6, v53, v52
	s_wait_alu 0xf1ff
	s_delay_alu instid0(VALU_DEP_1) | instskip(SKIP_1) | instid1(VALU_DEP_1)
	v_cndmask_b32_e64 v49, v49, v51, s6
	v_cndmask_b32_e64 v50, v54, v50, s6
	v_cmp_ge_i32_e64 s6, v50, v49
	s_wait_alu 0xfffe
	s_or_b32 s8, s6, s8
	s_wait_alu 0xfffe
	s_and_not1_b32 exec_lo, exec_lo, s8
	s_cbranch_execnz .LBB59_68
; %bb.69:                               ;   in Loop: Header=BB59_2 Depth=1
	s_or_b32 exec_lo, exec_lo, s8
.LBB59_70:                              ;   in Loop: Header=BB59_2 Depth=1
	s_wait_alu 0xfffe
	s_or_b32 exec_lo, exec_lo, s7
	v_add_nc_u32_e32 v49, v50, v8
	v_sub_nc_u32_e32 v50, v29, v50
                                        ; implicit-def: $vgpr53
	ds_load_u8 v51, v49
	ds_load_u8 v52, v50
	v_cmp_le_i32_e64 s6, v19, v49
	v_cmp_gt_i32_e64 s8, v20, v50
	s_wait_dscnt 0x1
	v_bfe_i32 v51, v51, 0, 8
	s_wait_dscnt 0x0
	v_bfe_i32 v52, v52, 0, 8
	s_delay_alu instid0(VALU_DEP_1)
	v_cmp_lt_i16_e64 s7, v52, v51
	s_or_b32 s6, s6, s7
	s_wait_alu 0xfffe
	s_and_b32 s6, s8, s6
	s_wait_alu 0xfffe
	s_xor_b32 s7, s6, -1
	s_wait_alu 0xfffe
	s_and_saveexec_b32 s8, s7
	s_wait_alu 0xfffe
	s_xor_b32 s7, exec_lo, s8
; %bb.71:                               ;   in Loop: Header=BB59_2 Depth=1
	ds_load_u8 v53, v49 offset:1
; %bb.72:                               ;   in Loop: Header=BB59_2 Depth=1
	s_wait_alu 0xfffe
	s_or_saveexec_b32 s7, s7
	v_mov_b32_e32 v54, v52
	s_wait_alu 0xfffe
	s_xor_b32 exec_lo, exec_lo, s7
	s_cbranch_execz .LBB59_74
; %bb.73:                               ;   in Loop: Header=BB59_2 Depth=1
	ds_load_u8 v54, v50 offset:1
	s_wait_dscnt 0x1
	v_mov_b32_e32 v53, v51
.LBB59_74:                              ;   in Loop: Header=BB59_2 Depth=1
	s_or_b32 exec_lo, exec_lo, s7
	v_add_nc_u32_e32 v55, 1, v49
	v_add_nc_u32_e32 v56, 1, v50
	s_wait_dscnt 0x0
	v_bfe_i32 v57, v53, 0, 8
	v_bfe_i32 v58, v54, 0, 8
	v_cndmask_b32_e64 v55, v55, v49, s6
	v_cndmask_b32_e64 v56, v50, v56, s6
	s_delay_alu instid0(VALU_DEP_3) | instskip(NEXT) | instid1(VALU_DEP_3)
	v_cmp_lt_i16_e64 s8, v58, v57
                                        ; implicit-def: $vgpr57
	v_cmp_ge_i32_e64 s7, v55, v19
	s_delay_alu instid0(VALU_DEP_3)
	v_cmp_lt_i32_e64 s9, v56, v20
	s_or_b32 s7, s7, s8
	s_wait_alu 0xfffe
	s_and_b32 s7, s9, s7
	s_wait_alu 0xfffe
	s_xor_b32 s8, s7, -1
	s_wait_alu 0xfffe
	s_and_saveexec_b32 s9, s8
	s_wait_alu 0xfffe
	s_xor_b32 s8, exec_lo, s9
; %bb.75:                               ;   in Loop: Header=BB59_2 Depth=1
	ds_load_u8 v57, v55 offset:1
; %bb.76:                               ;   in Loop: Header=BB59_2 Depth=1
	s_wait_alu 0xfffe
	s_or_saveexec_b32 s8, s8
	v_mov_b32_e32 v58, v54
	s_wait_alu 0xfffe
	s_xor_b32 exec_lo, exec_lo, s8
	s_cbranch_execz .LBB59_78
; %bb.77:                               ;   in Loop: Header=BB59_2 Depth=1
	ds_load_u8 v58, v56 offset:1
	s_wait_dscnt 0x1
	v_mov_b32_e32 v57, v53
.LBB59_78:                              ;   in Loop: Header=BB59_2 Depth=1
	s_or_b32 exec_lo, exec_lo, s8
	v_add_nc_u32_e32 v59, 1, v55
	v_add_nc_u32_e32 v60, 1, v56
	s_wait_dscnt 0x0
	v_bfe_i32 v61, v57, 0, 8
	v_bfe_i32 v62, v58, 0, 8
	v_cndmask_b32_e64 v59, v59, v55, s7
	v_cndmask_b32_e64 v60, v56, v60, s7
	s_delay_alu instid0(VALU_DEP_3) | instskip(NEXT) | instid1(VALU_DEP_3)
	v_cmp_lt_i16_e64 s9, v62, v61
                                        ; implicit-def: $vgpr61
	v_cmp_ge_i32_e64 s8, v59, v19
	s_delay_alu instid0(VALU_DEP_3)
	v_cmp_lt_i32_e64 s10, v60, v20
	s_or_b32 s8, s8, s9
	s_wait_alu 0xfffe
	s_and_b32 s8, s10, s8
	s_wait_alu 0xfffe
	s_xor_b32 s9, s8, -1
	s_wait_alu 0xfffe
	s_and_saveexec_b32 s10, s9
	s_wait_alu 0xfffe
	s_xor_b32 s9, exec_lo, s10
; %bb.79:                               ;   in Loop: Header=BB59_2 Depth=1
	ds_load_u8 v61, v59 offset:1
; %bb.80:                               ;   in Loop: Header=BB59_2 Depth=1
	s_wait_alu 0xfffe
	s_or_saveexec_b32 s9, s9
	v_mov_b32_e32 v62, v58
	s_wait_alu 0xfffe
	s_xor_b32 exec_lo, exec_lo, s9
	s_cbranch_execz .LBB59_82
; %bb.81:                               ;   in Loop: Header=BB59_2 Depth=1
	ds_load_u8 v62, v60 offset:1
	s_wait_dscnt 0x1
	v_mov_b32_e32 v61, v57
.LBB59_82:                              ;   in Loop: Header=BB59_2 Depth=1
	s_or_b32 exec_lo, exec_lo, s9
	v_add_nc_u32_e32 v63, 1, v59
	v_add_nc_u32_e32 v64, 1, v60
	s_wait_dscnt 0x0
	v_bfe_i32 v65, v61, 0, 8
	v_bfe_i32 v66, v62, 0, 8
	v_cndmask_b32_e64 v63, v63, v59, s8
	v_cndmask_b32_e64 v64, v60, v64, s8
	s_delay_alu instid0(VALU_DEP_3) | instskip(NEXT) | instid1(VALU_DEP_3)
	v_cmp_lt_i16_e64 s10, v66, v65
                                        ; implicit-def: $vgpr65
	v_cmp_ge_i32_e64 s9, v63, v19
	s_delay_alu instid0(VALU_DEP_3)
	v_cmp_lt_i32_e64 s11, v64, v20
	s_or_b32 s9, s9, s10
	s_wait_alu 0xfffe
	s_and_b32 s9, s11, s9
	s_wait_alu 0xfffe
	s_xor_b32 s10, s9, -1
	s_wait_alu 0xfffe
	s_and_saveexec_b32 s11, s10
	s_wait_alu 0xfffe
	s_xor_b32 s10, exec_lo, s11
; %bb.83:                               ;   in Loop: Header=BB59_2 Depth=1
	ds_load_u8 v65, v63 offset:1
; %bb.84:                               ;   in Loop: Header=BB59_2 Depth=1
	s_wait_alu 0xfffe
	s_or_saveexec_b32 s10, s10
	v_mov_b32_e32 v66, v62
	s_wait_alu 0xfffe
	s_xor_b32 exec_lo, exec_lo, s10
	s_cbranch_execz .LBB59_86
; %bb.85:                               ;   in Loop: Header=BB59_2 Depth=1
	ds_load_u8 v66, v64 offset:1
	s_wait_dscnt 0x1
	v_mov_b32_e32 v65, v61
.LBB59_86:                              ;   in Loop: Header=BB59_2 Depth=1
	s_or_b32 exec_lo, exec_lo, s10
	v_add_nc_u32_e32 v67, 1, v63
	v_add_nc_u32_e32 v68, 1, v64
	s_wait_dscnt 0x0
	v_bfe_i32 v69, v65, 0, 8
	v_bfe_i32 v70, v66, 0, 8
	v_cndmask_b32_e64 v67, v67, v63, s9
	v_cndmask_b32_e64 v68, v64, v68, s9
	s_delay_alu instid0(VALU_DEP_3) | instskip(NEXT) | instid1(VALU_DEP_3)
	v_cmp_lt_i16_e64 s11, v70, v69
                                        ; implicit-def: $vgpr69
	v_cmp_ge_i32_e64 s10, v67, v19
	s_delay_alu instid0(VALU_DEP_3)
	v_cmp_lt_i32_e64 s12, v68, v20
	s_or_b32 s10, s10, s11
	s_wait_alu 0xfffe
	s_and_b32 s10, s12, s10
	s_wait_alu 0xfffe
	s_xor_b32 s11, s10, -1
	s_wait_alu 0xfffe
	s_and_saveexec_b32 s12, s11
	s_wait_alu 0xfffe
	s_xor_b32 s11, exec_lo, s12
; %bb.87:                               ;   in Loop: Header=BB59_2 Depth=1
	ds_load_u8 v69, v67 offset:1
; %bb.88:                               ;   in Loop: Header=BB59_2 Depth=1
	s_wait_alu 0xfffe
	s_or_saveexec_b32 s11, s11
	v_mov_b32_e32 v70, v66
	s_wait_alu 0xfffe
	s_xor_b32 exec_lo, exec_lo, s11
	s_cbranch_execz .LBB59_90
; %bb.89:                               ;   in Loop: Header=BB59_2 Depth=1
	ds_load_u8 v70, v68 offset:1
	s_wait_dscnt 0x1
	v_mov_b32_e32 v69, v65
.LBB59_90:                              ;   in Loop: Header=BB59_2 Depth=1
	s_or_b32 exec_lo, exec_lo, s11
	v_add_nc_u32_e32 v71, 1, v67
	v_add_nc_u32_e32 v72, 1, v68
	s_wait_dscnt 0x0
	v_bfe_i32 v73, v69, 0, 8
	v_bfe_i32 v74, v70, 0, 8
	v_cndmask_b32_e64 v71, v71, v67, s10
	v_cndmask_b32_e64 v72, v68, v72, s10
	s_delay_alu instid0(VALU_DEP_3) | instskip(NEXT) | instid1(VALU_DEP_3)
	v_cmp_lt_i16_e64 s12, v74, v73
                                        ; implicit-def: $vgpr74
	v_cmp_ge_i32_e64 s11, v71, v19
	s_delay_alu instid0(VALU_DEP_3)
	v_cmp_lt_i32_e64 s13, v72, v20
	s_or_b32 s11, s11, s12
	s_wait_alu 0xfffe
	s_and_b32 s11, s13, s11
	s_wait_alu 0xfffe
	s_xor_b32 s12, s11, -1
	s_wait_alu 0xfffe
	s_and_saveexec_b32 s13, s12
	s_wait_alu 0xfffe
	s_xor_b32 s12, exec_lo, s13
; %bb.91:                               ;   in Loop: Header=BB59_2 Depth=1
	ds_load_u8 v74, v71 offset:1
; %bb.92:                               ;   in Loop: Header=BB59_2 Depth=1
	s_wait_alu 0xfffe
	s_or_saveexec_b32 s12, s12
	v_mov_b32_e32 v76, v70
	s_wait_alu 0xfffe
	s_xor_b32 exec_lo, exec_lo, s12
	s_cbranch_execz .LBB59_94
; %bb.93:                               ;   in Loop: Header=BB59_2 Depth=1
	ds_load_u8 v76, v72 offset:1
	s_wait_dscnt 0x1
	v_mov_b32_e32 v74, v69
.LBB59_94:                              ;   in Loop: Header=BB59_2 Depth=1
	s_or_b32 exec_lo, exec_lo, s12
	v_add_nc_u32_e32 v73, 1, v71
	v_add_nc_u32_e32 v75, 1, v72
	s_wait_dscnt 0x0
	v_bfe_i32 v79, v74, 0, 8
	s_delay_alu instid0(VALU_DEP_3) | instskip(SKIP_2) | instid1(VALU_DEP_3)
	v_cndmask_b32_e64 v77, v73, v71, s11
	v_bfe_i32 v73, v76, 0, 8
	v_cndmask_b32_e64 v78, v72, v75, s11
	v_cmp_ge_i32_e64 s12, v77, v19
	s_delay_alu instid0(VALU_DEP_3) | instskip(NEXT) | instid1(VALU_DEP_3)
	v_cmp_lt_i16_e64 s13, v73, v79
	v_cmp_lt_i32_e64 s14, v78, v20
                                        ; implicit-def: $vgpr73
	s_or_b32 s12, s12, s13
	s_wait_alu 0xfffe
	s_and_b32 s12, s14, s12
	s_wait_alu 0xfffe
	s_xor_b32 s13, s12, -1
	s_wait_alu 0xfffe
	s_and_saveexec_b32 s14, s13
	s_wait_alu 0xfffe
	s_xor_b32 s13, exec_lo, s14
; %bb.95:                               ;   in Loop: Header=BB59_2 Depth=1
	ds_load_u8 v73, v77 offset:1
; %bb.96:                               ;   in Loop: Header=BB59_2 Depth=1
	s_wait_alu 0xfffe
	s_or_saveexec_b32 s13, s13
	v_mov_b32_e32 v75, v76
	s_wait_alu 0xfffe
	s_xor_b32 exec_lo, exec_lo, s13
	s_cbranch_execz .LBB59_98
; %bb.97:                               ;   in Loop: Header=BB59_2 Depth=1
	ds_load_u8 v75, v78 offset:1
	s_wait_dscnt 0x1
	v_mov_b32_e32 v73, v74
.LBB59_98:                              ;   in Loop: Header=BB59_2 Depth=1
	s_or_b32 exec_lo, exec_lo, s13
	v_add_nc_u32_e32 v80, 1, v77
	v_add_nc_u32_e32 v79, 1, v78
	v_cndmask_b32_e64 v74, v74, v76, s12
	v_cndmask_b32_e64 v76, v77, v78, s12
	;; [unrolled: 1-line block ×5, first 2 shown]
	s_wait_dscnt 0x0
	v_bfe_i32 v63, v73, 0, 8
	v_bfe_i32 v64, v75, 0, 8
	v_cndmask_b32_e64 v78, v78, v79, s12
	v_cndmask_b32_e64 v57, v57, v58, s8
	;; [unrolled: 1-line block ×3, first 2 shown]
	v_cmp_ge_i32_e64 s8, v77, v19
	v_cmp_lt_i16_e64 s9, v64, v63
	v_cndmask_b32_e64 v51, v51, v52, s6
	v_cndmask_b32_e64 v49, v49, v50, s6
	v_cmp_lt_i32_e64 s6, v78, v20
	v_perm_b32 v46, v46, v47, 0xc0c0004
	v_perm_b32 v45, v48, v45, 0xc0c0004
	;; [unrolled: 1-line block ×4, first 2 shown]
	v_cndmask_b32_e64 v53, v53, v54, s7
	v_cndmask_b32_e64 v54, v55, v56, s7
	s_or_b32 s7, s8, s9
	v_cndmask_b32_e64 v69, v69, v70, s11
	s_wait_alu 0xfffe
	s_and_b32 s6, s6, s7
	v_cndmask_b32_e64 v65, v65, v66, s10
	s_wait_alu 0xfffe
	v_cndmask_b32_e64 v4, v73, v75, s6
	v_lshl_or_b32 v2, v45, 16, v46
	v_lshl_or_b32 v1, v3, 16, v1
	s_wait_loadcnt 0x0
	s_barrier_signal -1
	s_barrier_wait -1
	global_inv scope:SCOPE_SE
	ds_store_b64 v5, v[1:2]
	v_lshlrev_b16 v1, 8, v53
	v_and_b32_e32 v2, 0xff, v51
	v_lshlrev_b16 v3, 8, v61
	v_and_b32_e32 v45, 0xff, v57
	;; [unrolled: 2-line block ×3, first 2 shown]
	v_and_b32_e32 v50, 0xff, v74
	v_lshlrev_b16 v4, 8, v4
	v_cndmask_b32_e64 v47, v77, v78, s6
	v_cndmask_b32_e64 v70, v71, v72, s11
	;; [unrolled: 1-line block ×3, first 2 shown]
	s_wait_loadcnt_dscnt 0x0
	s_barrier_signal -1
	s_barrier_wait -1
	global_inv scope:SCOPE_SE
	v_or_b32_e32 v51, v2, v1
	v_or_b32_e32 v52, v45, v3
	;; [unrolled: 1-line block ×4, first 2 shown]
	ds_load_u8 v1, v49
	ds_load_u8 v45, v47
	;; [unrolled: 1-line block ×8, first 2 shown]
	v_and_b32_e32 v49, 0xffff, v51
	v_lshlrev_b32_e32 v51, 16, v52
	v_and_b32_e32 v52, 0xffff, v53
	v_lshlrev_b32_e32 v50, 16, v50
	s_wait_loadcnt_dscnt 0x0
	s_barrier_signal -1
	v_or_b32_e32 v49, v49, v51
	s_barrier_wait -1
	v_or_b32_e32 v50, v52, v50
	global_inv scope:SCOPE_SE
	ds_store_b64 v5, v[49:50]
	v_mov_b32_e32 v50, v42
	s_wait_loadcnt_dscnt 0x0
	s_barrier_signal -1
	s_barrier_wait -1
	global_inv scope:SCOPE_SE
	s_and_saveexec_b32 s7, s3
	s_cbranch_execz .LBB59_102
; %bb.99:                               ;   in Loop: Header=BB59_2 Depth=1
	v_dual_mov_b32 v50, v42 :: v_dual_mov_b32 v49, v36
	s_mov_b32 s8, 0
.LBB59_100:                             ;   Parent Loop BB59_2 Depth=1
                                        ; =>  This Inner Loop Header: Depth=2
	s_delay_alu instid0(VALU_DEP_1) | instskip(NEXT) | instid1(VALU_DEP_1)
	v_sub_nc_u32_e32 v51, v49, v50
	v_lshrrev_b32_e32 v51, 1, v51
	s_delay_alu instid0(VALU_DEP_1) | instskip(NEXT) | instid1(VALU_DEP_1)
	v_add_nc_u32_e32 v51, v51, v50
	v_add_nc_u32_e32 v52, v9, v51
	v_xad_u32 v53, v51, -1, v30
	v_add_nc_u32_e32 v54, 1, v51
	ds_load_i8 v52, v52
	ds_load_i8 v53, v53
	s_wait_dscnt 0x0
	v_cmp_lt_i16_e64 s6, v53, v52
	s_wait_alu 0xf1ff
	s_delay_alu instid0(VALU_DEP_1) | instskip(SKIP_1) | instid1(VALU_DEP_1)
	v_cndmask_b32_e64 v49, v49, v51, s6
	v_cndmask_b32_e64 v50, v54, v50, s6
	v_cmp_ge_i32_e64 s6, v50, v49
	s_wait_alu 0xfffe
	s_or_b32 s8, s6, s8
	s_wait_alu 0xfffe
	s_and_not1_b32 exec_lo, exec_lo, s8
	s_cbranch_execnz .LBB59_100
; %bb.101:                              ;   in Loop: Header=BB59_2 Depth=1
	s_or_b32 exec_lo, exec_lo, s8
.LBB59_102:                             ;   in Loop: Header=BB59_2 Depth=1
	s_wait_alu 0xfffe
	s_or_b32 exec_lo, exec_lo, s7
	v_add_nc_u32_e32 v49, v50, v9
	v_sub_nc_u32_e32 v50, v30, v50
                                        ; implicit-def: $vgpr53
	ds_load_u8 v51, v49
	ds_load_u8 v52, v50
	v_cmp_le_i32_e64 s6, v21, v49
	v_cmp_gt_i32_e64 s8, v22, v50
	s_wait_dscnt 0x1
	v_bfe_i32 v51, v51, 0, 8
	s_wait_dscnt 0x0
	v_bfe_i32 v52, v52, 0, 8
	s_delay_alu instid0(VALU_DEP_1)
	v_cmp_lt_i16_e64 s7, v52, v51
	s_or_b32 s6, s6, s7
	s_wait_alu 0xfffe
	s_and_b32 s6, s8, s6
	s_wait_alu 0xfffe
	s_xor_b32 s7, s6, -1
	s_wait_alu 0xfffe
	s_and_saveexec_b32 s8, s7
	s_wait_alu 0xfffe
	s_xor_b32 s7, exec_lo, s8
; %bb.103:                              ;   in Loop: Header=BB59_2 Depth=1
	ds_load_u8 v53, v49 offset:1
; %bb.104:                              ;   in Loop: Header=BB59_2 Depth=1
	s_wait_alu 0xfffe
	s_or_saveexec_b32 s7, s7
	v_mov_b32_e32 v54, v52
	s_wait_alu 0xfffe
	s_xor_b32 exec_lo, exec_lo, s7
	s_cbranch_execz .LBB59_106
; %bb.105:                              ;   in Loop: Header=BB59_2 Depth=1
	ds_load_u8 v54, v50 offset:1
	s_wait_dscnt 0x1
	v_mov_b32_e32 v53, v51
.LBB59_106:                             ;   in Loop: Header=BB59_2 Depth=1
	s_or_b32 exec_lo, exec_lo, s7
	v_add_nc_u32_e32 v55, 1, v49
	v_add_nc_u32_e32 v56, 1, v50
	s_wait_dscnt 0x0
	v_bfe_i32 v57, v53, 0, 8
	v_bfe_i32 v58, v54, 0, 8
	v_cndmask_b32_e64 v55, v55, v49, s6
	v_cndmask_b32_e64 v56, v50, v56, s6
	s_delay_alu instid0(VALU_DEP_3) | instskip(NEXT) | instid1(VALU_DEP_3)
	v_cmp_lt_i16_e64 s8, v58, v57
                                        ; implicit-def: $vgpr57
	v_cmp_ge_i32_e64 s7, v55, v21
	s_delay_alu instid0(VALU_DEP_3)
	v_cmp_lt_i32_e64 s9, v56, v22
	s_or_b32 s7, s7, s8
	s_wait_alu 0xfffe
	s_and_b32 s7, s9, s7
	s_wait_alu 0xfffe
	s_xor_b32 s8, s7, -1
	s_wait_alu 0xfffe
	s_and_saveexec_b32 s9, s8
	s_wait_alu 0xfffe
	s_xor_b32 s8, exec_lo, s9
; %bb.107:                              ;   in Loop: Header=BB59_2 Depth=1
	ds_load_u8 v57, v55 offset:1
; %bb.108:                              ;   in Loop: Header=BB59_2 Depth=1
	s_wait_alu 0xfffe
	s_or_saveexec_b32 s8, s8
	v_mov_b32_e32 v58, v54
	s_wait_alu 0xfffe
	s_xor_b32 exec_lo, exec_lo, s8
	s_cbranch_execz .LBB59_110
; %bb.109:                              ;   in Loop: Header=BB59_2 Depth=1
	ds_load_u8 v58, v56 offset:1
	s_wait_dscnt 0x1
	v_mov_b32_e32 v57, v53
.LBB59_110:                             ;   in Loop: Header=BB59_2 Depth=1
	s_or_b32 exec_lo, exec_lo, s8
	v_add_nc_u32_e32 v59, 1, v55
	v_add_nc_u32_e32 v60, 1, v56
	s_wait_dscnt 0x0
	v_bfe_i32 v61, v57, 0, 8
	v_bfe_i32 v62, v58, 0, 8
	v_cndmask_b32_e64 v59, v59, v55, s7
	v_cndmask_b32_e64 v60, v56, v60, s7
	s_delay_alu instid0(VALU_DEP_3) | instskip(NEXT) | instid1(VALU_DEP_3)
	v_cmp_lt_i16_e64 s9, v62, v61
                                        ; implicit-def: $vgpr61
	v_cmp_ge_i32_e64 s8, v59, v21
	s_delay_alu instid0(VALU_DEP_3)
	v_cmp_lt_i32_e64 s10, v60, v22
	s_or_b32 s8, s8, s9
	s_wait_alu 0xfffe
	s_and_b32 s8, s10, s8
	s_wait_alu 0xfffe
	s_xor_b32 s9, s8, -1
	s_wait_alu 0xfffe
	s_and_saveexec_b32 s10, s9
	s_wait_alu 0xfffe
	s_xor_b32 s9, exec_lo, s10
; %bb.111:                              ;   in Loop: Header=BB59_2 Depth=1
	ds_load_u8 v61, v59 offset:1
; %bb.112:                              ;   in Loop: Header=BB59_2 Depth=1
	s_wait_alu 0xfffe
	s_or_saveexec_b32 s9, s9
	v_mov_b32_e32 v62, v58
	s_wait_alu 0xfffe
	s_xor_b32 exec_lo, exec_lo, s9
	s_cbranch_execz .LBB59_114
; %bb.113:                              ;   in Loop: Header=BB59_2 Depth=1
	ds_load_u8 v62, v60 offset:1
	s_wait_dscnt 0x1
	v_mov_b32_e32 v61, v57
.LBB59_114:                             ;   in Loop: Header=BB59_2 Depth=1
	s_or_b32 exec_lo, exec_lo, s9
	v_add_nc_u32_e32 v63, 1, v59
	v_add_nc_u32_e32 v64, 1, v60
	s_wait_dscnt 0x0
	v_bfe_i32 v65, v61, 0, 8
	v_bfe_i32 v66, v62, 0, 8
	v_cndmask_b32_e64 v63, v63, v59, s8
	v_cndmask_b32_e64 v64, v60, v64, s8
	s_delay_alu instid0(VALU_DEP_3) | instskip(NEXT) | instid1(VALU_DEP_3)
	v_cmp_lt_i16_e64 s10, v66, v65
                                        ; implicit-def: $vgpr65
	v_cmp_ge_i32_e64 s9, v63, v21
	s_delay_alu instid0(VALU_DEP_3)
	v_cmp_lt_i32_e64 s11, v64, v22
	s_or_b32 s9, s9, s10
	s_wait_alu 0xfffe
	s_and_b32 s9, s11, s9
	s_wait_alu 0xfffe
	s_xor_b32 s10, s9, -1
	s_wait_alu 0xfffe
	s_and_saveexec_b32 s11, s10
	s_wait_alu 0xfffe
	s_xor_b32 s10, exec_lo, s11
; %bb.115:                              ;   in Loop: Header=BB59_2 Depth=1
	ds_load_u8 v65, v63 offset:1
; %bb.116:                              ;   in Loop: Header=BB59_2 Depth=1
	s_wait_alu 0xfffe
	s_or_saveexec_b32 s10, s10
	v_mov_b32_e32 v66, v62
	s_wait_alu 0xfffe
	s_xor_b32 exec_lo, exec_lo, s10
	s_cbranch_execz .LBB59_118
; %bb.117:                              ;   in Loop: Header=BB59_2 Depth=1
	ds_load_u8 v66, v64 offset:1
	s_wait_dscnt 0x1
	v_mov_b32_e32 v65, v61
.LBB59_118:                             ;   in Loop: Header=BB59_2 Depth=1
	s_or_b32 exec_lo, exec_lo, s10
	v_add_nc_u32_e32 v67, 1, v63
	v_add_nc_u32_e32 v68, 1, v64
	s_wait_dscnt 0x0
	v_bfe_i32 v69, v65, 0, 8
	v_bfe_i32 v70, v66, 0, 8
	v_cndmask_b32_e64 v67, v67, v63, s9
	v_cndmask_b32_e64 v68, v64, v68, s9
	s_delay_alu instid0(VALU_DEP_3) | instskip(NEXT) | instid1(VALU_DEP_3)
	v_cmp_lt_i16_e64 s11, v70, v69
                                        ; implicit-def: $vgpr69
	v_cmp_ge_i32_e64 s10, v67, v21
	s_delay_alu instid0(VALU_DEP_3)
	v_cmp_lt_i32_e64 s12, v68, v22
	s_or_b32 s10, s10, s11
	s_wait_alu 0xfffe
	s_and_b32 s10, s12, s10
	s_wait_alu 0xfffe
	s_xor_b32 s11, s10, -1
	s_wait_alu 0xfffe
	s_and_saveexec_b32 s12, s11
	s_wait_alu 0xfffe
	s_xor_b32 s11, exec_lo, s12
; %bb.119:                              ;   in Loop: Header=BB59_2 Depth=1
	ds_load_u8 v69, v67 offset:1
; %bb.120:                              ;   in Loop: Header=BB59_2 Depth=1
	s_wait_alu 0xfffe
	s_or_saveexec_b32 s11, s11
	v_mov_b32_e32 v70, v66
	s_wait_alu 0xfffe
	s_xor_b32 exec_lo, exec_lo, s11
	s_cbranch_execz .LBB59_122
; %bb.121:                              ;   in Loop: Header=BB59_2 Depth=1
	ds_load_u8 v70, v68 offset:1
	s_wait_dscnt 0x1
	v_mov_b32_e32 v69, v65
.LBB59_122:                             ;   in Loop: Header=BB59_2 Depth=1
	s_or_b32 exec_lo, exec_lo, s11
	v_add_nc_u32_e32 v71, 1, v67
	v_add_nc_u32_e32 v72, 1, v68
	s_wait_dscnt 0x0
	v_bfe_i32 v73, v69, 0, 8
	v_bfe_i32 v74, v70, 0, 8
	v_cndmask_b32_e64 v71, v71, v67, s10
	v_cndmask_b32_e64 v72, v68, v72, s10
	s_delay_alu instid0(VALU_DEP_3) | instskip(NEXT) | instid1(VALU_DEP_3)
	v_cmp_lt_i16_e64 s12, v74, v73
                                        ; implicit-def: $vgpr74
	v_cmp_ge_i32_e64 s11, v71, v21
	s_delay_alu instid0(VALU_DEP_3)
	v_cmp_lt_i32_e64 s13, v72, v22
	s_or_b32 s11, s11, s12
	s_wait_alu 0xfffe
	s_and_b32 s11, s13, s11
	s_wait_alu 0xfffe
	s_xor_b32 s12, s11, -1
	s_wait_alu 0xfffe
	s_and_saveexec_b32 s13, s12
	s_wait_alu 0xfffe
	s_xor_b32 s12, exec_lo, s13
; %bb.123:                              ;   in Loop: Header=BB59_2 Depth=1
	ds_load_u8 v74, v71 offset:1
; %bb.124:                              ;   in Loop: Header=BB59_2 Depth=1
	s_wait_alu 0xfffe
	s_or_saveexec_b32 s12, s12
	v_mov_b32_e32 v76, v70
	s_wait_alu 0xfffe
	s_xor_b32 exec_lo, exec_lo, s12
	s_cbranch_execz .LBB59_126
; %bb.125:                              ;   in Loop: Header=BB59_2 Depth=1
	ds_load_u8 v76, v72 offset:1
	s_wait_dscnt 0x1
	v_mov_b32_e32 v74, v69
.LBB59_126:                             ;   in Loop: Header=BB59_2 Depth=1
	s_or_b32 exec_lo, exec_lo, s12
	v_add_nc_u32_e32 v73, 1, v71
	v_add_nc_u32_e32 v75, 1, v72
	s_wait_dscnt 0x0
	v_bfe_i32 v79, v74, 0, 8
	s_delay_alu instid0(VALU_DEP_3) | instskip(SKIP_2) | instid1(VALU_DEP_3)
	v_cndmask_b32_e64 v77, v73, v71, s11
	v_bfe_i32 v73, v76, 0, 8
	v_cndmask_b32_e64 v78, v72, v75, s11
	v_cmp_ge_i32_e64 s12, v77, v21
	s_delay_alu instid0(VALU_DEP_3) | instskip(NEXT) | instid1(VALU_DEP_3)
	v_cmp_lt_i16_e64 s13, v73, v79
	v_cmp_lt_i32_e64 s14, v78, v22
                                        ; implicit-def: $vgpr73
	s_or_b32 s12, s12, s13
	s_wait_alu 0xfffe
	s_and_b32 s12, s14, s12
	s_wait_alu 0xfffe
	s_xor_b32 s13, s12, -1
	s_wait_alu 0xfffe
	s_and_saveexec_b32 s14, s13
	s_wait_alu 0xfffe
	s_xor_b32 s13, exec_lo, s14
; %bb.127:                              ;   in Loop: Header=BB59_2 Depth=1
	ds_load_u8 v73, v77 offset:1
; %bb.128:                              ;   in Loop: Header=BB59_2 Depth=1
	s_wait_alu 0xfffe
	s_or_saveexec_b32 s13, s13
	v_mov_b32_e32 v75, v76
	s_wait_alu 0xfffe
	s_xor_b32 exec_lo, exec_lo, s13
	s_cbranch_execz .LBB59_130
; %bb.129:                              ;   in Loop: Header=BB59_2 Depth=1
	ds_load_u8 v75, v78 offset:1
	s_wait_dscnt 0x1
	v_mov_b32_e32 v73, v74
.LBB59_130:                             ;   in Loop: Header=BB59_2 Depth=1
	s_or_b32 exec_lo, exec_lo, s13
	v_add_nc_u32_e32 v80, 1, v77
	v_add_nc_u32_e32 v79, 1, v78
	v_cndmask_b32_e64 v74, v74, v76, s12
	v_cndmask_b32_e64 v76, v77, v78, s12
	;; [unrolled: 1-line block ×5, first 2 shown]
	s_wait_dscnt 0x0
	v_bfe_i32 v63, v73, 0, 8
	v_bfe_i32 v64, v75, 0, 8
	v_cndmask_b32_e64 v78, v78, v79, s12
	v_cndmask_b32_e64 v57, v57, v58, s8
	;; [unrolled: 1-line block ×3, first 2 shown]
	v_cmp_ge_i32_e64 s8, v77, v21
	v_cmp_lt_i16_e64 s9, v64, v63
	v_cndmask_b32_e64 v51, v51, v52, s6
	v_cndmask_b32_e64 v49, v49, v50, s6
	v_cmp_lt_i32_e64 s6, v78, v22
	v_perm_b32 v46, v46, v47, 0xc0c0004
	v_perm_b32 v45, v48, v45, 0xc0c0004
	;; [unrolled: 1-line block ×4, first 2 shown]
	v_cndmask_b32_e64 v53, v53, v54, s7
	v_cndmask_b32_e64 v54, v55, v56, s7
	s_or_b32 s7, s8, s9
	v_cndmask_b32_e64 v69, v69, v70, s11
	s_wait_alu 0xfffe
	s_and_b32 s6, s6, s7
	v_cndmask_b32_e64 v65, v65, v66, s10
	s_wait_alu 0xfffe
	v_cndmask_b32_e64 v4, v73, v75, s6
	v_lshl_or_b32 v2, v45, 16, v46
	v_lshl_or_b32 v1, v3, 16, v1
	s_wait_loadcnt 0x0
	s_barrier_signal -1
	s_barrier_wait -1
	global_inv scope:SCOPE_SE
	ds_store_b64 v5, v[1:2]
	v_lshlrev_b16 v1, 8, v53
	v_and_b32_e32 v2, 0xff, v51
	v_lshlrev_b16 v3, 8, v61
	v_and_b32_e32 v45, 0xff, v57
	;; [unrolled: 2-line block ×3, first 2 shown]
	v_and_b32_e32 v50, 0xff, v74
	v_lshlrev_b16 v4, 8, v4
	v_cndmask_b32_e64 v47, v77, v78, s6
	v_cndmask_b32_e64 v70, v71, v72, s11
	;; [unrolled: 1-line block ×3, first 2 shown]
	s_wait_loadcnt_dscnt 0x0
	s_barrier_signal -1
	s_barrier_wait -1
	global_inv scope:SCOPE_SE
	v_or_b32_e32 v51, v2, v1
	v_or_b32_e32 v52, v45, v3
	;; [unrolled: 1-line block ×4, first 2 shown]
	ds_load_u8 v1, v49
	ds_load_u8 v45, v47
	ds_load_u8 v2, v54
	ds_load_u8 v3, v58
	ds_load_u8 v4, v62
	ds_load_u8 v46, v66
	ds_load_u8 v47, v70
	ds_load_u8 v48, v76
	v_and_b32_e32 v49, 0xffff, v51
	v_lshlrev_b32_e32 v51, 16, v52
	v_and_b32_e32 v52, 0xffff, v53
	v_lshlrev_b32_e32 v50, 16, v50
	s_wait_loadcnt_dscnt 0x0
	s_barrier_signal -1
	v_or_b32_e32 v49, v49, v51
	s_barrier_wait -1
	v_or_b32_e32 v50, v52, v50
	global_inv scope:SCOPE_SE
	ds_store_b64 v5, v[49:50]
	v_mov_b32_e32 v50, v43
	s_wait_loadcnt_dscnt 0x0
	s_barrier_signal -1
	s_barrier_wait -1
	global_inv scope:SCOPE_SE
	s_and_saveexec_b32 s7, s4
	s_cbranch_execz .LBB59_134
; %bb.131:                              ;   in Loop: Header=BB59_2 Depth=1
	v_dual_mov_b32 v50, v43 :: v_dual_mov_b32 v49, v37
	s_mov_b32 s8, 0
.LBB59_132:                             ;   Parent Loop BB59_2 Depth=1
                                        ; =>  This Inner Loop Header: Depth=2
	s_delay_alu instid0(VALU_DEP_1) | instskip(NEXT) | instid1(VALU_DEP_1)
	v_sub_nc_u32_e32 v51, v49, v50
	v_lshrrev_b32_e32 v51, 1, v51
	s_delay_alu instid0(VALU_DEP_1) | instskip(NEXT) | instid1(VALU_DEP_1)
	v_add_nc_u32_e32 v51, v51, v50
	v_add_nc_u32_e32 v52, v10, v51
	v_xad_u32 v53, v51, -1, v31
	v_add_nc_u32_e32 v54, 1, v51
	ds_load_i8 v52, v52
	ds_load_i8 v53, v53
	s_wait_dscnt 0x0
	v_cmp_lt_i16_e64 s6, v53, v52
	s_wait_alu 0xf1ff
	s_delay_alu instid0(VALU_DEP_1) | instskip(SKIP_1) | instid1(VALU_DEP_1)
	v_cndmask_b32_e64 v49, v49, v51, s6
	v_cndmask_b32_e64 v50, v54, v50, s6
	v_cmp_ge_i32_e64 s6, v50, v49
	s_wait_alu 0xfffe
	s_or_b32 s8, s6, s8
	s_wait_alu 0xfffe
	s_and_not1_b32 exec_lo, exec_lo, s8
	s_cbranch_execnz .LBB59_132
; %bb.133:                              ;   in Loop: Header=BB59_2 Depth=1
	s_or_b32 exec_lo, exec_lo, s8
.LBB59_134:                             ;   in Loop: Header=BB59_2 Depth=1
	s_wait_alu 0xfffe
	s_or_b32 exec_lo, exec_lo, s7
	v_add_nc_u32_e32 v49, v50, v10
	v_sub_nc_u32_e32 v50, v31, v50
                                        ; implicit-def: $vgpr53
	ds_load_u8 v51, v49
	ds_load_u8 v52, v50
	v_cmp_le_i32_e64 s6, v23, v49
	v_cmp_gt_i32_e64 s8, v24, v50
	s_wait_dscnt 0x1
	v_bfe_i32 v51, v51, 0, 8
	s_wait_dscnt 0x0
	v_bfe_i32 v52, v52, 0, 8
	s_delay_alu instid0(VALU_DEP_1)
	v_cmp_lt_i16_e64 s7, v52, v51
	s_or_b32 s6, s6, s7
	s_wait_alu 0xfffe
	s_and_b32 s6, s8, s6
	s_wait_alu 0xfffe
	s_xor_b32 s7, s6, -1
	s_wait_alu 0xfffe
	s_and_saveexec_b32 s8, s7
	s_wait_alu 0xfffe
	s_xor_b32 s7, exec_lo, s8
; %bb.135:                              ;   in Loop: Header=BB59_2 Depth=1
	ds_load_u8 v53, v49 offset:1
; %bb.136:                              ;   in Loop: Header=BB59_2 Depth=1
	s_wait_alu 0xfffe
	s_or_saveexec_b32 s7, s7
	v_mov_b32_e32 v54, v52
	s_wait_alu 0xfffe
	s_xor_b32 exec_lo, exec_lo, s7
	s_cbranch_execz .LBB59_138
; %bb.137:                              ;   in Loop: Header=BB59_2 Depth=1
	ds_load_u8 v54, v50 offset:1
	s_wait_dscnt 0x1
	v_mov_b32_e32 v53, v51
.LBB59_138:                             ;   in Loop: Header=BB59_2 Depth=1
	s_or_b32 exec_lo, exec_lo, s7
	v_add_nc_u32_e32 v55, 1, v49
	v_add_nc_u32_e32 v56, 1, v50
	s_wait_dscnt 0x0
	v_bfe_i32 v57, v53, 0, 8
	v_bfe_i32 v58, v54, 0, 8
	v_cndmask_b32_e64 v55, v55, v49, s6
	v_cndmask_b32_e64 v56, v50, v56, s6
	s_delay_alu instid0(VALU_DEP_3) | instskip(NEXT) | instid1(VALU_DEP_3)
	v_cmp_lt_i16_e64 s8, v58, v57
                                        ; implicit-def: $vgpr57
	v_cmp_ge_i32_e64 s7, v55, v23
	s_delay_alu instid0(VALU_DEP_3)
	v_cmp_lt_i32_e64 s9, v56, v24
	s_or_b32 s7, s7, s8
	s_wait_alu 0xfffe
	s_and_b32 s7, s9, s7
	s_wait_alu 0xfffe
	s_xor_b32 s8, s7, -1
	s_wait_alu 0xfffe
	s_and_saveexec_b32 s9, s8
	s_wait_alu 0xfffe
	s_xor_b32 s8, exec_lo, s9
; %bb.139:                              ;   in Loop: Header=BB59_2 Depth=1
	ds_load_u8 v57, v55 offset:1
; %bb.140:                              ;   in Loop: Header=BB59_2 Depth=1
	s_wait_alu 0xfffe
	s_or_saveexec_b32 s8, s8
	v_mov_b32_e32 v58, v54
	s_wait_alu 0xfffe
	s_xor_b32 exec_lo, exec_lo, s8
	s_cbranch_execz .LBB59_142
; %bb.141:                              ;   in Loop: Header=BB59_2 Depth=1
	ds_load_u8 v58, v56 offset:1
	s_wait_dscnt 0x1
	v_mov_b32_e32 v57, v53
.LBB59_142:                             ;   in Loop: Header=BB59_2 Depth=1
	s_or_b32 exec_lo, exec_lo, s8
	v_add_nc_u32_e32 v59, 1, v55
	v_add_nc_u32_e32 v60, 1, v56
	s_wait_dscnt 0x0
	v_bfe_i32 v61, v57, 0, 8
	v_bfe_i32 v62, v58, 0, 8
	v_cndmask_b32_e64 v59, v59, v55, s7
	v_cndmask_b32_e64 v60, v56, v60, s7
	s_delay_alu instid0(VALU_DEP_3) | instskip(NEXT) | instid1(VALU_DEP_3)
	v_cmp_lt_i16_e64 s9, v62, v61
                                        ; implicit-def: $vgpr61
	v_cmp_ge_i32_e64 s8, v59, v23
	s_delay_alu instid0(VALU_DEP_3)
	v_cmp_lt_i32_e64 s10, v60, v24
	s_or_b32 s8, s8, s9
	s_wait_alu 0xfffe
	s_and_b32 s8, s10, s8
	s_wait_alu 0xfffe
	s_xor_b32 s9, s8, -1
	s_wait_alu 0xfffe
	s_and_saveexec_b32 s10, s9
	s_wait_alu 0xfffe
	s_xor_b32 s9, exec_lo, s10
; %bb.143:                              ;   in Loop: Header=BB59_2 Depth=1
	ds_load_u8 v61, v59 offset:1
; %bb.144:                              ;   in Loop: Header=BB59_2 Depth=1
	s_wait_alu 0xfffe
	s_or_saveexec_b32 s9, s9
	v_mov_b32_e32 v62, v58
	s_wait_alu 0xfffe
	s_xor_b32 exec_lo, exec_lo, s9
	s_cbranch_execz .LBB59_146
; %bb.145:                              ;   in Loop: Header=BB59_2 Depth=1
	ds_load_u8 v62, v60 offset:1
	s_wait_dscnt 0x1
	v_mov_b32_e32 v61, v57
.LBB59_146:                             ;   in Loop: Header=BB59_2 Depth=1
	s_or_b32 exec_lo, exec_lo, s9
	v_add_nc_u32_e32 v63, 1, v59
	v_add_nc_u32_e32 v64, 1, v60
	s_wait_dscnt 0x0
	v_bfe_i32 v65, v61, 0, 8
	v_bfe_i32 v66, v62, 0, 8
	v_cndmask_b32_e64 v63, v63, v59, s8
	v_cndmask_b32_e64 v64, v60, v64, s8
	s_delay_alu instid0(VALU_DEP_3) | instskip(NEXT) | instid1(VALU_DEP_3)
	v_cmp_lt_i16_e64 s10, v66, v65
                                        ; implicit-def: $vgpr65
	v_cmp_ge_i32_e64 s9, v63, v23
	s_delay_alu instid0(VALU_DEP_3)
	v_cmp_lt_i32_e64 s11, v64, v24
	s_or_b32 s9, s9, s10
	s_wait_alu 0xfffe
	s_and_b32 s9, s11, s9
	s_wait_alu 0xfffe
	s_xor_b32 s10, s9, -1
	s_wait_alu 0xfffe
	s_and_saveexec_b32 s11, s10
	s_wait_alu 0xfffe
	s_xor_b32 s10, exec_lo, s11
; %bb.147:                              ;   in Loop: Header=BB59_2 Depth=1
	ds_load_u8 v65, v63 offset:1
; %bb.148:                              ;   in Loop: Header=BB59_2 Depth=1
	s_wait_alu 0xfffe
	s_or_saveexec_b32 s10, s10
	v_mov_b32_e32 v66, v62
	s_wait_alu 0xfffe
	s_xor_b32 exec_lo, exec_lo, s10
	s_cbranch_execz .LBB59_150
; %bb.149:                              ;   in Loop: Header=BB59_2 Depth=1
	ds_load_u8 v66, v64 offset:1
	s_wait_dscnt 0x1
	v_mov_b32_e32 v65, v61
.LBB59_150:                             ;   in Loop: Header=BB59_2 Depth=1
	s_or_b32 exec_lo, exec_lo, s10
	v_add_nc_u32_e32 v67, 1, v63
	v_add_nc_u32_e32 v68, 1, v64
	s_wait_dscnt 0x0
	v_bfe_i32 v69, v65, 0, 8
	v_bfe_i32 v70, v66, 0, 8
	v_cndmask_b32_e64 v67, v67, v63, s9
	v_cndmask_b32_e64 v68, v64, v68, s9
	s_delay_alu instid0(VALU_DEP_3) | instskip(NEXT) | instid1(VALU_DEP_3)
	v_cmp_lt_i16_e64 s11, v70, v69
                                        ; implicit-def: $vgpr69
	v_cmp_ge_i32_e64 s10, v67, v23
	s_delay_alu instid0(VALU_DEP_3)
	v_cmp_lt_i32_e64 s12, v68, v24
	s_or_b32 s10, s10, s11
	s_wait_alu 0xfffe
	s_and_b32 s10, s12, s10
	s_wait_alu 0xfffe
	s_xor_b32 s11, s10, -1
	s_wait_alu 0xfffe
	s_and_saveexec_b32 s12, s11
	s_wait_alu 0xfffe
	s_xor_b32 s11, exec_lo, s12
; %bb.151:                              ;   in Loop: Header=BB59_2 Depth=1
	ds_load_u8 v69, v67 offset:1
; %bb.152:                              ;   in Loop: Header=BB59_2 Depth=1
	s_wait_alu 0xfffe
	s_or_saveexec_b32 s11, s11
	v_mov_b32_e32 v70, v66
	s_wait_alu 0xfffe
	s_xor_b32 exec_lo, exec_lo, s11
	s_cbranch_execz .LBB59_154
; %bb.153:                              ;   in Loop: Header=BB59_2 Depth=1
	ds_load_u8 v70, v68 offset:1
	s_wait_dscnt 0x1
	v_mov_b32_e32 v69, v65
.LBB59_154:                             ;   in Loop: Header=BB59_2 Depth=1
	s_or_b32 exec_lo, exec_lo, s11
	v_add_nc_u32_e32 v71, 1, v67
	v_add_nc_u32_e32 v72, 1, v68
	s_wait_dscnt 0x0
	v_bfe_i32 v73, v69, 0, 8
	v_bfe_i32 v74, v70, 0, 8
	v_cndmask_b32_e64 v71, v71, v67, s10
	v_cndmask_b32_e64 v72, v68, v72, s10
	s_delay_alu instid0(VALU_DEP_3) | instskip(NEXT) | instid1(VALU_DEP_3)
	v_cmp_lt_i16_e64 s12, v74, v73
                                        ; implicit-def: $vgpr74
	v_cmp_ge_i32_e64 s11, v71, v23
	s_delay_alu instid0(VALU_DEP_3)
	v_cmp_lt_i32_e64 s13, v72, v24
	s_or_b32 s11, s11, s12
	s_wait_alu 0xfffe
	s_and_b32 s11, s13, s11
	s_wait_alu 0xfffe
	s_xor_b32 s12, s11, -1
	s_wait_alu 0xfffe
	s_and_saveexec_b32 s13, s12
	s_wait_alu 0xfffe
	s_xor_b32 s12, exec_lo, s13
; %bb.155:                              ;   in Loop: Header=BB59_2 Depth=1
	ds_load_u8 v74, v71 offset:1
; %bb.156:                              ;   in Loop: Header=BB59_2 Depth=1
	s_wait_alu 0xfffe
	s_or_saveexec_b32 s12, s12
	v_mov_b32_e32 v76, v70
	s_wait_alu 0xfffe
	s_xor_b32 exec_lo, exec_lo, s12
	s_cbranch_execz .LBB59_158
; %bb.157:                              ;   in Loop: Header=BB59_2 Depth=1
	ds_load_u8 v76, v72 offset:1
	s_wait_dscnt 0x1
	v_mov_b32_e32 v74, v69
.LBB59_158:                             ;   in Loop: Header=BB59_2 Depth=1
	s_or_b32 exec_lo, exec_lo, s12
	v_add_nc_u32_e32 v73, 1, v71
	v_add_nc_u32_e32 v75, 1, v72
	s_wait_dscnt 0x0
	v_bfe_i32 v79, v74, 0, 8
	s_delay_alu instid0(VALU_DEP_3) | instskip(SKIP_2) | instid1(VALU_DEP_3)
	v_cndmask_b32_e64 v77, v73, v71, s11
	v_bfe_i32 v73, v76, 0, 8
	v_cndmask_b32_e64 v78, v72, v75, s11
	v_cmp_ge_i32_e64 s12, v77, v23
	s_delay_alu instid0(VALU_DEP_3) | instskip(NEXT) | instid1(VALU_DEP_3)
	v_cmp_lt_i16_e64 s13, v73, v79
	v_cmp_lt_i32_e64 s14, v78, v24
                                        ; implicit-def: $vgpr73
	s_or_b32 s12, s12, s13
	s_wait_alu 0xfffe
	s_and_b32 s12, s14, s12
	s_wait_alu 0xfffe
	s_xor_b32 s13, s12, -1
	s_wait_alu 0xfffe
	s_and_saveexec_b32 s14, s13
	s_wait_alu 0xfffe
	s_xor_b32 s13, exec_lo, s14
; %bb.159:                              ;   in Loop: Header=BB59_2 Depth=1
	ds_load_u8 v73, v77 offset:1
; %bb.160:                              ;   in Loop: Header=BB59_2 Depth=1
	s_wait_alu 0xfffe
	s_or_saveexec_b32 s13, s13
	v_mov_b32_e32 v75, v76
	s_wait_alu 0xfffe
	s_xor_b32 exec_lo, exec_lo, s13
	s_cbranch_execz .LBB59_162
; %bb.161:                              ;   in Loop: Header=BB59_2 Depth=1
	ds_load_u8 v75, v78 offset:1
	s_wait_dscnt 0x1
	v_mov_b32_e32 v73, v74
.LBB59_162:                             ;   in Loop: Header=BB59_2 Depth=1
	s_or_b32 exec_lo, exec_lo, s13
	v_add_nc_u32_e32 v80, 1, v77
	v_add_nc_u32_e32 v79, 1, v78
	v_cndmask_b32_e64 v74, v74, v76, s12
	v_cndmask_b32_e64 v76, v77, v78, s12
	;; [unrolled: 1-line block ×5, first 2 shown]
	s_wait_dscnt 0x0
	v_bfe_i32 v63, v73, 0, 8
	v_bfe_i32 v64, v75, 0, 8
	v_cndmask_b32_e64 v78, v78, v79, s12
	v_cndmask_b32_e64 v57, v57, v58, s8
	;; [unrolled: 1-line block ×3, first 2 shown]
	v_cmp_ge_i32_e64 s8, v77, v23
	v_cmp_lt_i16_e64 s9, v64, v63
	v_cndmask_b32_e64 v51, v51, v52, s6
	v_cndmask_b32_e64 v49, v49, v50, s6
	v_cmp_lt_i32_e64 s6, v78, v24
	v_perm_b32 v46, v46, v47, 0xc0c0004
	v_perm_b32 v45, v48, v45, 0xc0c0004
	;; [unrolled: 1-line block ×4, first 2 shown]
	v_cndmask_b32_e64 v53, v53, v54, s7
	v_cndmask_b32_e64 v54, v55, v56, s7
	s_or_b32 s7, s8, s9
	v_cndmask_b32_e64 v69, v69, v70, s11
	s_wait_alu 0xfffe
	s_and_b32 s6, s6, s7
	v_cndmask_b32_e64 v65, v65, v66, s10
	s_wait_alu 0xfffe
	v_cndmask_b32_e64 v4, v73, v75, s6
	v_lshl_or_b32 v2, v45, 16, v46
	v_lshl_or_b32 v1, v3, 16, v1
	s_wait_loadcnt 0x0
	s_barrier_signal -1
	s_barrier_wait -1
	global_inv scope:SCOPE_SE
	ds_store_b64 v5, v[1:2]
	v_lshlrev_b16 v1, 8, v53
	v_and_b32_e32 v2, 0xff, v51
	v_lshlrev_b16 v3, 8, v61
	v_and_b32_e32 v45, 0xff, v57
	;; [unrolled: 2-line block ×3, first 2 shown]
	v_and_b32_e32 v50, 0xff, v74
	v_lshlrev_b16 v4, 8, v4
	v_cndmask_b32_e64 v47, v77, v78, s6
	v_cndmask_b32_e64 v70, v71, v72, s11
	;; [unrolled: 1-line block ×3, first 2 shown]
	s_wait_loadcnt_dscnt 0x0
	s_barrier_signal -1
	s_barrier_wait -1
	global_inv scope:SCOPE_SE
	v_or_b32_e32 v51, v2, v1
	v_or_b32_e32 v52, v45, v3
	;; [unrolled: 1-line block ×4, first 2 shown]
	ds_load_u8 v1, v49
	ds_load_u8 v45, v47
	ds_load_u8 v2, v54
	ds_load_u8 v3, v58
	ds_load_u8 v4, v62
	ds_load_u8 v46, v66
	ds_load_u8 v47, v70
	ds_load_u8 v48, v76
	v_and_b32_e32 v49, 0xffff, v51
	v_lshlrev_b32_e32 v51, 16, v52
	v_and_b32_e32 v52, 0xffff, v53
	v_lshlrev_b32_e32 v50, 16, v50
	s_wait_loadcnt_dscnt 0x0
	s_barrier_signal -1
	v_or_b32_e32 v49, v49, v51
	s_barrier_wait -1
	v_or_b32_e32 v50, v52, v50
	global_inv scope:SCOPE_SE
	ds_store_b64 v5, v[49:50]
	v_mov_b32_e32 v50, v44
	s_wait_loadcnt_dscnt 0x0
	s_barrier_signal -1
	s_barrier_wait -1
	global_inv scope:SCOPE_SE
	s_and_saveexec_b32 s7, s5
	s_cbranch_execz .LBB59_166
; %bb.163:                              ;   in Loop: Header=BB59_2 Depth=1
	v_dual_mov_b32 v50, v44 :: v_dual_mov_b32 v49, v38
	s_mov_b32 s8, 0
.LBB59_164:                             ;   Parent Loop BB59_2 Depth=1
                                        ; =>  This Inner Loop Header: Depth=2
	s_delay_alu instid0(VALU_DEP_1) | instskip(NEXT) | instid1(VALU_DEP_1)
	v_sub_nc_u32_e32 v51, v49, v50
	v_lshrrev_b32_e32 v51, 1, v51
	s_delay_alu instid0(VALU_DEP_1) | instskip(NEXT) | instid1(VALU_DEP_1)
	v_add_nc_u32_e32 v51, v51, v50
	v_add_nc_u32_e32 v52, v11, v51
	v_xad_u32 v53, v51, -1, v32
	v_add_nc_u32_e32 v54, 1, v51
	ds_load_i8 v52, v52
	ds_load_i8 v53, v53
	s_wait_dscnt 0x0
	v_cmp_lt_i16_e64 s6, v53, v52
	s_wait_alu 0xf1ff
	s_delay_alu instid0(VALU_DEP_1) | instskip(SKIP_1) | instid1(VALU_DEP_1)
	v_cndmask_b32_e64 v49, v49, v51, s6
	v_cndmask_b32_e64 v50, v54, v50, s6
	v_cmp_ge_i32_e64 s6, v50, v49
	s_wait_alu 0xfffe
	s_or_b32 s8, s6, s8
	s_wait_alu 0xfffe
	s_and_not1_b32 exec_lo, exec_lo, s8
	s_cbranch_execnz .LBB59_164
; %bb.165:                              ;   in Loop: Header=BB59_2 Depth=1
	s_or_b32 exec_lo, exec_lo, s8
.LBB59_166:                             ;   in Loop: Header=BB59_2 Depth=1
	s_wait_alu 0xfffe
	s_or_b32 exec_lo, exec_lo, s7
	v_add_nc_u32_e32 v49, v50, v11
	v_sub_nc_u32_e32 v50, v32, v50
                                        ; implicit-def: $vgpr53
	ds_load_u8 v51, v49
	ds_load_u8 v52, v50
	v_cmp_le_i32_e64 s6, v25, v49
	v_cmp_gt_i32_e64 s8, v26, v50
	s_wait_dscnt 0x1
	v_bfe_i32 v51, v51, 0, 8
	s_wait_dscnt 0x0
	v_bfe_i32 v52, v52, 0, 8
	s_delay_alu instid0(VALU_DEP_1)
	v_cmp_lt_i16_e64 s7, v52, v51
	s_or_b32 s6, s6, s7
	s_wait_alu 0xfffe
	s_and_b32 s6, s8, s6
	s_wait_alu 0xfffe
	s_xor_b32 s7, s6, -1
	s_wait_alu 0xfffe
	s_and_saveexec_b32 s8, s7
	s_wait_alu 0xfffe
	s_xor_b32 s7, exec_lo, s8
; %bb.167:                              ;   in Loop: Header=BB59_2 Depth=1
	ds_load_u8 v53, v49 offset:1
; %bb.168:                              ;   in Loop: Header=BB59_2 Depth=1
	s_wait_alu 0xfffe
	s_or_saveexec_b32 s7, s7
	v_mov_b32_e32 v54, v52
	s_wait_alu 0xfffe
	s_xor_b32 exec_lo, exec_lo, s7
	s_cbranch_execz .LBB59_170
; %bb.169:                              ;   in Loop: Header=BB59_2 Depth=1
	ds_load_u8 v54, v50 offset:1
	s_wait_dscnt 0x1
	v_mov_b32_e32 v53, v51
.LBB59_170:                             ;   in Loop: Header=BB59_2 Depth=1
	s_or_b32 exec_lo, exec_lo, s7
	v_add_nc_u32_e32 v55, 1, v49
	v_add_nc_u32_e32 v56, 1, v50
	s_wait_dscnt 0x0
	v_bfe_i32 v57, v53, 0, 8
	v_bfe_i32 v58, v54, 0, 8
	v_cndmask_b32_e64 v55, v55, v49, s6
	v_cndmask_b32_e64 v56, v50, v56, s6
	s_delay_alu instid0(VALU_DEP_3) | instskip(NEXT) | instid1(VALU_DEP_3)
	v_cmp_lt_i16_e64 s8, v58, v57
                                        ; implicit-def: $vgpr57
	v_cmp_ge_i32_e64 s7, v55, v25
	s_delay_alu instid0(VALU_DEP_3)
	v_cmp_lt_i32_e64 s9, v56, v26
	s_or_b32 s7, s7, s8
	s_wait_alu 0xfffe
	s_and_b32 s7, s9, s7
	s_wait_alu 0xfffe
	s_xor_b32 s8, s7, -1
	s_wait_alu 0xfffe
	s_and_saveexec_b32 s9, s8
	s_wait_alu 0xfffe
	s_xor_b32 s8, exec_lo, s9
; %bb.171:                              ;   in Loop: Header=BB59_2 Depth=1
	ds_load_u8 v57, v55 offset:1
; %bb.172:                              ;   in Loop: Header=BB59_2 Depth=1
	s_wait_alu 0xfffe
	s_or_saveexec_b32 s8, s8
	v_mov_b32_e32 v58, v54
	s_wait_alu 0xfffe
	s_xor_b32 exec_lo, exec_lo, s8
	s_cbranch_execz .LBB59_174
; %bb.173:                              ;   in Loop: Header=BB59_2 Depth=1
	ds_load_u8 v58, v56 offset:1
	s_wait_dscnt 0x1
	v_mov_b32_e32 v57, v53
.LBB59_174:                             ;   in Loop: Header=BB59_2 Depth=1
	s_or_b32 exec_lo, exec_lo, s8
	v_add_nc_u32_e32 v59, 1, v55
	v_add_nc_u32_e32 v60, 1, v56
	s_wait_dscnt 0x0
	v_bfe_i32 v61, v57, 0, 8
	v_bfe_i32 v62, v58, 0, 8
	v_cndmask_b32_e64 v59, v59, v55, s7
	v_cndmask_b32_e64 v60, v56, v60, s7
	s_delay_alu instid0(VALU_DEP_3) | instskip(NEXT) | instid1(VALU_DEP_3)
	v_cmp_lt_i16_e64 s9, v62, v61
                                        ; implicit-def: $vgpr61
	v_cmp_ge_i32_e64 s8, v59, v25
	s_delay_alu instid0(VALU_DEP_3)
	v_cmp_lt_i32_e64 s10, v60, v26
	s_or_b32 s8, s8, s9
	s_wait_alu 0xfffe
	s_and_b32 s8, s10, s8
	s_wait_alu 0xfffe
	s_xor_b32 s9, s8, -1
	s_wait_alu 0xfffe
	s_and_saveexec_b32 s10, s9
	s_wait_alu 0xfffe
	s_xor_b32 s9, exec_lo, s10
; %bb.175:                              ;   in Loop: Header=BB59_2 Depth=1
	ds_load_u8 v61, v59 offset:1
; %bb.176:                              ;   in Loop: Header=BB59_2 Depth=1
	s_wait_alu 0xfffe
	s_or_saveexec_b32 s9, s9
	v_mov_b32_e32 v62, v58
	s_wait_alu 0xfffe
	s_xor_b32 exec_lo, exec_lo, s9
	s_cbranch_execz .LBB59_178
; %bb.177:                              ;   in Loop: Header=BB59_2 Depth=1
	ds_load_u8 v62, v60 offset:1
	s_wait_dscnt 0x1
	v_mov_b32_e32 v61, v57
.LBB59_178:                             ;   in Loop: Header=BB59_2 Depth=1
	s_or_b32 exec_lo, exec_lo, s9
	v_add_nc_u32_e32 v63, 1, v59
	v_add_nc_u32_e32 v64, 1, v60
	s_wait_dscnt 0x0
	v_bfe_i32 v65, v61, 0, 8
	v_bfe_i32 v66, v62, 0, 8
	v_cndmask_b32_e64 v63, v63, v59, s8
	v_cndmask_b32_e64 v64, v60, v64, s8
	s_delay_alu instid0(VALU_DEP_3) | instskip(NEXT) | instid1(VALU_DEP_3)
	v_cmp_lt_i16_e64 s10, v66, v65
                                        ; implicit-def: $vgpr65
	v_cmp_ge_i32_e64 s9, v63, v25
	s_delay_alu instid0(VALU_DEP_3)
	v_cmp_lt_i32_e64 s11, v64, v26
	s_or_b32 s9, s9, s10
	s_wait_alu 0xfffe
	s_and_b32 s9, s11, s9
	s_wait_alu 0xfffe
	s_xor_b32 s10, s9, -1
	s_wait_alu 0xfffe
	s_and_saveexec_b32 s11, s10
	s_wait_alu 0xfffe
	s_xor_b32 s10, exec_lo, s11
; %bb.179:                              ;   in Loop: Header=BB59_2 Depth=1
	ds_load_u8 v65, v63 offset:1
; %bb.180:                              ;   in Loop: Header=BB59_2 Depth=1
	s_wait_alu 0xfffe
	s_or_saveexec_b32 s10, s10
	v_mov_b32_e32 v66, v62
	s_wait_alu 0xfffe
	s_xor_b32 exec_lo, exec_lo, s10
	s_cbranch_execz .LBB59_182
; %bb.181:                              ;   in Loop: Header=BB59_2 Depth=1
	ds_load_u8 v66, v64 offset:1
	s_wait_dscnt 0x1
	v_mov_b32_e32 v65, v61
.LBB59_182:                             ;   in Loop: Header=BB59_2 Depth=1
	s_or_b32 exec_lo, exec_lo, s10
	v_add_nc_u32_e32 v67, 1, v63
	v_add_nc_u32_e32 v68, 1, v64
	s_wait_dscnt 0x0
	v_bfe_i32 v69, v65, 0, 8
	v_bfe_i32 v70, v66, 0, 8
	v_cndmask_b32_e64 v67, v67, v63, s9
	v_cndmask_b32_e64 v68, v64, v68, s9
	s_delay_alu instid0(VALU_DEP_3) | instskip(NEXT) | instid1(VALU_DEP_3)
	v_cmp_lt_i16_e64 s11, v70, v69
                                        ; implicit-def: $vgpr69
	v_cmp_ge_i32_e64 s10, v67, v25
	s_delay_alu instid0(VALU_DEP_3)
	v_cmp_lt_i32_e64 s12, v68, v26
	s_or_b32 s10, s10, s11
	s_wait_alu 0xfffe
	s_and_b32 s10, s12, s10
	s_wait_alu 0xfffe
	s_xor_b32 s11, s10, -1
	s_wait_alu 0xfffe
	s_and_saveexec_b32 s12, s11
	s_wait_alu 0xfffe
	s_xor_b32 s11, exec_lo, s12
; %bb.183:                              ;   in Loop: Header=BB59_2 Depth=1
	ds_load_u8 v69, v67 offset:1
; %bb.184:                              ;   in Loop: Header=BB59_2 Depth=1
	s_wait_alu 0xfffe
	s_or_saveexec_b32 s11, s11
	v_mov_b32_e32 v70, v66
	s_wait_alu 0xfffe
	s_xor_b32 exec_lo, exec_lo, s11
	s_cbranch_execz .LBB59_186
; %bb.185:                              ;   in Loop: Header=BB59_2 Depth=1
	ds_load_u8 v70, v68 offset:1
	s_wait_dscnt 0x1
	v_mov_b32_e32 v69, v65
.LBB59_186:                             ;   in Loop: Header=BB59_2 Depth=1
	s_or_b32 exec_lo, exec_lo, s11
	v_add_nc_u32_e32 v71, 1, v67
	v_add_nc_u32_e32 v72, 1, v68
	s_wait_dscnt 0x0
	v_bfe_i32 v73, v69, 0, 8
	v_bfe_i32 v74, v70, 0, 8
	v_cndmask_b32_e64 v71, v71, v67, s10
	v_cndmask_b32_e64 v72, v68, v72, s10
	s_delay_alu instid0(VALU_DEP_3) | instskip(NEXT) | instid1(VALU_DEP_3)
	v_cmp_lt_i16_e64 s12, v74, v73
                                        ; implicit-def: $vgpr74
	v_cmp_ge_i32_e64 s11, v71, v25
	s_delay_alu instid0(VALU_DEP_3)
	v_cmp_lt_i32_e64 s13, v72, v26
	s_or_b32 s11, s11, s12
	s_wait_alu 0xfffe
	s_and_b32 s11, s13, s11
	s_wait_alu 0xfffe
	s_xor_b32 s12, s11, -1
	s_wait_alu 0xfffe
	s_and_saveexec_b32 s13, s12
	s_wait_alu 0xfffe
	s_xor_b32 s12, exec_lo, s13
; %bb.187:                              ;   in Loop: Header=BB59_2 Depth=1
	ds_load_u8 v74, v71 offset:1
; %bb.188:                              ;   in Loop: Header=BB59_2 Depth=1
	s_wait_alu 0xfffe
	s_or_saveexec_b32 s12, s12
	v_mov_b32_e32 v76, v70
	s_wait_alu 0xfffe
	s_xor_b32 exec_lo, exec_lo, s12
	s_cbranch_execz .LBB59_190
; %bb.189:                              ;   in Loop: Header=BB59_2 Depth=1
	ds_load_u8 v76, v72 offset:1
	s_wait_dscnt 0x1
	v_mov_b32_e32 v74, v69
.LBB59_190:                             ;   in Loop: Header=BB59_2 Depth=1
	s_or_b32 exec_lo, exec_lo, s12
	v_add_nc_u32_e32 v73, 1, v71
	v_add_nc_u32_e32 v75, 1, v72
	s_wait_dscnt 0x0
	v_bfe_i32 v79, v74, 0, 8
	s_delay_alu instid0(VALU_DEP_3) | instskip(SKIP_2) | instid1(VALU_DEP_3)
	v_cndmask_b32_e64 v77, v73, v71, s11
	v_bfe_i32 v73, v76, 0, 8
	v_cndmask_b32_e64 v78, v72, v75, s11
	v_cmp_ge_i32_e64 s12, v77, v25
	s_delay_alu instid0(VALU_DEP_3) | instskip(NEXT) | instid1(VALU_DEP_3)
	v_cmp_lt_i16_e64 s13, v73, v79
	v_cmp_lt_i32_e64 s14, v78, v26
                                        ; implicit-def: $vgpr73
	s_or_b32 s12, s12, s13
	s_wait_alu 0xfffe
	s_and_b32 s12, s14, s12
	s_wait_alu 0xfffe
	s_xor_b32 s13, s12, -1
	s_wait_alu 0xfffe
	s_and_saveexec_b32 s14, s13
	s_wait_alu 0xfffe
	s_xor_b32 s13, exec_lo, s14
; %bb.191:                              ;   in Loop: Header=BB59_2 Depth=1
	ds_load_u8 v73, v77 offset:1
; %bb.192:                              ;   in Loop: Header=BB59_2 Depth=1
	s_wait_alu 0xfffe
	s_or_saveexec_b32 s13, s13
	v_mov_b32_e32 v75, v76
	s_wait_alu 0xfffe
	s_xor_b32 exec_lo, exec_lo, s13
	s_cbranch_execz .LBB59_194
; %bb.193:                              ;   in Loop: Header=BB59_2 Depth=1
	ds_load_u8 v75, v78 offset:1
	s_wait_dscnt 0x1
	v_mov_b32_e32 v73, v74
.LBB59_194:                             ;   in Loop: Header=BB59_2 Depth=1
	s_or_b32 exec_lo, exec_lo, s13
	v_add_nc_u32_e32 v80, 1, v77
	v_add_nc_u32_e32 v79, 1, v78
	v_cndmask_b32_e64 v74, v74, v76, s12
	v_cndmask_b32_e64 v76, v77, v78, s12
	;; [unrolled: 1-line block ×5, first 2 shown]
	s_wait_dscnt 0x0
	v_bfe_i32 v63, v73, 0, 8
	v_bfe_i32 v64, v75, 0, 8
	v_cndmask_b32_e64 v78, v78, v79, s12
	v_cndmask_b32_e64 v57, v57, v58, s8
	;; [unrolled: 1-line block ×3, first 2 shown]
	v_cmp_ge_i32_e64 s8, v77, v25
	v_cmp_lt_i16_e64 s9, v64, v63
	v_cndmask_b32_e64 v51, v51, v52, s6
	v_cndmask_b32_e64 v49, v49, v50, s6
	v_cmp_lt_i32_e64 s6, v78, v26
	v_perm_b32 v46, v46, v47, 0xc0c0004
	v_perm_b32 v45, v48, v45, 0xc0c0004
	;; [unrolled: 1-line block ×4, first 2 shown]
	v_cndmask_b32_e64 v53, v53, v54, s7
	v_cndmask_b32_e64 v54, v55, v56, s7
	s_or_b32 s7, s8, s9
	v_cndmask_b32_e64 v69, v69, v70, s11
	s_wait_alu 0xfffe
	s_and_b32 s6, s6, s7
	v_cndmask_b32_e64 v65, v65, v66, s10
	s_wait_alu 0xfffe
	v_cndmask_b32_e64 v4, v73, v75, s6
	v_lshl_or_b32 v2, v45, 16, v46
	v_lshl_or_b32 v1, v3, 16, v1
	s_wait_loadcnt 0x0
	s_barrier_signal -1
	s_barrier_wait -1
	global_inv scope:SCOPE_SE
	ds_store_b64 v5, v[1:2]
	v_lshlrev_b16 v1, 8, v53
	v_and_b32_e32 v2, 0xff, v51
	v_lshlrev_b16 v3, 8, v61
	v_and_b32_e32 v45, 0xff, v57
	v_lshlrev_b16 v46, 8, v69
	v_and_b32_e32 v48, 0xff, v65
	v_and_b32_e32 v50, 0xff, v74
	v_lshlrev_b16 v4, 8, v4
	v_cndmask_b32_e64 v47, v77, v78, s6
	v_cndmask_b32_e64 v70, v71, v72, s11
	;; [unrolled: 1-line block ×3, first 2 shown]
	s_wait_loadcnt_dscnt 0x0
	s_barrier_signal -1
	s_barrier_wait -1
	global_inv scope:SCOPE_SE
	v_or_b32_e32 v51, v2, v1
	v_or_b32_e32 v52, v45, v3
	;; [unrolled: 1-line block ×4, first 2 shown]
	ds_load_u8 v1, v49
	ds_load_u8 v45, v47
	;; [unrolled: 1-line block ×8, first 2 shown]
	v_and_b32_e32 v49, 0xffff, v51
	v_lshlrev_b32_e32 v51, 16, v52
	v_and_b32_e32 v52, 0xffff, v53
	v_lshlrev_b32_e32 v50, 16, v50
	s_wait_loadcnt_dscnt 0x0
	s_barrier_signal -1
	v_or_b32_e32 v49, v49, v51
	s_barrier_wait -1
	v_or_b32_e32 v50, v52, v50
	global_inv scope:SCOPE_SE
	ds_store_b64 v5, v[49:50]
	v_mov_b32_e32 v49, v12
	s_wait_loadcnt_dscnt 0x0
	s_barrier_signal -1
	s_barrier_wait -1
	global_inv scope:SCOPE_SE
	s_and_saveexec_b32 s7, vcc_lo
	s_cbranch_execz .LBB59_198
; %bb.195:                              ;   in Loop: Header=BB59_2 Depth=1
	v_dual_mov_b32 v49, v12 :: v_dual_mov_b32 v50, v13
	s_mov_b32 s8, 0
.LBB59_196:                             ;   Parent Loop BB59_2 Depth=1
                                        ; =>  This Inner Loop Header: Depth=2
	s_delay_alu instid0(VALU_DEP_1) | instskip(NEXT) | instid1(VALU_DEP_1)
	v_sub_nc_u32_e32 v51, v50, v49
	v_lshrrev_b32_e32 v51, 1, v51
	s_delay_alu instid0(VALU_DEP_1) | instskip(NEXT) | instid1(VALU_DEP_1)
	v_add_nc_u32_e32 v51, v51, v49
	v_xad_u32 v52, v51, -1, v14
	v_add_nc_u32_e32 v54, 1, v51
	ds_load_i8 v53, v51
	ds_load_i8 v52, v52
	s_wait_dscnt 0x0
	v_cmp_lt_i16_e64 s6, v52, v53
	s_wait_alu 0xf1ff
	s_delay_alu instid0(VALU_DEP_1) | instskip(SKIP_1) | instid1(VALU_DEP_1)
	v_cndmask_b32_e64 v50, v50, v51, s6
	v_cndmask_b32_e64 v49, v54, v49, s6
	v_cmp_ge_i32_e64 s6, v49, v50
	s_wait_alu 0xfffe
	s_or_b32 s8, s6, s8
	s_wait_alu 0xfffe
	s_and_not1_b32 exec_lo, exec_lo, s8
	s_cbranch_execnz .LBB59_196
; %bb.197:                              ;   in Loop: Header=BB59_2 Depth=1
	s_or_b32 exec_lo, exec_lo, s8
.LBB59_198:                             ;   in Loop: Header=BB59_2 Depth=1
	s_wait_alu 0xfffe
	s_or_b32 exec_lo, exec_lo, s7
	v_sub_nc_u32_e32 v50, v14, v49
	v_cmp_le_i32_e64 s6, 0x200, v49
                                        ; implicit-def: $vgpr53
	ds_load_u8 v51, v49
	ds_load_u8 v52, v50
	v_cmp_gt_i32_e64 s8, 0x400, v50
	s_wait_dscnt 0x1
	v_bfe_i32 v51, v51, 0, 8
	s_wait_dscnt 0x0
	v_bfe_i32 v52, v52, 0, 8
	s_delay_alu instid0(VALU_DEP_1)
	v_cmp_lt_i16_e64 s7, v52, v51
	s_or_b32 s6, s6, s7
	s_wait_alu 0xfffe
	s_and_b32 s6, s8, s6
	s_wait_alu 0xfffe
	s_xor_b32 s7, s6, -1
	s_wait_alu 0xfffe
	s_and_saveexec_b32 s8, s7
	s_wait_alu 0xfffe
	s_xor_b32 s7, exec_lo, s8
; %bb.199:                              ;   in Loop: Header=BB59_2 Depth=1
	ds_load_u8 v53, v49 offset:1
; %bb.200:                              ;   in Loop: Header=BB59_2 Depth=1
	s_wait_alu 0xfffe
	s_or_saveexec_b32 s7, s7
	v_mov_b32_e32 v56, v52
	s_wait_alu 0xfffe
	s_xor_b32 exec_lo, exec_lo, s7
	s_cbranch_execz .LBB59_202
; %bb.201:                              ;   in Loop: Header=BB59_2 Depth=1
	ds_load_u8 v56, v50 offset:1
	s_wait_dscnt 0x1
	v_mov_b32_e32 v53, v51
.LBB59_202:                             ;   in Loop: Header=BB59_2 Depth=1
	s_or_b32 exec_lo, exec_lo, s7
	v_add_nc_u32_e32 v54, 1, v49
	v_add_nc_u32_e32 v55, 1, v50
	s_wait_dscnt 0x0
	v_bfe_i32 v57, v53, 0, 8
	v_bfe_i32 v58, v56, 0, 8
	v_cndmask_b32_e64 v54, v54, v49, s6
	v_cndmask_b32_e64 v55, v50, v55, s6
	s_delay_alu instid0(VALU_DEP_3) | instskip(NEXT) | instid1(VALU_DEP_3)
	v_cmp_lt_i16_e64 s8, v58, v57
                                        ; implicit-def: $vgpr57
	v_cmp_le_i32_e64 s7, 0x200, v54
	s_delay_alu instid0(VALU_DEP_3)
	v_cmp_gt_i32_e64 s9, 0x400, v55
	s_or_b32 s7, s7, s8
	s_wait_alu 0xfffe
	s_and_b32 s7, s9, s7
	s_wait_alu 0xfffe
	s_xor_b32 s8, s7, -1
	s_wait_alu 0xfffe
	s_and_saveexec_b32 s9, s8
	s_wait_alu 0xfffe
	s_xor_b32 s8, exec_lo, s9
; %bb.203:                              ;   in Loop: Header=BB59_2 Depth=1
	ds_load_u8 v57, v54 offset:1
; %bb.204:                              ;   in Loop: Header=BB59_2 Depth=1
	s_wait_alu 0xfffe
	s_or_saveexec_b32 s8, s8
	v_mov_b32_e32 v59, v56
	s_wait_alu 0xfffe
	s_xor_b32 exec_lo, exec_lo, s8
	s_cbranch_execz .LBB59_206
; %bb.205:                              ;   in Loop: Header=BB59_2 Depth=1
	ds_load_u8 v59, v55 offset:1
	s_wait_dscnt 0x1
	v_mov_b32_e32 v57, v53
.LBB59_206:                             ;   in Loop: Header=BB59_2 Depth=1
	s_or_b32 exec_lo, exec_lo, s8
	v_add_nc_u32_e32 v58, 1, v54
	v_add_nc_u32_e32 v60, 1, v55
	s_wait_dscnt 0x0
	v_bfe_i32 v61, v57, 0, 8
	v_bfe_i32 v62, v59, 0, 8
	v_cndmask_b32_e64 v58, v58, v54, s7
	v_cndmask_b32_e64 v60, v55, v60, s7
	s_delay_alu instid0(VALU_DEP_3) | instskip(NEXT) | instid1(VALU_DEP_3)
	v_cmp_lt_i16_e64 s9, v62, v61
                                        ; implicit-def: $vgpr61
	v_cmp_le_i32_e64 s8, 0x200, v58
	s_delay_alu instid0(VALU_DEP_3)
	v_cmp_gt_i32_e64 s10, 0x400, v60
	s_or_b32 s8, s8, s9
	s_wait_alu 0xfffe
	s_and_b32 s8, s10, s8
	s_wait_alu 0xfffe
	s_xor_b32 s9, s8, -1
	s_wait_alu 0xfffe
	s_and_saveexec_b32 s10, s9
	s_wait_alu 0xfffe
	s_xor_b32 s9, exec_lo, s10
; %bb.207:                              ;   in Loop: Header=BB59_2 Depth=1
	ds_load_u8 v61, v58 offset:1
; %bb.208:                              ;   in Loop: Header=BB59_2 Depth=1
	s_wait_alu 0xfffe
	s_or_saveexec_b32 s9, s9
	v_mov_b32_e32 v62, v59
	s_wait_alu 0xfffe
	s_xor_b32 exec_lo, exec_lo, s9
	s_cbranch_execz .LBB59_210
; %bb.209:                              ;   in Loop: Header=BB59_2 Depth=1
	ds_load_u8 v62, v60 offset:1
	s_wait_dscnt 0x1
	v_mov_b32_e32 v61, v57
.LBB59_210:                             ;   in Loop: Header=BB59_2 Depth=1
	s_or_b32 exec_lo, exec_lo, s9
	v_add_nc_u32_e32 v63, 1, v58
	v_add_nc_u32_e32 v64, 1, v60
	s_wait_dscnt 0x0
	v_bfe_i32 v65, v61, 0, 8
	v_bfe_i32 v66, v62, 0, 8
	v_cndmask_b32_e64 v63, v63, v58, s8
	v_cndmask_b32_e64 v64, v60, v64, s8
	s_delay_alu instid0(VALU_DEP_3) | instskip(NEXT) | instid1(VALU_DEP_3)
	v_cmp_lt_i16_e64 s10, v66, v65
                                        ; implicit-def: $vgpr65
	v_cmp_le_i32_e64 s9, 0x200, v63
	s_delay_alu instid0(VALU_DEP_3)
	v_cmp_gt_i32_e64 s11, 0x400, v64
	s_or_b32 s9, s9, s10
	s_wait_alu 0xfffe
	s_and_b32 s9, s11, s9
	s_wait_alu 0xfffe
	s_xor_b32 s10, s9, -1
	s_wait_alu 0xfffe
	s_and_saveexec_b32 s11, s10
	s_wait_alu 0xfffe
	s_xor_b32 s10, exec_lo, s11
; %bb.211:                              ;   in Loop: Header=BB59_2 Depth=1
	ds_load_u8 v65, v63 offset:1
; %bb.212:                              ;   in Loop: Header=BB59_2 Depth=1
	s_wait_alu 0xfffe
	s_or_saveexec_b32 s10, s10
	v_mov_b32_e32 v66, v62
	s_wait_alu 0xfffe
	s_xor_b32 exec_lo, exec_lo, s10
	s_cbranch_execz .LBB59_214
; %bb.213:                              ;   in Loop: Header=BB59_2 Depth=1
	ds_load_u8 v66, v64 offset:1
	s_wait_dscnt 0x1
	v_mov_b32_e32 v65, v61
.LBB59_214:                             ;   in Loop: Header=BB59_2 Depth=1
	s_or_b32 exec_lo, exec_lo, s10
	v_add_nc_u32_e32 v67, 1, v63
	v_add_nc_u32_e32 v68, 1, v64
	s_wait_dscnt 0x0
	v_bfe_i32 v69, v65, 0, 8
	v_bfe_i32 v70, v66, 0, 8
	v_cndmask_b32_e64 v67, v67, v63, s9
	v_cndmask_b32_e64 v68, v64, v68, s9
	s_delay_alu instid0(VALU_DEP_3) | instskip(NEXT) | instid1(VALU_DEP_3)
	v_cmp_lt_i16_e64 s11, v70, v69
                                        ; implicit-def: $vgpr69
	v_cmp_le_i32_e64 s10, 0x200, v67
	s_delay_alu instid0(VALU_DEP_3)
	v_cmp_gt_i32_e64 s12, 0x400, v68
	s_or_b32 s10, s10, s11
	s_wait_alu 0xfffe
	s_and_b32 s10, s12, s10
	s_wait_alu 0xfffe
	s_xor_b32 s11, s10, -1
	s_wait_alu 0xfffe
	s_and_saveexec_b32 s12, s11
	s_wait_alu 0xfffe
	s_xor_b32 s11, exec_lo, s12
; %bb.215:                              ;   in Loop: Header=BB59_2 Depth=1
	ds_load_u8 v69, v67 offset:1
; %bb.216:                              ;   in Loop: Header=BB59_2 Depth=1
	s_wait_alu 0xfffe
	s_or_saveexec_b32 s11, s11
	v_mov_b32_e32 v70, v66
	s_wait_alu 0xfffe
	s_xor_b32 exec_lo, exec_lo, s11
	s_cbranch_execz .LBB59_218
; %bb.217:                              ;   in Loop: Header=BB59_2 Depth=1
	ds_load_u8 v70, v68 offset:1
	s_wait_dscnt 0x1
	v_mov_b32_e32 v69, v65
.LBB59_218:                             ;   in Loop: Header=BB59_2 Depth=1
	s_or_b32 exec_lo, exec_lo, s11
	v_add_nc_u32_e32 v71, 1, v67
	v_add_nc_u32_e32 v73, 1, v68
	s_wait_dscnt 0x0
	v_bfe_i32 v74, v69, 0, 8
	s_delay_alu instid0(VALU_DEP_3) | instskip(SKIP_2) | instid1(VALU_DEP_3)
	v_cndmask_b32_e64 v72, v71, v67, s10
	v_bfe_i32 v71, v70, 0, 8
	v_cndmask_b32_e64 v73, v68, v73, s10
	v_cmp_le_i32_e64 s11, 0x200, v72
	s_delay_alu instid0(VALU_DEP_3) | instskip(NEXT) | instid1(VALU_DEP_3)
	v_cmp_lt_i16_e64 s12, v71, v74
	v_cmp_gt_i32_e64 s13, 0x400, v73
                                        ; implicit-def: $vgpr74
	s_or_b32 s11, s11, s12
	s_wait_alu 0xfffe
	s_and_b32 s11, s13, s11
	s_wait_alu 0xfffe
	s_xor_b32 s12, s11, -1
	s_wait_alu 0xfffe
	s_and_saveexec_b32 s13, s12
	s_wait_alu 0xfffe
	s_xor_b32 s12, exec_lo, s13
; %bb.219:                              ;   in Loop: Header=BB59_2 Depth=1
	ds_load_u8 v74, v72 offset:1
; %bb.220:                              ;   in Loop: Header=BB59_2 Depth=1
	s_wait_alu 0xfffe
	s_or_saveexec_b32 s12, s12
	v_mov_b32_e32 v77, v70
	s_wait_alu 0xfffe
	s_xor_b32 exec_lo, exec_lo, s12
	s_cbranch_execz .LBB59_222
; %bb.221:                              ;   in Loop: Header=BB59_2 Depth=1
	ds_load_u8 v77, v73 offset:1
	s_wait_dscnt 0x1
	v_mov_b32_e32 v74, v69
.LBB59_222:                             ;   in Loop: Header=BB59_2 Depth=1
	s_or_b32 exec_lo, exec_lo, s12
	v_add_nc_u32_e32 v71, 1, v72
	v_add_nc_u32_e32 v75, 1, v73
	s_wait_dscnt 0x0
	v_bfe_i32 v76, v74, 0, 8
	v_bfe_i32 v78, v77, 0, 8
                                        ; implicit-def: $vgpr79
	v_cndmask_b32_e64 v71, v71, v72, s11
	v_cndmask_b32_e64 v75, v73, v75, s11
	s_delay_alu instid0(VALU_DEP_3) | instskip(NEXT) | instid1(VALU_DEP_3)
	v_cmp_lt_i16_e64 s13, v78, v76
                                        ; implicit-def: $vgpr78
	v_cmp_le_i32_e64 s12, 0x200, v71
	s_delay_alu instid0(VALU_DEP_3)
	v_cmp_gt_i32_e64 s14, 0x400, v75
	s_or_b32 s12, s12, s13
	s_wait_alu 0xfffe
	s_and_b32 s12, s14, s12
	s_wait_alu 0xfffe
	s_xor_b32 s13, s12, -1
	s_wait_alu 0xfffe
	s_and_saveexec_b32 s14, s13
	s_wait_alu 0xfffe
	s_xor_b32 s13, exec_lo, s14
; %bb.223:                              ;   in Loop: Header=BB59_2 Depth=1
	ds_load_u8 v79, v71 offset:1
	v_add_nc_u32_e32 v78, 1, v71
; %bb.224:                              ;   in Loop: Header=BB59_2 Depth=1
	s_wait_alu 0xfffe
	s_or_saveexec_b32 s13, s13
	v_mov_b32_e32 v76, v71
	v_mov_b32_e32 v80, v77
	s_wait_alu 0xfffe
	s_xor_b32 exec_lo, exec_lo, s13
	s_cbranch_execz .LBB59_1
; %bb.225:                              ;   in Loop: Header=BB59_2 Depth=1
	ds_load_u8 v80, v75 offset:1
	s_wait_dscnt 0x1
	v_dual_mov_b32 v76, v75 :: v_dual_add_nc_u32 v79, 1, v75
	s_delay_alu instid0(VALU_DEP_1)
	v_dual_mov_b32 v78, v71 :: v_dual_mov_b32 v75, v79
	v_mov_b32_e32 v79, v74
	s_branch .LBB59_1
.LBB59_226:
	s_add_nc_u64 s[0:1], s[46:47], s[48:49]
	v_add_nc_u16 v2, v71, v46
	s_wait_alu 0xfffe
	v_add_co_u32 v0, s0, s0, v0
	s_wait_alu 0xf1ff
	v_add_co_ci_u32_e64 v1, null, s1, 0, s0
	v_add_nc_u16 v5, v56, v50
	v_add_nc_u16 v6, v57, v54
	v_add_nc_u16 v7, v59, v55
	v_add_nc_u16 v8, v51, v47
	v_add_nc_u16 v9, v52, v48
	v_add_nc_u16 v4, v53, v4
	v_add_nc_u16 v3, v3, v45
	s_clause 0x7
	global_store_b8 v[0:1], v2, off
	global_store_b8 v[0:1], v5, off offset:128
	global_store_b8 v[0:1], v6, off offset:256
	;; [unrolled: 1-line block ×7, first 2 shown]
	s_endpgm
	.section	.rodata,"a",@progbits
	.p2align	6, 0x0
	.amdhsa_kernel _Z17sort_pairs_kernelIaLj128ELj8EN10test_utils4lessELj10EEvPKT_PS2_T2_
		.amdhsa_group_segment_fixed_size 1025
		.amdhsa_private_segment_fixed_size 0
		.amdhsa_kernarg_size 20
		.amdhsa_user_sgpr_count 2
		.amdhsa_user_sgpr_dispatch_ptr 0
		.amdhsa_user_sgpr_queue_ptr 0
		.amdhsa_user_sgpr_kernarg_segment_ptr 1
		.amdhsa_user_sgpr_dispatch_id 0
		.amdhsa_user_sgpr_private_segment_size 0
		.amdhsa_wavefront_size32 1
		.amdhsa_uses_dynamic_stack 0
		.amdhsa_enable_private_segment 0
		.amdhsa_system_sgpr_workgroup_id_x 1
		.amdhsa_system_sgpr_workgroup_id_y 0
		.amdhsa_system_sgpr_workgroup_id_z 0
		.amdhsa_system_sgpr_workgroup_info 0
		.amdhsa_system_vgpr_workitem_id 0
		.amdhsa_next_free_vgpr 81
		.amdhsa_next_free_sgpr 50
		.amdhsa_reserve_vcc 1
		.amdhsa_float_round_mode_32 0
		.amdhsa_float_round_mode_16_64 0
		.amdhsa_float_denorm_mode_32 3
		.amdhsa_float_denorm_mode_16_64 3
		.amdhsa_fp16_overflow 0
		.amdhsa_workgroup_processor_mode 1
		.amdhsa_memory_ordered 1
		.amdhsa_forward_progress 1
		.amdhsa_inst_pref_size 136
		.amdhsa_round_robin_scheduling 0
		.amdhsa_exception_fp_ieee_invalid_op 0
		.amdhsa_exception_fp_denorm_src 0
		.amdhsa_exception_fp_ieee_div_zero 0
		.amdhsa_exception_fp_ieee_overflow 0
		.amdhsa_exception_fp_ieee_underflow 0
		.amdhsa_exception_fp_ieee_inexact 0
		.amdhsa_exception_int_div_zero 0
	.end_amdhsa_kernel
	.section	.text._Z17sort_pairs_kernelIaLj128ELj8EN10test_utils4lessELj10EEvPKT_PS2_T2_,"axG",@progbits,_Z17sort_pairs_kernelIaLj128ELj8EN10test_utils4lessELj10EEvPKT_PS2_T2_,comdat
.Lfunc_end59:
	.size	_Z17sort_pairs_kernelIaLj128ELj8EN10test_utils4lessELj10EEvPKT_PS2_T2_, .Lfunc_end59-_Z17sort_pairs_kernelIaLj128ELj8EN10test_utils4lessELj10EEvPKT_PS2_T2_
                                        ; -- End function
	.set _Z17sort_pairs_kernelIaLj128ELj8EN10test_utils4lessELj10EEvPKT_PS2_T2_.num_vgpr, 81
	.set _Z17sort_pairs_kernelIaLj128ELj8EN10test_utils4lessELj10EEvPKT_PS2_T2_.num_agpr, 0
	.set _Z17sort_pairs_kernelIaLj128ELj8EN10test_utils4lessELj10EEvPKT_PS2_T2_.numbered_sgpr, 50
	.set _Z17sort_pairs_kernelIaLj128ELj8EN10test_utils4lessELj10EEvPKT_PS2_T2_.num_named_barrier, 0
	.set _Z17sort_pairs_kernelIaLj128ELj8EN10test_utils4lessELj10EEvPKT_PS2_T2_.private_seg_size, 0
	.set _Z17sort_pairs_kernelIaLj128ELj8EN10test_utils4lessELj10EEvPKT_PS2_T2_.uses_vcc, 1
	.set _Z17sort_pairs_kernelIaLj128ELj8EN10test_utils4lessELj10EEvPKT_PS2_T2_.uses_flat_scratch, 0
	.set _Z17sort_pairs_kernelIaLj128ELj8EN10test_utils4lessELj10EEvPKT_PS2_T2_.has_dyn_sized_stack, 0
	.set _Z17sort_pairs_kernelIaLj128ELj8EN10test_utils4lessELj10EEvPKT_PS2_T2_.has_recursion, 0
	.set _Z17sort_pairs_kernelIaLj128ELj8EN10test_utils4lessELj10EEvPKT_PS2_T2_.has_indirect_call, 0
	.section	.AMDGPU.csdata,"",@progbits
; Kernel info:
; codeLenInByte = 17400
; TotalNumSgprs: 52
; NumVgprs: 81
; ScratchSize: 0
; MemoryBound: 0
; FloatMode: 240
; IeeeMode: 1
; LDSByteSize: 1025 bytes/workgroup (compile time only)
; SGPRBlocks: 0
; VGPRBlocks: 10
; NumSGPRsForWavesPerEU: 52
; NumVGPRsForWavesPerEU: 81
; Occupancy: 16
; WaveLimiterHint : 1
; COMPUTE_PGM_RSRC2:SCRATCH_EN: 0
; COMPUTE_PGM_RSRC2:USER_SGPR: 2
; COMPUTE_PGM_RSRC2:TRAP_HANDLER: 0
; COMPUTE_PGM_RSRC2:TGID_X_EN: 1
; COMPUTE_PGM_RSRC2:TGID_Y_EN: 0
; COMPUTE_PGM_RSRC2:TGID_Z_EN: 0
; COMPUTE_PGM_RSRC2:TIDIG_COMP_CNT: 0
	.section	.text._Z16sort_keys_kernelIaLj256ELj1EN10test_utils4lessELj10EEvPKT_PS2_T2_,"axG",@progbits,_Z16sort_keys_kernelIaLj256ELj1EN10test_utils4lessELj10EEvPKT_PS2_T2_,comdat
	.protected	_Z16sort_keys_kernelIaLj256ELj1EN10test_utils4lessELj10EEvPKT_PS2_T2_ ; -- Begin function _Z16sort_keys_kernelIaLj256ELj1EN10test_utils4lessELj10EEvPKT_PS2_T2_
	.globl	_Z16sort_keys_kernelIaLj256ELj1EN10test_utils4lessELj10EEvPKT_PS2_T2_
	.p2align	8
	.type	_Z16sort_keys_kernelIaLj256ELj1EN10test_utils4lessELj10EEvPKT_PS2_T2_,@function
_Z16sort_keys_kernelIaLj256ELj1EN10test_utils4lessELj10EEvPKT_PS2_T2_: ; @_Z16sort_keys_kernelIaLj256ELj1EN10test_utils4lessELj10EEvPKT_PS2_T2_
; %bb.0:
	s_load_b128 s[8:11], s[0:1], 0x0
	s_lshl_b32 s12, ttmp9, 8
	s_mov_b32 s13, 0
	v_and_b32_e32 v2, 0xfc, v0
	v_and_b32_e32 v9, 0xf8, v0
	;; [unrolled: 1-line block ×5, first 2 shown]
	v_or_b32_e32 v16, 2, v2
	v_add_nc_u32_e32 v4, 4, v2
	v_or_b32_e32 v25, 4, v9
	v_add_nc_u32_e32 v12, 8, v9
	v_and_b32_e32 v26, 7, v0
	v_sub_nc_u32_e32 v8, v16, v2
	v_sub_nc_u32_e32 v10, v4, v16
	v_or_b32_e32 v34, 16, v18
	v_sub_nc_u32_e32 v19, v12, v25
	v_add_nc_u32_e32 v22, 32, v18
	v_or_b32_e32 v27, 8, v13
	v_sub_nc_u32_e32 v11, v17, v10
	s_wait_kmcnt 0x0
	s_add_nc_u64 s[0:1], s[8:9], s[12:13]
	v_add_nc_u32_e32 v15, 16, v13
	global_load_u8 v46, v0, s[0:1]
	v_cmp_ge_i32_e64 s0, v17, v10
	v_add_nc_u32_e32 v16, v16, v17
	v_sub_nc_u32_e32 v20, v26, v19
	v_and_b32_e32 v28, 15, v0
	v_cmp_ge_i32_e64 s1, v26, v19
	v_cndmask_b32_e64 v10, 0, v11, s0
	v_min_i32_e32 v11, v17, v8
	v_sub_nc_u32_e32 v17, v25, v9
	v_and_b32_e32 v35, 31, v0
	v_sub_nc_u32_e32 v30, v22, v34
	v_sub_nc_u32_e32 v23, v15, v27
	v_cndmask_b32_e64 v19, 0, v20, s1
	v_min_i32_e32 v20, v26, v17
	v_sub_nc_u32_e32 v21, v27, v13
	v_add_nc_u32_e32 v25, v25, v26
	v_add_nc_u32_e32 v26, v27, v28
	v_sub_nc_u32_e32 v31, v35, v30
	v_and_b32_e32 v27, 0xc0, v0
	v_cmp_ge_i32_e64 s3, v35, v30
	v_and_b32_e32 v29, 0x80, v0
	v_and_b32_e32 v14, 1, v0
	v_sub_nc_u32_e32 v24, v28, v23
	v_or_b32_e32 v43, 32, v27
	v_cndmask_b32_e64 v30, 0, v31, s3
	v_add_nc_u32_e32 v31, 64, v27
	v_cmp_ge_i32_e64 s1, v28, v23
	v_or_b32_e32 v44, 64, v29
	v_add_nc_u32_e32 v33, 0x80, v29
	v_and_b32_e32 v45, 63, v0
	v_sub_nc_u32_e32 v37, v31, v43
	v_add_nc_u32_e32 v6, -1, v14
	v_cmp_lt_i32_e32 vcc_lo, 0, v14
	v_and_b32_e32 v1, 0xfe, v0
	s_wait_alu 0xf1ff
	v_cndmask_b32_e64 v23, 0, v24, s1
	v_min_i32_e32 v24, v28, v21
	v_sub_nc_u32_e32 v28, v34, v18
	v_and_b32_e32 v47, 0x7f, v0
	v_sub_nc_u32_e32 v39, v33, v44
	v_sub_nc_u32_e32 v38, v45, v37
	v_cmp_ge_i32_e64 s4, v45, v37
	v_cndmask_b32_e32 v6, 0, v6, vcc_lo
	v_or_b32_e32 v3, 1, v1
	v_min_i32_e32 v32, v35, v28
	v_add_nc_u32_e32 v34, v34, v35
	v_sub_nc_u32_e32 v35, v43, v27
	v_sub_nc_u32_e32 v36, v44, v29
	;; [unrolled: 1-line block ×3, first 2 shown]
	v_cndmask_b32_e64 v37, 0, v38, s4
	v_cmp_ge_i32_e64 s4, v47, v39
	v_sub_nc_u32_e32 v5, v3, v1
	v_min_i32_e32 v38, v45, v35
	v_subrev_nc_u32_e64 v41, 0x80, v0 clamp
	v_min_i32_e32 v42, 0x80, v0
	s_wait_alu 0xf1ff
	v_cndmask_b32_e64 v39, 0, v40, s4
	v_min_i32_e32 v40, v47, v36
	v_min_i32_e32 v7, v14, v5
	v_add_nc_u32_e32 v14, v3, v14
	v_cmp_lt_i32_e64 s0, v10, v11
	v_cmp_lt_i32_e64 s1, v19, v20
	;; [unrolled: 1-line block ×5, first 2 shown]
	v_add_nc_u32_e32 v43, v43, v45
	v_cmp_lt_i32_e64 s5, v39, v40
	v_add_nc_u32_e32 v44, v44, v47
	v_cmp_lt_i32_e64 s6, v41, v42
	v_add_nc_u32_e32 v45, 0x80, v0
	s_mov_b32 s14, s13
	v_cmp_lt_i32_e32 vcc_lo, v6, v7
	s_branch .LBB60_2
.LBB60_1:                               ;   in Loop: Header=BB60_2 Depth=1
	s_or_b32 exec_lo, exec_lo, s8
	v_sub_nc_u32_e32 v47, v45, v46
	v_cmp_le_i32_e64 s7, 0x80, v46
	s_add_co_i32 s14, s14, 1
	ds_load_u8 v48, v46
	ds_load_u8 v49, v47
	v_cmp_gt_i32_e64 s9, 0x100, v47
	s_wait_dscnt 0x1
	v_bfe_i32 v50, v48, 0, 8
	s_wait_dscnt 0x0
	v_bfe_i32 v51, v49, 0, 8
	s_delay_alu instid0(VALU_DEP_1)
	v_cmp_lt_i16_e64 s8, v51, v50
	s_or_b32 s7, s7, s8
	s_wait_alu 0xfffe
	s_and_b32 s7, s9, s7
	s_cmp_eq_u32 s14, 10
	s_wait_alu 0xfffe
	v_cndmask_b32_e64 v46, v48, v49, s7
	s_cbranch_scc1 .LBB60_34
.LBB60_2:                               ; =>This Loop Header: Depth=1
                                        ;     Child Loop BB60_4 Depth 2
                                        ;     Child Loop BB60_8 Depth 2
	;; [unrolled: 1-line block ×8, first 2 shown]
	s_wait_loadcnt 0x0
	s_barrier_signal -1
	s_barrier_wait -1
	global_inv scope:SCOPE_SE
	ds_store_b8 v0, v46
	v_mov_b32_e32 v46, v6
	s_wait_loadcnt_dscnt 0x0
	s_barrier_signal -1
	s_barrier_wait -1
	global_inv scope:SCOPE_SE
	s_and_saveexec_b32 s8, vcc_lo
	s_cbranch_execz .LBB60_6
; %bb.3:                                ;   in Loop: Header=BB60_2 Depth=1
	v_dual_mov_b32 v46, v6 :: v_dual_mov_b32 v47, v7
	s_mov_b32 s9, 0
.LBB60_4:                               ;   Parent Loop BB60_2 Depth=1
                                        ; =>  This Inner Loop Header: Depth=2
	s_delay_alu instid0(VALU_DEP_1) | instskip(NEXT) | instid1(VALU_DEP_1)
	v_sub_nc_u32_e32 v48, v47, v46
	v_lshrrev_b32_e32 v48, 1, v48
	s_delay_alu instid0(VALU_DEP_1) | instskip(NEXT) | instid1(VALU_DEP_1)
	v_add_nc_u32_e32 v48, v48, v46
	v_add_nc_u32_e32 v49, v1, v48
	v_xad_u32 v50, v48, -1, v14
	v_add_nc_u32_e32 v51, 1, v48
	ds_load_i8 v49, v49
	ds_load_i8 v50, v50
	s_wait_dscnt 0x0
	v_cmp_lt_i16_e64 s7, v50, v49
	s_wait_alu 0xf1ff
	s_delay_alu instid0(VALU_DEP_1) | instskip(SKIP_1) | instid1(VALU_DEP_1)
	v_cndmask_b32_e64 v47, v47, v48, s7
	v_cndmask_b32_e64 v46, v51, v46, s7
	v_cmp_ge_i32_e64 s7, v46, v47
	s_or_b32 s9, s7, s9
	s_delay_alu instid0(SALU_CYCLE_1)
	s_and_not1_b32 exec_lo, exec_lo, s9
	s_cbranch_execnz .LBB60_4
; %bb.5:                                ;   in Loop: Header=BB60_2 Depth=1
	s_or_b32 exec_lo, exec_lo, s9
.LBB60_6:                               ;   in Loop: Header=BB60_2 Depth=1
	s_delay_alu instid0(SALU_CYCLE_1)
	s_or_b32 exec_lo, exec_lo, s8
	v_add_nc_u32_e32 v47, v1, v46
	v_sub_nc_u32_e32 v48, v14, v46
	v_cmp_ge_i32_e64 s7, v46, v5
	v_mov_b32_e32 v46, v10
	ds_load_u8 v47, v47
	ds_load_u8 v49, v48
	v_cmp_ge_i32_e64 s9, v3, v48
	s_wait_loadcnt_dscnt 0x0
	s_barrier_signal -1
	s_barrier_wait -1
	global_inv scope:SCOPE_SE
	v_bfe_i32 v50, v47, 0, 8
	v_bfe_i32 v51, v49, 0, 8
	s_delay_alu instid0(VALU_DEP_1)
	v_cmp_lt_i16_e64 s8, v51, v50
	s_or_b32 s7, s7, s8
	s_wait_alu 0xfffe
	s_and_b32 s7, s9, s7
	s_wait_alu 0xfffe
	v_cndmask_b32_e64 v47, v47, v49, s7
	ds_store_b8 v0, v47
	s_wait_loadcnt_dscnt 0x0
	s_barrier_signal -1
	s_barrier_wait -1
	global_inv scope:SCOPE_SE
	s_and_saveexec_b32 s8, s0
	s_cbranch_execz .LBB60_10
; %bb.7:                                ;   in Loop: Header=BB60_2 Depth=1
	v_dual_mov_b32 v46, v10 :: v_dual_mov_b32 v47, v11
	s_mov_b32 s9, 0
.LBB60_8:                               ;   Parent Loop BB60_2 Depth=1
                                        ; =>  This Inner Loop Header: Depth=2
	s_delay_alu instid0(VALU_DEP_1) | instskip(NEXT) | instid1(VALU_DEP_1)
	v_sub_nc_u32_e32 v48, v47, v46
	v_lshrrev_b32_e32 v48, 1, v48
	s_delay_alu instid0(VALU_DEP_1) | instskip(NEXT) | instid1(VALU_DEP_1)
	v_add_nc_u32_e32 v48, v48, v46
	v_add_nc_u32_e32 v49, v2, v48
	v_xad_u32 v50, v48, -1, v16
	v_add_nc_u32_e32 v51, 1, v48
	ds_load_i8 v49, v49
	ds_load_i8 v50, v50
	s_wait_dscnt 0x0
	v_cmp_lt_i16_e64 s7, v50, v49
	s_wait_alu 0xf1ff
	s_delay_alu instid0(VALU_DEP_1) | instskip(SKIP_1) | instid1(VALU_DEP_1)
	v_cndmask_b32_e64 v47, v47, v48, s7
	v_cndmask_b32_e64 v46, v51, v46, s7
	v_cmp_ge_i32_e64 s7, v46, v47
	s_or_b32 s9, s7, s9
	s_delay_alu instid0(SALU_CYCLE_1)
	s_and_not1_b32 exec_lo, exec_lo, s9
	s_cbranch_execnz .LBB60_8
; %bb.9:                                ;   in Loop: Header=BB60_2 Depth=1
	s_or_b32 exec_lo, exec_lo, s9
.LBB60_10:                              ;   in Loop: Header=BB60_2 Depth=1
	s_delay_alu instid0(SALU_CYCLE_1)
	s_or_b32 exec_lo, exec_lo, s8
	v_add_nc_u32_e32 v47, v2, v46
	v_sub_nc_u32_e32 v48, v16, v46
	v_cmp_ge_i32_e64 s7, v46, v8
	v_mov_b32_e32 v46, v19
	ds_load_u8 v47, v47
	ds_load_u8 v49, v48
	v_cmp_gt_i32_e64 s9, v4, v48
	s_wait_loadcnt_dscnt 0x0
	s_barrier_signal -1
	s_barrier_wait -1
	global_inv scope:SCOPE_SE
	v_bfe_i32 v50, v47, 0, 8
	v_bfe_i32 v51, v49, 0, 8
	s_delay_alu instid0(VALU_DEP_1)
	v_cmp_lt_i16_e64 s8, v51, v50
	s_or_b32 s7, s7, s8
	s_wait_alu 0xfffe
	s_and_b32 s7, s9, s7
	s_wait_alu 0xfffe
	v_cndmask_b32_e64 v47, v47, v49, s7
	ds_store_b8 v0, v47
	s_wait_loadcnt_dscnt 0x0
	s_barrier_signal -1
	s_barrier_wait -1
	global_inv scope:SCOPE_SE
	s_and_saveexec_b32 s8, s1
	s_cbranch_execz .LBB60_14
; %bb.11:                               ;   in Loop: Header=BB60_2 Depth=1
	v_dual_mov_b32 v46, v19 :: v_dual_mov_b32 v47, v20
	s_mov_b32 s9, 0
.LBB60_12:                              ;   Parent Loop BB60_2 Depth=1
                                        ; =>  This Inner Loop Header: Depth=2
	s_delay_alu instid0(VALU_DEP_1) | instskip(NEXT) | instid1(VALU_DEP_1)
	v_sub_nc_u32_e32 v48, v47, v46
	v_lshrrev_b32_e32 v48, 1, v48
	s_delay_alu instid0(VALU_DEP_1) | instskip(NEXT) | instid1(VALU_DEP_1)
	v_add_nc_u32_e32 v48, v48, v46
	v_add_nc_u32_e32 v49, v9, v48
	v_xad_u32 v50, v48, -1, v25
	v_add_nc_u32_e32 v51, 1, v48
	ds_load_i8 v49, v49
	ds_load_i8 v50, v50
	s_wait_dscnt 0x0
	v_cmp_lt_i16_e64 s7, v50, v49
	s_wait_alu 0xf1ff
	s_delay_alu instid0(VALU_DEP_1) | instskip(SKIP_1) | instid1(VALU_DEP_1)
	v_cndmask_b32_e64 v47, v47, v48, s7
	v_cndmask_b32_e64 v46, v51, v46, s7
	v_cmp_ge_i32_e64 s7, v46, v47
	s_or_b32 s9, s7, s9
	s_delay_alu instid0(SALU_CYCLE_1)
	s_and_not1_b32 exec_lo, exec_lo, s9
	s_cbranch_execnz .LBB60_12
; %bb.13:                               ;   in Loop: Header=BB60_2 Depth=1
	s_or_b32 exec_lo, exec_lo, s9
.LBB60_14:                              ;   in Loop: Header=BB60_2 Depth=1
	s_delay_alu instid0(SALU_CYCLE_1)
	s_or_b32 exec_lo, exec_lo, s8
	v_add_nc_u32_e32 v47, v9, v46
	v_sub_nc_u32_e32 v48, v25, v46
	v_cmp_ge_i32_e64 s7, v46, v17
	v_mov_b32_e32 v46, v23
	ds_load_u8 v47, v47
	ds_load_u8 v49, v48
	v_cmp_gt_i32_e64 s9, v12, v48
	s_wait_loadcnt_dscnt 0x0
	s_barrier_signal -1
	s_barrier_wait -1
	global_inv scope:SCOPE_SE
	v_bfe_i32 v50, v47, 0, 8
	v_bfe_i32 v51, v49, 0, 8
	s_delay_alu instid0(VALU_DEP_1)
	v_cmp_lt_i16_e64 s8, v51, v50
	s_or_b32 s7, s7, s8
	s_wait_alu 0xfffe
	s_and_b32 s7, s9, s7
	s_wait_alu 0xfffe
	v_cndmask_b32_e64 v47, v47, v49, s7
	ds_store_b8 v0, v47
	s_wait_loadcnt_dscnt 0x0
	s_barrier_signal -1
	s_barrier_wait -1
	global_inv scope:SCOPE_SE
	s_and_saveexec_b32 s8, s2
	s_cbranch_execz .LBB60_18
; %bb.15:                               ;   in Loop: Header=BB60_2 Depth=1
	v_dual_mov_b32 v46, v23 :: v_dual_mov_b32 v47, v24
	s_mov_b32 s9, 0
.LBB60_16:                              ;   Parent Loop BB60_2 Depth=1
                                        ; =>  This Inner Loop Header: Depth=2
	s_delay_alu instid0(VALU_DEP_1) | instskip(NEXT) | instid1(VALU_DEP_1)
	v_sub_nc_u32_e32 v48, v47, v46
	v_lshrrev_b32_e32 v48, 1, v48
	s_delay_alu instid0(VALU_DEP_1) | instskip(NEXT) | instid1(VALU_DEP_1)
	v_add_nc_u32_e32 v48, v48, v46
	v_add_nc_u32_e32 v49, v13, v48
	v_xad_u32 v50, v48, -1, v26
	v_add_nc_u32_e32 v51, 1, v48
	ds_load_i8 v49, v49
	ds_load_i8 v50, v50
	s_wait_dscnt 0x0
	v_cmp_lt_i16_e64 s7, v50, v49
	s_wait_alu 0xf1ff
	s_delay_alu instid0(VALU_DEP_1) | instskip(SKIP_1) | instid1(VALU_DEP_1)
	v_cndmask_b32_e64 v47, v47, v48, s7
	v_cndmask_b32_e64 v46, v51, v46, s7
	v_cmp_ge_i32_e64 s7, v46, v47
	s_or_b32 s9, s7, s9
	s_delay_alu instid0(SALU_CYCLE_1)
	s_and_not1_b32 exec_lo, exec_lo, s9
	s_cbranch_execnz .LBB60_16
; %bb.17:                               ;   in Loop: Header=BB60_2 Depth=1
	s_or_b32 exec_lo, exec_lo, s9
.LBB60_18:                              ;   in Loop: Header=BB60_2 Depth=1
	;; [unrolled: 58-line block ×5, first 2 shown]
	s_delay_alu instid0(SALU_CYCLE_1)
	s_or_b32 exec_lo, exec_lo, s8
	v_add_nc_u32_e32 v47, v29, v46
	v_sub_nc_u32_e32 v48, v44, v46
	v_cmp_ge_i32_e64 s7, v46, v36
	v_mov_b32_e32 v46, v41
	ds_load_u8 v47, v47
	ds_load_u8 v49, v48
	v_cmp_gt_i32_e64 s9, v33, v48
	s_wait_loadcnt_dscnt 0x0
	s_barrier_signal -1
	s_barrier_wait -1
	global_inv scope:SCOPE_SE
	v_bfe_i32 v50, v47, 0, 8
	v_bfe_i32 v51, v49, 0, 8
	s_delay_alu instid0(VALU_DEP_1)
	v_cmp_lt_i16_e64 s8, v51, v50
	s_or_b32 s7, s7, s8
	s_wait_alu 0xfffe
	s_and_b32 s7, s9, s7
	s_wait_alu 0xfffe
	v_cndmask_b32_e64 v47, v47, v49, s7
	ds_store_b8 v0, v47
	s_wait_loadcnt_dscnt 0x0
	s_barrier_signal -1
	s_barrier_wait -1
	global_inv scope:SCOPE_SE
	s_and_saveexec_b32 s8, s6
	s_cbranch_execz .LBB60_1
; %bb.31:                               ;   in Loop: Header=BB60_2 Depth=1
	v_dual_mov_b32 v46, v41 :: v_dual_mov_b32 v47, v42
	s_mov_b32 s9, 0
.LBB60_32:                              ;   Parent Loop BB60_2 Depth=1
                                        ; =>  This Inner Loop Header: Depth=2
	s_delay_alu instid0(VALU_DEP_1) | instskip(NEXT) | instid1(VALU_DEP_1)
	v_sub_nc_u32_e32 v48, v47, v46
	v_lshrrev_b32_e32 v48, 1, v48
	s_delay_alu instid0(VALU_DEP_1) | instskip(NEXT) | instid1(VALU_DEP_1)
	v_add_nc_u32_e32 v48, v48, v46
	v_xad_u32 v49, v48, -1, v45
	v_add_nc_u32_e32 v51, 1, v48
	ds_load_i8 v50, v48
	ds_load_i8 v49, v49
	s_wait_dscnt 0x0
	v_cmp_lt_i16_e64 s7, v49, v50
	s_wait_alu 0xf1ff
	s_delay_alu instid0(VALU_DEP_1) | instskip(SKIP_1) | instid1(VALU_DEP_1)
	v_cndmask_b32_e64 v47, v47, v48, s7
	v_cndmask_b32_e64 v46, v51, v46, s7
	v_cmp_ge_i32_e64 s7, v46, v47
	s_or_b32 s9, s7, s9
	s_delay_alu instid0(SALU_CYCLE_1)
	s_and_not1_b32 exec_lo, exec_lo, s9
	s_cbranch_execnz .LBB60_32
; %bb.33:                               ;   in Loop: Header=BB60_2 Depth=1
	s_or_b32 exec_lo, exec_lo, s9
	s_branch .LBB60_1
.LBB60_34:
	s_add_nc_u64 s[0:1], s[10:11], s[12:13]
	s_wait_alu 0xfffe
	v_add_co_u32 v0, s0, s0, v0
	s_wait_alu 0xf1ff
	v_add_co_ci_u32_e64 v1, null, s1, 0, s0
	global_store_b8 v[0:1], v46, off
	s_endpgm
	.section	.rodata,"a",@progbits
	.p2align	6, 0x0
	.amdhsa_kernel _Z16sort_keys_kernelIaLj256ELj1EN10test_utils4lessELj10EEvPKT_PS2_T2_
		.amdhsa_group_segment_fixed_size 257
		.amdhsa_private_segment_fixed_size 0
		.amdhsa_kernarg_size 20
		.amdhsa_user_sgpr_count 2
		.amdhsa_user_sgpr_dispatch_ptr 0
		.amdhsa_user_sgpr_queue_ptr 0
		.amdhsa_user_sgpr_kernarg_segment_ptr 1
		.amdhsa_user_sgpr_dispatch_id 0
		.amdhsa_user_sgpr_private_segment_size 0
		.amdhsa_wavefront_size32 1
		.amdhsa_uses_dynamic_stack 0
		.amdhsa_enable_private_segment 0
		.amdhsa_system_sgpr_workgroup_id_x 1
		.amdhsa_system_sgpr_workgroup_id_y 0
		.amdhsa_system_sgpr_workgroup_id_z 0
		.amdhsa_system_sgpr_workgroup_info 0
		.amdhsa_system_vgpr_workitem_id 0
		.amdhsa_next_free_vgpr 52
		.amdhsa_next_free_sgpr 15
		.amdhsa_reserve_vcc 1
		.amdhsa_float_round_mode_32 0
		.amdhsa_float_round_mode_16_64 0
		.amdhsa_float_denorm_mode_32 3
		.amdhsa_float_denorm_mode_16_64 3
		.amdhsa_fp16_overflow 0
		.amdhsa_workgroup_processor_mode 1
		.amdhsa_memory_ordered 1
		.amdhsa_forward_progress 1
		.amdhsa_inst_pref_size 24
		.amdhsa_round_robin_scheduling 0
		.amdhsa_exception_fp_ieee_invalid_op 0
		.amdhsa_exception_fp_denorm_src 0
		.amdhsa_exception_fp_ieee_div_zero 0
		.amdhsa_exception_fp_ieee_overflow 0
		.amdhsa_exception_fp_ieee_underflow 0
		.amdhsa_exception_fp_ieee_inexact 0
		.amdhsa_exception_int_div_zero 0
	.end_amdhsa_kernel
	.section	.text._Z16sort_keys_kernelIaLj256ELj1EN10test_utils4lessELj10EEvPKT_PS2_T2_,"axG",@progbits,_Z16sort_keys_kernelIaLj256ELj1EN10test_utils4lessELj10EEvPKT_PS2_T2_,comdat
.Lfunc_end60:
	.size	_Z16sort_keys_kernelIaLj256ELj1EN10test_utils4lessELj10EEvPKT_PS2_T2_, .Lfunc_end60-_Z16sort_keys_kernelIaLj256ELj1EN10test_utils4lessELj10EEvPKT_PS2_T2_
                                        ; -- End function
	.set _Z16sort_keys_kernelIaLj256ELj1EN10test_utils4lessELj10EEvPKT_PS2_T2_.num_vgpr, 52
	.set _Z16sort_keys_kernelIaLj256ELj1EN10test_utils4lessELj10EEvPKT_PS2_T2_.num_agpr, 0
	.set _Z16sort_keys_kernelIaLj256ELj1EN10test_utils4lessELj10EEvPKT_PS2_T2_.numbered_sgpr, 15
	.set _Z16sort_keys_kernelIaLj256ELj1EN10test_utils4lessELj10EEvPKT_PS2_T2_.num_named_barrier, 0
	.set _Z16sort_keys_kernelIaLj256ELj1EN10test_utils4lessELj10EEvPKT_PS2_T2_.private_seg_size, 0
	.set _Z16sort_keys_kernelIaLj256ELj1EN10test_utils4lessELj10EEvPKT_PS2_T2_.uses_vcc, 1
	.set _Z16sort_keys_kernelIaLj256ELj1EN10test_utils4lessELj10EEvPKT_PS2_T2_.uses_flat_scratch, 0
	.set _Z16sort_keys_kernelIaLj256ELj1EN10test_utils4lessELj10EEvPKT_PS2_T2_.has_dyn_sized_stack, 0
	.set _Z16sort_keys_kernelIaLj256ELj1EN10test_utils4lessELj10EEvPKT_PS2_T2_.has_recursion, 0
	.set _Z16sort_keys_kernelIaLj256ELj1EN10test_utils4lessELj10EEvPKT_PS2_T2_.has_indirect_call, 0
	.section	.AMDGPU.csdata,"",@progbits
; Kernel info:
; codeLenInByte = 2956
; TotalNumSgprs: 17
; NumVgprs: 52
; ScratchSize: 0
; MemoryBound: 0
; FloatMode: 240
; IeeeMode: 1
; LDSByteSize: 257 bytes/workgroup (compile time only)
; SGPRBlocks: 0
; VGPRBlocks: 6
; NumSGPRsForWavesPerEU: 17
; NumVGPRsForWavesPerEU: 52
; Occupancy: 16
; WaveLimiterHint : 0
; COMPUTE_PGM_RSRC2:SCRATCH_EN: 0
; COMPUTE_PGM_RSRC2:USER_SGPR: 2
; COMPUTE_PGM_RSRC2:TRAP_HANDLER: 0
; COMPUTE_PGM_RSRC2:TGID_X_EN: 1
; COMPUTE_PGM_RSRC2:TGID_Y_EN: 0
; COMPUTE_PGM_RSRC2:TGID_Z_EN: 0
; COMPUTE_PGM_RSRC2:TIDIG_COMP_CNT: 0
	.section	.text._Z17sort_pairs_kernelIaLj256ELj1EN10test_utils4lessELj10EEvPKT_PS2_T2_,"axG",@progbits,_Z17sort_pairs_kernelIaLj256ELj1EN10test_utils4lessELj10EEvPKT_PS2_T2_,comdat
	.protected	_Z17sort_pairs_kernelIaLj256ELj1EN10test_utils4lessELj10EEvPKT_PS2_T2_ ; -- Begin function _Z17sort_pairs_kernelIaLj256ELj1EN10test_utils4lessELj10EEvPKT_PS2_T2_
	.globl	_Z17sort_pairs_kernelIaLj256ELj1EN10test_utils4lessELj10EEvPKT_PS2_T2_
	.p2align	8
	.type	_Z17sort_pairs_kernelIaLj256ELj1EN10test_utils4lessELj10EEvPKT_PS2_T2_,@function
_Z17sort_pairs_kernelIaLj256ELj1EN10test_utils4lessELj10EEvPKT_PS2_T2_: ; @_Z17sort_pairs_kernelIaLj256ELj1EN10test_utils4lessELj10EEvPKT_PS2_T2_
; %bb.0:
	s_load_b128 s[8:11], s[0:1], 0x0
	s_lshl_b32 s12, ttmp9, 8
	s_mov_b32 s13, 0
	v_and_b32_e32 v2, 0xfc, v0
	v_and_b32_e32 v1, 0xfe, v0
	;; [unrolled: 1-line block ×5, first 2 shown]
	v_or_b32_e32 v11, 2, v2
	v_add_nc_u32_e32 v12, 4, v2
	v_or_b32_e32 v10, 1, v1
	v_or_b32_e32 v13, 4, v3
	v_add_nc_u32_e32 v14, 8, v3
	v_and_b32_e32 v31, 1, v0
	v_sub_nc_u32_e32 v44, v12, v11
	v_and_b32_e32 v39, 7, v0
	v_and_b32_e32 v5, 0xe0, v0
	v_or_b32_e32 v15, 8, v4
	v_add_nc_u32_e32 v16, 16, v4
	v_sub_nc_u32_e32 v32, v10, v1
	s_wait_kmcnt 0x0
	s_add_nc_u64 s[0:1], s[8:9], s[12:13]
	v_sub_nc_u32_e32 v33, v11, v2
	global_load_u8 v45, v0, s[0:1]
	v_sub_nc_u32_e32 v46, v14, v13
	v_sub_nc_u32_e32 v52, v38, v44
	v_cmp_ge_i32_e64 s1, v38, v44
	v_and_b32_e32 v40, 15, v0
	v_and_b32_e32 v6, 0xc0, v0
	v_add_nc_u32_e32 v23, -1, v31
	v_or_b32_e32 v17, 16, v5
	v_add_nc_u32_e32 v18, 32, v5
	v_cmp_lt_i32_e64 s0, 0, v31
	v_add_nc_u32_e32 v24, v10, v31
	v_add_nc_u32_e32 v25, v11, v38
	v_sub_nc_u32_e32 v34, v13, v3
	v_sub_nc_u32_e32 v47, v16, v15
	v_min_i32_e32 v31, v31, v32
	v_min_i32_e32 v32, v38, v33
	v_sub_nc_u32_e32 v53, v39, v46
	v_cndmask_b32_e64 v38, 0, v52, s1
	v_cmp_ge_i32_e64 s1, v39, v46
	v_and_b32_e32 v41, 31, v0
	v_and_b32_e32 v7, 0x80, v0
	v_or_b32_e32 v19, 32, v6
	v_add_nc_u32_e32 v20, 64, v6
	v_add_nc_u32_e32 v26, v13, v39
	v_sub_nc_u32_e32 v35, v15, v4
	v_sub_nc_u32_e32 v48, v18, v17
	v_min_i32_e32 v33, v39, v34
	v_sub_nc_u32_e32 v54, v40, v47
	s_wait_alu 0xf1ff
	v_cndmask_b32_e64 v39, 0, v53, s1
	v_cmp_ge_i32_e64 s1, v40, v47
	v_and_b32_e32 v42, 63, v0
	v_or_b32_e32 v21, 64, v7
	v_add_nc_u32_e32 v22, 0x80, v7
	v_add_nc_u32_e32 v27, v15, v40
	v_sub_nc_u32_e32 v36, v17, v5
	v_sub_nc_u32_e32 v49, v20, v19
	v_min_i32_e32 v34, v40, v35
	v_sub_nc_u32_e32 v55, v41, v48
	s_wait_alu 0xf1ff
	v_cndmask_b32_e64 v40, 0, v54, s1
	v_cmp_ge_i32_e64 s1, v41, v48
	v_and_b32_e32 v43, 0x7f, v0
	v_add_nc_u32_e32 v28, v17, v41
	v_sub_nc_u32_e32 v37, v19, v6
	v_sub_nc_u32_e32 v51, v22, v21
	v_min_i32_e32 v35, v41, v36
	v_sub_nc_u32_e32 v56, v42, v49
	s_wait_alu 0xf1ff
	v_cndmask_b32_e64 v41, 0, v55, s1
	v_cmp_ge_i32_e64 s1, v42, v49
	v_add_nc_u32_e32 v29, v19, v42
	v_sub_nc_u32_e32 v50, v21, v7
	v_min_i32_e32 v36, v42, v37
	v_sub_nc_u32_e32 v57, v43, v51
	s_wait_alu 0xf1ff
	v_cndmask_b32_e64 v42, 0, v56, s1
	v_cmp_ge_i32_e64 s1, v43, v51
	v_cndmask_b32_e64 v23, 0, v23, s0
	v_add_nc_u32_e32 v30, v21, v43
	v_min_i32_e32 v37, v43, v50
	v_subrev_nc_u32_e64 v8, 0x80, v0 clamp
	s_wait_alu 0xf1ff
	v_cndmask_b32_e64 v43, 0, v57, s1
	v_min_i32_e32 v9, 0x80, v0
	v_cmp_lt_i32_e64 s0, v23, v31
	v_cmp_lt_i32_e64 s1, v38, v32
	;; [unrolled: 1-line block ×7, first 2 shown]
	v_add_nc_u32_e32 v44, 0x80, v0
	s_mov_b32 s14, s13
	v_cmp_lt_i32_e32 vcc_lo, v8, v9
	s_wait_loadcnt 0x0
	v_add_nc_u16 v46, v45, 1
	s_branch .LBB61_2
.LBB61_1:                               ;   in Loop: Header=BB61_2 Depth=1
	s_or_b32 exec_lo, exec_lo, s8
	v_sub_nc_u32_e32 v48, v44, v47
	v_cmp_le_i32_e64 s7, 0x80, v47
	s_add_co_i32 s14, s14, 1
	ds_load_u8 v45, v47
	ds_load_u8 v49, v48
	v_cmp_gt_i32_e64 s9, 0x100, v48
	s_wait_loadcnt_dscnt 0x0
	s_barrier_signal -1
	s_barrier_wait -1
	global_inv scope:SCOPE_SE
	ds_store_b8 v0, v46
	s_wait_loadcnt_dscnt 0x0
	s_barrier_signal -1
	s_barrier_wait -1
	global_inv scope:SCOPE_SE
	v_bfe_i32 v50, v45, 0, 8
	v_bfe_i32 v51, v49, 0, 8
	s_delay_alu instid0(VALU_DEP_1)
	v_cmp_lt_i16_e64 s8, v51, v50
	s_or_b32 s7, s7, s8
	s_wait_alu 0xfffe
	s_and_b32 s7, s9, s7
	s_cmp_eq_u32 s14, 10
	s_wait_alu 0xfffe
	v_cndmask_b32_e64 v47, v47, v48, s7
	v_cndmask_b32_e64 v45, v45, v49, s7
	ds_load_u8 v46, v47
	s_cbranch_scc1 .LBB61_34
.LBB61_2:                               ; =>This Loop Header: Depth=1
                                        ;     Child Loop BB61_4 Depth 2
                                        ;     Child Loop BB61_8 Depth 2
	;; [unrolled: 1-line block ×8, first 2 shown]
	s_barrier_signal -1
	s_barrier_wait -1
	global_inv scope:SCOPE_SE
	ds_store_b8 v0, v45
	v_mov_b32_e32 v45, v23
	s_wait_loadcnt_dscnt 0x0
	s_barrier_signal -1
	s_barrier_wait -1
	global_inv scope:SCOPE_SE
	s_and_saveexec_b32 s8, s0
	s_cbranch_execz .LBB61_6
; %bb.3:                                ;   in Loop: Header=BB61_2 Depth=1
	v_mov_b32_e32 v45, v23
	v_mov_b32_e32 v47, v31
	s_mov_b32 s9, 0
.LBB61_4:                               ;   Parent Loop BB61_2 Depth=1
                                        ; =>  This Inner Loop Header: Depth=2
	s_delay_alu instid0(VALU_DEP_1) | instskip(NEXT) | instid1(VALU_DEP_1)
	v_sub_nc_u32_e32 v48, v47, v45
	v_lshrrev_b32_e32 v48, 1, v48
	s_delay_alu instid0(VALU_DEP_1) | instskip(NEXT) | instid1(VALU_DEP_1)
	v_add_nc_u32_e32 v48, v48, v45
	v_add_nc_u32_e32 v49, v1, v48
	v_xad_u32 v50, v48, -1, v24
	v_add_nc_u32_e32 v51, 1, v48
	ds_load_i8 v49, v49
	ds_load_i8 v50, v50
	s_wait_dscnt 0x0
	v_cmp_lt_i16_e64 s7, v50, v49
	s_wait_alu 0xf1ff
	s_delay_alu instid0(VALU_DEP_1) | instskip(SKIP_1) | instid1(VALU_DEP_1)
	v_cndmask_b32_e64 v47, v47, v48, s7
	v_cndmask_b32_e64 v45, v51, v45, s7
	v_cmp_ge_i32_e64 s7, v45, v47
	s_or_b32 s9, s7, s9
	s_delay_alu instid0(SALU_CYCLE_1)
	s_and_not1_b32 exec_lo, exec_lo, s9
	s_cbranch_execnz .LBB61_4
; %bb.5:                                ;   in Loop: Header=BB61_2 Depth=1
	s_or_b32 exec_lo, exec_lo, s9
.LBB61_6:                               ;   in Loop: Header=BB61_2 Depth=1
	s_delay_alu instid0(SALU_CYCLE_1)
	s_or_b32 exec_lo, exec_lo, s8
	v_add_nc_u32_e32 v47, v45, v1
	v_sub_nc_u32_e32 v45, v24, v45
	ds_load_u8 v48, v47
	ds_load_u8 v49, v45
	s_wait_loadcnt_dscnt 0x0
	s_barrier_signal -1
	s_barrier_wait -1
	global_inv scope:SCOPE_SE
	ds_store_b8 v0, v46
	v_mov_b32_e32 v46, v38
	v_cmp_le_i32_e64 s7, v10, v47
	v_cmp_ge_i32_e64 s9, v10, v45
	s_wait_loadcnt_dscnt 0x0
	s_barrier_signal -1
	s_barrier_wait -1
	global_inv scope:SCOPE_SE
	v_bfe_i32 v50, v48, 0, 8
	v_bfe_i32 v51, v49, 0, 8
	s_delay_alu instid0(VALU_DEP_1)
	v_cmp_lt_i16_e64 s8, v51, v50
	s_or_b32 s7, s7, s8
	s_wait_alu 0xfffe
	s_and_b32 s7, s9, s7
	s_wait_alu 0xfffe
	v_cndmask_b32_e64 v45, v47, v45, s7
	v_cndmask_b32_e64 v48, v48, v49, s7
	ds_load_u8 v45, v45
	s_wait_loadcnt_dscnt 0x0
	s_barrier_signal -1
	s_barrier_wait -1
	global_inv scope:SCOPE_SE
	ds_store_b8 v0, v48
	s_wait_loadcnt_dscnt 0x0
	s_barrier_signal -1
	s_barrier_wait -1
	global_inv scope:SCOPE_SE
	s_and_saveexec_b32 s8, s1
	s_cbranch_execz .LBB61_10
; %bb.7:                                ;   in Loop: Header=BB61_2 Depth=1
	v_dual_mov_b32 v46, v38 :: v_dual_mov_b32 v47, v32
	s_mov_b32 s9, 0
.LBB61_8:                               ;   Parent Loop BB61_2 Depth=1
                                        ; =>  This Inner Loop Header: Depth=2
	s_delay_alu instid0(VALU_DEP_1) | instskip(NEXT) | instid1(VALU_DEP_1)
	v_sub_nc_u32_e32 v48, v47, v46
	v_lshrrev_b32_e32 v48, 1, v48
	s_delay_alu instid0(VALU_DEP_1) | instskip(NEXT) | instid1(VALU_DEP_1)
	v_add_nc_u32_e32 v48, v48, v46
	v_add_nc_u32_e32 v49, v2, v48
	v_xad_u32 v50, v48, -1, v25
	v_add_nc_u32_e32 v51, 1, v48
	ds_load_i8 v49, v49
	ds_load_i8 v50, v50
	s_wait_dscnt 0x0
	v_cmp_lt_i16_e64 s7, v50, v49
	s_wait_alu 0xf1ff
	s_delay_alu instid0(VALU_DEP_1) | instskip(SKIP_1) | instid1(VALU_DEP_1)
	v_cndmask_b32_e64 v47, v47, v48, s7
	v_cndmask_b32_e64 v46, v51, v46, s7
	v_cmp_ge_i32_e64 s7, v46, v47
	s_or_b32 s9, s7, s9
	s_delay_alu instid0(SALU_CYCLE_1)
	s_and_not1_b32 exec_lo, exec_lo, s9
	s_cbranch_execnz .LBB61_8
; %bb.9:                                ;   in Loop: Header=BB61_2 Depth=1
	s_or_b32 exec_lo, exec_lo, s9
.LBB61_10:                              ;   in Loop: Header=BB61_2 Depth=1
	s_delay_alu instid0(SALU_CYCLE_1)
	s_or_b32 exec_lo, exec_lo, s8
	v_add_nc_u32_e32 v47, v46, v2
	v_sub_nc_u32_e32 v46, v25, v46
	ds_load_u8 v48, v47
	ds_load_u8 v49, v46
	v_cmp_le_i32_e64 s7, v11, v47
	v_cmp_gt_i32_e64 s9, v12, v46
	s_wait_loadcnt_dscnt 0x0
	s_barrier_signal -1
	s_barrier_wait -1
	global_inv scope:SCOPE_SE
	ds_store_b8 v0, v45
	s_wait_loadcnt_dscnt 0x0
	s_barrier_signal -1
	s_barrier_wait -1
	global_inv scope:SCOPE_SE
	v_bfe_i32 v50, v48, 0, 8
	v_bfe_i32 v51, v49, 0, 8
	s_delay_alu instid0(VALU_DEP_1)
	v_cmp_lt_i16_e64 s8, v51, v50
	s_or_b32 s7, s7, s8
	s_wait_alu 0xfffe
	s_and_b32 s7, s9, s7
	s_wait_alu 0xfffe
	v_cndmask_b32_e64 v46, v47, v46, s7
	v_cndmask_b32_e64 v48, v48, v49, s7
	ds_load_u8 v45, v46
	v_mov_b32_e32 v46, v39
	s_wait_loadcnt_dscnt 0x0
	s_barrier_signal -1
	s_barrier_wait -1
	global_inv scope:SCOPE_SE
	ds_store_b8 v0, v48
	s_wait_loadcnt_dscnt 0x0
	s_barrier_signal -1
	s_barrier_wait -1
	global_inv scope:SCOPE_SE
	s_and_saveexec_b32 s8, s2
	s_cbranch_execz .LBB61_14
; %bb.11:                               ;   in Loop: Header=BB61_2 Depth=1
	v_dual_mov_b32 v46, v39 :: v_dual_mov_b32 v47, v33
	s_mov_b32 s9, 0
.LBB61_12:                              ;   Parent Loop BB61_2 Depth=1
                                        ; =>  This Inner Loop Header: Depth=2
	s_delay_alu instid0(VALU_DEP_1) | instskip(NEXT) | instid1(VALU_DEP_1)
	v_sub_nc_u32_e32 v48, v47, v46
	v_lshrrev_b32_e32 v48, 1, v48
	s_delay_alu instid0(VALU_DEP_1) | instskip(NEXT) | instid1(VALU_DEP_1)
	v_add_nc_u32_e32 v48, v48, v46
	v_add_nc_u32_e32 v49, v3, v48
	v_xad_u32 v50, v48, -1, v26
	v_add_nc_u32_e32 v51, 1, v48
	ds_load_i8 v49, v49
	ds_load_i8 v50, v50
	s_wait_dscnt 0x0
	v_cmp_lt_i16_e64 s7, v50, v49
	s_wait_alu 0xf1ff
	s_delay_alu instid0(VALU_DEP_1) | instskip(SKIP_1) | instid1(VALU_DEP_1)
	v_cndmask_b32_e64 v47, v47, v48, s7
	v_cndmask_b32_e64 v46, v51, v46, s7
	v_cmp_ge_i32_e64 s7, v46, v47
	s_or_b32 s9, s7, s9
	s_delay_alu instid0(SALU_CYCLE_1)
	s_and_not1_b32 exec_lo, exec_lo, s9
	s_cbranch_execnz .LBB61_12
; %bb.13:                               ;   in Loop: Header=BB61_2 Depth=1
	s_or_b32 exec_lo, exec_lo, s9
.LBB61_14:                              ;   in Loop: Header=BB61_2 Depth=1
	s_delay_alu instid0(SALU_CYCLE_1)
	s_or_b32 exec_lo, exec_lo, s8
	v_add_nc_u32_e32 v47, v46, v3
	v_sub_nc_u32_e32 v46, v26, v46
	ds_load_u8 v48, v47
	ds_load_u8 v49, v46
	v_cmp_le_i32_e64 s7, v13, v47
	v_cmp_gt_i32_e64 s9, v14, v46
	s_wait_loadcnt_dscnt 0x0
	s_barrier_signal -1
	s_barrier_wait -1
	global_inv scope:SCOPE_SE
	ds_store_b8 v0, v45
	s_wait_loadcnt_dscnt 0x0
	s_barrier_signal -1
	s_barrier_wait -1
	global_inv scope:SCOPE_SE
	v_bfe_i32 v50, v48, 0, 8
	v_bfe_i32 v51, v49, 0, 8
	s_delay_alu instid0(VALU_DEP_1)
	v_cmp_lt_i16_e64 s8, v51, v50
	s_or_b32 s7, s7, s8
	s_wait_alu 0xfffe
	s_and_b32 s7, s9, s7
	s_wait_alu 0xfffe
	v_cndmask_b32_e64 v46, v47, v46, s7
	v_cndmask_b32_e64 v48, v48, v49, s7
	ds_load_u8 v45, v46
	v_mov_b32_e32 v46, v40
	s_wait_loadcnt_dscnt 0x0
	s_barrier_signal -1
	s_barrier_wait -1
	global_inv scope:SCOPE_SE
	ds_store_b8 v0, v48
	s_wait_loadcnt_dscnt 0x0
	s_barrier_signal -1
	s_barrier_wait -1
	global_inv scope:SCOPE_SE
	s_and_saveexec_b32 s8, s3
	s_cbranch_execz .LBB61_18
; %bb.15:                               ;   in Loop: Header=BB61_2 Depth=1
	v_dual_mov_b32 v46, v40 :: v_dual_mov_b32 v47, v34
	s_mov_b32 s9, 0
.LBB61_16:                              ;   Parent Loop BB61_2 Depth=1
                                        ; =>  This Inner Loop Header: Depth=2
	s_delay_alu instid0(VALU_DEP_1) | instskip(NEXT) | instid1(VALU_DEP_1)
	v_sub_nc_u32_e32 v48, v47, v46
	v_lshrrev_b32_e32 v48, 1, v48
	s_delay_alu instid0(VALU_DEP_1) | instskip(NEXT) | instid1(VALU_DEP_1)
	v_add_nc_u32_e32 v48, v48, v46
	v_add_nc_u32_e32 v49, v4, v48
	v_xad_u32 v50, v48, -1, v27
	v_add_nc_u32_e32 v51, 1, v48
	ds_load_i8 v49, v49
	ds_load_i8 v50, v50
	s_wait_dscnt 0x0
	v_cmp_lt_i16_e64 s7, v50, v49
	s_wait_alu 0xf1ff
	s_delay_alu instid0(VALU_DEP_1) | instskip(SKIP_1) | instid1(VALU_DEP_1)
	v_cndmask_b32_e64 v47, v47, v48, s7
	v_cndmask_b32_e64 v46, v51, v46, s7
	v_cmp_ge_i32_e64 s7, v46, v47
	s_or_b32 s9, s7, s9
	s_delay_alu instid0(SALU_CYCLE_1)
	s_and_not1_b32 exec_lo, exec_lo, s9
	s_cbranch_execnz .LBB61_16
; %bb.17:                               ;   in Loop: Header=BB61_2 Depth=1
	s_or_b32 exec_lo, exec_lo, s9
.LBB61_18:                              ;   in Loop: Header=BB61_2 Depth=1
	s_delay_alu instid0(SALU_CYCLE_1)
	s_or_b32 exec_lo, exec_lo, s8
	v_add_nc_u32_e32 v47, v46, v4
	v_sub_nc_u32_e32 v46, v27, v46
	ds_load_u8 v48, v47
	ds_load_u8 v49, v46
	v_cmp_le_i32_e64 s7, v15, v47
	v_cmp_gt_i32_e64 s9, v16, v46
	s_wait_loadcnt_dscnt 0x0
	s_barrier_signal -1
	s_barrier_wait -1
	global_inv scope:SCOPE_SE
	ds_store_b8 v0, v45
	s_wait_loadcnt_dscnt 0x0
	s_barrier_signal -1
	s_barrier_wait -1
	global_inv scope:SCOPE_SE
	v_bfe_i32 v50, v48, 0, 8
	v_bfe_i32 v51, v49, 0, 8
	s_delay_alu instid0(VALU_DEP_1)
	v_cmp_lt_i16_e64 s8, v51, v50
	s_or_b32 s7, s7, s8
	s_wait_alu 0xfffe
	s_and_b32 s7, s9, s7
	s_wait_alu 0xfffe
	v_cndmask_b32_e64 v46, v47, v46, s7
	v_cndmask_b32_e64 v48, v48, v49, s7
	ds_load_u8 v45, v46
	v_mov_b32_e32 v46, v41
	s_wait_loadcnt_dscnt 0x0
	s_barrier_signal -1
	s_barrier_wait -1
	global_inv scope:SCOPE_SE
	ds_store_b8 v0, v48
	s_wait_loadcnt_dscnt 0x0
	s_barrier_signal -1
	s_barrier_wait -1
	global_inv scope:SCOPE_SE
	s_and_saveexec_b32 s8, s4
	s_cbranch_execz .LBB61_22
; %bb.19:                               ;   in Loop: Header=BB61_2 Depth=1
	v_dual_mov_b32 v46, v41 :: v_dual_mov_b32 v47, v35
	s_mov_b32 s9, 0
.LBB61_20:                              ;   Parent Loop BB61_2 Depth=1
                                        ; =>  This Inner Loop Header: Depth=2
	s_delay_alu instid0(VALU_DEP_1) | instskip(NEXT) | instid1(VALU_DEP_1)
	v_sub_nc_u32_e32 v48, v47, v46
	v_lshrrev_b32_e32 v48, 1, v48
	s_delay_alu instid0(VALU_DEP_1) | instskip(NEXT) | instid1(VALU_DEP_1)
	v_add_nc_u32_e32 v48, v48, v46
	v_add_nc_u32_e32 v49, v5, v48
	v_xad_u32 v50, v48, -1, v28
	v_add_nc_u32_e32 v51, 1, v48
	ds_load_i8 v49, v49
	ds_load_i8 v50, v50
	s_wait_dscnt 0x0
	v_cmp_lt_i16_e64 s7, v50, v49
	s_wait_alu 0xf1ff
	s_delay_alu instid0(VALU_DEP_1) | instskip(SKIP_1) | instid1(VALU_DEP_1)
	v_cndmask_b32_e64 v47, v47, v48, s7
	v_cndmask_b32_e64 v46, v51, v46, s7
	v_cmp_ge_i32_e64 s7, v46, v47
	s_or_b32 s9, s7, s9
	s_delay_alu instid0(SALU_CYCLE_1)
	s_and_not1_b32 exec_lo, exec_lo, s9
	s_cbranch_execnz .LBB61_20
; %bb.21:                               ;   in Loop: Header=BB61_2 Depth=1
	s_or_b32 exec_lo, exec_lo, s9
.LBB61_22:                              ;   in Loop: Header=BB61_2 Depth=1
	s_delay_alu instid0(SALU_CYCLE_1)
	s_or_b32 exec_lo, exec_lo, s8
	v_add_nc_u32_e32 v47, v46, v5
	v_sub_nc_u32_e32 v46, v28, v46
	ds_load_u8 v48, v47
	ds_load_u8 v49, v46
	v_cmp_le_i32_e64 s7, v17, v47
	v_cmp_gt_i32_e64 s9, v18, v46
	s_wait_loadcnt_dscnt 0x0
	s_barrier_signal -1
	s_barrier_wait -1
	global_inv scope:SCOPE_SE
	ds_store_b8 v0, v45
	s_wait_loadcnt_dscnt 0x0
	s_barrier_signal -1
	s_barrier_wait -1
	global_inv scope:SCOPE_SE
	v_bfe_i32 v50, v48, 0, 8
	v_bfe_i32 v51, v49, 0, 8
	s_delay_alu instid0(VALU_DEP_1)
	v_cmp_lt_i16_e64 s8, v51, v50
	s_or_b32 s7, s7, s8
	s_wait_alu 0xfffe
	s_and_b32 s7, s9, s7
	s_wait_alu 0xfffe
	v_cndmask_b32_e64 v46, v47, v46, s7
	v_cndmask_b32_e64 v48, v48, v49, s7
	ds_load_u8 v45, v46
	v_mov_b32_e32 v46, v42
	s_wait_loadcnt_dscnt 0x0
	s_barrier_signal -1
	s_barrier_wait -1
	global_inv scope:SCOPE_SE
	ds_store_b8 v0, v48
	s_wait_loadcnt_dscnt 0x0
	s_barrier_signal -1
	s_barrier_wait -1
	global_inv scope:SCOPE_SE
	s_and_saveexec_b32 s8, s5
	s_cbranch_execz .LBB61_26
; %bb.23:                               ;   in Loop: Header=BB61_2 Depth=1
	v_dual_mov_b32 v46, v42 :: v_dual_mov_b32 v47, v36
	s_mov_b32 s9, 0
.LBB61_24:                              ;   Parent Loop BB61_2 Depth=1
                                        ; =>  This Inner Loop Header: Depth=2
	s_delay_alu instid0(VALU_DEP_1) | instskip(NEXT) | instid1(VALU_DEP_1)
	v_sub_nc_u32_e32 v48, v47, v46
	v_lshrrev_b32_e32 v48, 1, v48
	s_delay_alu instid0(VALU_DEP_1) | instskip(NEXT) | instid1(VALU_DEP_1)
	v_add_nc_u32_e32 v48, v48, v46
	v_add_nc_u32_e32 v49, v6, v48
	v_xad_u32 v50, v48, -1, v29
	v_add_nc_u32_e32 v51, 1, v48
	ds_load_i8 v49, v49
	ds_load_i8 v50, v50
	s_wait_dscnt 0x0
	v_cmp_lt_i16_e64 s7, v50, v49
	s_wait_alu 0xf1ff
	s_delay_alu instid0(VALU_DEP_1) | instskip(SKIP_1) | instid1(VALU_DEP_1)
	v_cndmask_b32_e64 v47, v47, v48, s7
	v_cndmask_b32_e64 v46, v51, v46, s7
	v_cmp_ge_i32_e64 s7, v46, v47
	s_or_b32 s9, s7, s9
	s_delay_alu instid0(SALU_CYCLE_1)
	s_and_not1_b32 exec_lo, exec_lo, s9
	s_cbranch_execnz .LBB61_24
; %bb.25:                               ;   in Loop: Header=BB61_2 Depth=1
	s_or_b32 exec_lo, exec_lo, s9
.LBB61_26:                              ;   in Loop: Header=BB61_2 Depth=1
	s_delay_alu instid0(SALU_CYCLE_1)
	s_or_b32 exec_lo, exec_lo, s8
	v_add_nc_u32_e32 v47, v46, v6
	v_sub_nc_u32_e32 v46, v29, v46
	ds_load_u8 v48, v47
	ds_load_u8 v49, v46
	v_cmp_le_i32_e64 s7, v19, v47
	v_cmp_gt_i32_e64 s9, v20, v46
	s_wait_loadcnt_dscnt 0x0
	s_barrier_signal -1
	s_barrier_wait -1
	global_inv scope:SCOPE_SE
	ds_store_b8 v0, v45
	s_wait_loadcnt_dscnt 0x0
	s_barrier_signal -1
	s_barrier_wait -1
	global_inv scope:SCOPE_SE
	v_bfe_i32 v50, v48, 0, 8
	v_bfe_i32 v51, v49, 0, 8
	s_delay_alu instid0(VALU_DEP_1)
	v_cmp_lt_i16_e64 s8, v51, v50
	s_or_b32 s7, s7, s8
	s_wait_alu 0xfffe
	s_and_b32 s7, s9, s7
	s_wait_alu 0xfffe
	v_cndmask_b32_e64 v46, v47, v46, s7
	v_cndmask_b32_e64 v48, v48, v49, s7
	ds_load_u8 v45, v46
	v_mov_b32_e32 v46, v43
	s_wait_loadcnt_dscnt 0x0
	s_barrier_signal -1
	s_barrier_wait -1
	global_inv scope:SCOPE_SE
	ds_store_b8 v0, v48
	s_wait_loadcnt_dscnt 0x0
	s_barrier_signal -1
	s_barrier_wait -1
	global_inv scope:SCOPE_SE
	s_and_saveexec_b32 s8, s6
	s_cbranch_execz .LBB61_30
; %bb.27:                               ;   in Loop: Header=BB61_2 Depth=1
	v_dual_mov_b32 v46, v43 :: v_dual_mov_b32 v47, v37
	s_mov_b32 s9, 0
.LBB61_28:                              ;   Parent Loop BB61_2 Depth=1
                                        ; =>  This Inner Loop Header: Depth=2
	s_delay_alu instid0(VALU_DEP_1) | instskip(NEXT) | instid1(VALU_DEP_1)
	v_sub_nc_u32_e32 v48, v47, v46
	v_lshrrev_b32_e32 v48, 1, v48
	s_delay_alu instid0(VALU_DEP_1) | instskip(NEXT) | instid1(VALU_DEP_1)
	v_add_nc_u32_e32 v48, v48, v46
	v_add_nc_u32_e32 v49, v7, v48
	v_xad_u32 v50, v48, -1, v30
	v_add_nc_u32_e32 v51, 1, v48
	ds_load_i8 v49, v49
	ds_load_i8 v50, v50
	s_wait_dscnt 0x0
	v_cmp_lt_i16_e64 s7, v50, v49
	s_wait_alu 0xf1ff
	s_delay_alu instid0(VALU_DEP_1) | instskip(SKIP_1) | instid1(VALU_DEP_1)
	v_cndmask_b32_e64 v47, v47, v48, s7
	v_cndmask_b32_e64 v46, v51, v46, s7
	v_cmp_ge_i32_e64 s7, v46, v47
	s_or_b32 s9, s7, s9
	s_delay_alu instid0(SALU_CYCLE_1)
	s_and_not1_b32 exec_lo, exec_lo, s9
	s_cbranch_execnz .LBB61_28
; %bb.29:                               ;   in Loop: Header=BB61_2 Depth=1
	s_or_b32 exec_lo, exec_lo, s9
.LBB61_30:                              ;   in Loop: Header=BB61_2 Depth=1
	s_delay_alu instid0(SALU_CYCLE_1)
	s_or_b32 exec_lo, exec_lo, s8
	v_add_nc_u32_e32 v47, v46, v7
	v_sub_nc_u32_e32 v46, v30, v46
	ds_load_u8 v48, v47
	ds_load_u8 v49, v46
	v_cmp_le_i32_e64 s7, v21, v47
	v_cmp_gt_i32_e64 s9, v22, v46
	s_wait_loadcnt_dscnt 0x0
	s_barrier_signal -1
	s_barrier_wait -1
	global_inv scope:SCOPE_SE
	ds_store_b8 v0, v45
	s_wait_loadcnt_dscnt 0x0
	s_barrier_signal -1
	s_barrier_wait -1
	global_inv scope:SCOPE_SE
	v_bfe_i32 v50, v48, 0, 8
	v_bfe_i32 v51, v49, 0, 8
	s_delay_alu instid0(VALU_DEP_1)
	v_cmp_lt_i16_e64 s8, v51, v50
	s_or_b32 s7, s7, s8
	s_wait_alu 0xfffe
	s_and_b32 s7, s9, s7
	s_wait_alu 0xfffe
	v_cndmask_b32_e64 v46, v47, v46, s7
	v_cndmask_b32_e64 v48, v48, v49, s7
	v_mov_b32_e32 v47, v8
	ds_load_u8 v46, v46
	s_wait_loadcnt_dscnt 0x0
	s_barrier_signal -1
	s_barrier_wait -1
	global_inv scope:SCOPE_SE
	ds_store_b8 v0, v48
	s_wait_loadcnt_dscnt 0x0
	s_barrier_signal -1
	s_barrier_wait -1
	global_inv scope:SCOPE_SE
	s_and_saveexec_b32 s8, vcc_lo
	s_cbranch_execz .LBB61_1
; %bb.31:                               ;   in Loop: Header=BB61_2 Depth=1
	v_mov_b32_e32 v47, v8
	v_mov_b32_e32 v45, v9
	s_mov_b32 s9, 0
.LBB61_32:                              ;   Parent Loop BB61_2 Depth=1
                                        ; =>  This Inner Loop Header: Depth=2
	s_delay_alu instid0(VALU_DEP_1) | instskip(NEXT) | instid1(VALU_DEP_1)
	v_sub_nc_u32_e32 v48, v45, v47
	v_lshrrev_b32_e32 v48, 1, v48
	s_delay_alu instid0(VALU_DEP_1) | instskip(NEXT) | instid1(VALU_DEP_1)
	v_add_nc_u32_e32 v48, v48, v47
	v_xad_u32 v49, v48, -1, v44
	v_add_nc_u32_e32 v51, 1, v48
	ds_load_i8 v50, v48
	ds_load_i8 v49, v49
	s_wait_dscnt 0x0
	v_cmp_lt_i16_e64 s7, v49, v50
	s_wait_alu 0xf1ff
	s_delay_alu instid0(VALU_DEP_1) | instskip(SKIP_1) | instid1(VALU_DEP_1)
	v_cndmask_b32_e64 v45, v45, v48, s7
	v_cndmask_b32_e64 v47, v51, v47, s7
	v_cmp_ge_i32_e64 s7, v47, v45
	s_or_b32 s9, s7, s9
	s_delay_alu instid0(SALU_CYCLE_1)
	s_and_not1_b32 exec_lo, exec_lo, s9
	s_cbranch_execnz .LBB61_32
; %bb.33:                               ;   in Loop: Header=BB61_2 Depth=1
	s_or_b32 exec_lo, exec_lo, s9
	s_branch .LBB61_1
.LBB61_34:
	s_add_nc_u64 s[0:1], s[10:11], s[12:13]
	s_wait_dscnt 0x0
	v_add_nc_u16 v2, v45, v46
	s_wait_alu 0xfffe
	v_add_co_u32 v0, s0, s0, v0
	s_wait_alu 0xf1ff
	v_add_co_ci_u32_e64 v1, null, s1, 0, s0
	global_store_b8 v[0:1], v2, off
	s_endpgm
	.section	.rodata,"a",@progbits
	.p2align	6, 0x0
	.amdhsa_kernel _Z17sort_pairs_kernelIaLj256ELj1EN10test_utils4lessELj10EEvPKT_PS2_T2_
		.amdhsa_group_segment_fixed_size 257
		.amdhsa_private_segment_fixed_size 0
		.amdhsa_kernarg_size 20
		.amdhsa_user_sgpr_count 2
		.amdhsa_user_sgpr_dispatch_ptr 0
		.amdhsa_user_sgpr_queue_ptr 0
		.amdhsa_user_sgpr_kernarg_segment_ptr 1
		.amdhsa_user_sgpr_dispatch_id 0
		.amdhsa_user_sgpr_private_segment_size 0
		.amdhsa_wavefront_size32 1
		.amdhsa_uses_dynamic_stack 0
		.amdhsa_enable_private_segment 0
		.amdhsa_system_sgpr_workgroup_id_x 1
		.amdhsa_system_sgpr_workgroup_id_y 0
		.amdhsa_system_sgpr_workgroup_id_z 0
		.amdhsa_system_sgpr_workgroup_info 0
		.amdhsa_system_vgpr_workitem_id 0
		.amdhsa_next_free_vgpr 58
		.amdhsa_next_free_sgpr 15
		.amdhsa_reserve_vcc 1
		.amdhsa_float_round_mode_32 0
		.amdhsa_float_round_mode_16_64 0
		.amdhsa_float_denorm_mode_32 3
		.amdhsa_float_denorm_mode_16_64 3
		.amdhsa_fp16_overflow 0
		.amdhsa_workgroup_processor_mode 1
		.amdhsa_memory_ordered 1
		.amdhsa_forward_progress 1
		.amdhsa_inst_pref_size 28
		.amdhsa_round_robin_scheduling 0
		.amdhsa_exception_fp_ieee_invalid_op 0
		.amdhsa_exception_fp_denorm_src 0
		.amdhsa_exception_fp_ieee_div_zero 0
		.amdhsa_exception_fp_ieee_overflow 0
		.amdhsa_exception_fp_ieee_underflow 0
		.amdhsa_exception_fp_ieee_inexact 0
		.amdhsa_exception_int_div_zero 0
	.end_amdhsa_kernel
	.section	.text._Z17sort_pairs_kernelIaLj256ELj1EN10test_utils4lessELj10EEvPKT_PS2_T2_,"axG",@progbits,_Z17sort_pairs_kernelIaLj256ELj1EN10test_utils4lessELj10EEvPKT_PS2_T2_,comdat
.Lfunc_end61:
	.size	_Z17sort_pairs_kernelIaLj256ELj1EN10test_utils4lessELj10EEvPKT_PS2_T2_, .Lfunc_end61-_Z17sort_pairs_kernelIaLj256ELj1EN10test_utils4lessELj10EEvPKT_PS2_T2_
                                        ; -- End function
	.set _Z17sort_pairs_kernelIaLj256ELj1EN10test_utils4lessELj10EEvPKT_PS2_T2_.num_vgpr, 58
	.set _Z17sort_pairs_kernelIaLj256ELj1EN10test_utils4lessELj10EEvPKT_PS2_T2_.num_agpr, 0
	.set _Z17sort_pairs_kernelIaLj256ELj1EN10test_utils4lessELj10EEvPKT_PS2_T2_.numbered_sgpr, 15
	.set _Z17sort_pairs_kernelIaLj256ELj1EN10test_utils4lessELj10EEvPKT_PS2_T2_.num_named_barrier, 0
	.set _Z17sort_pairs_kernelIaLj256ELj1EN10test_utils4lessELj10EEvPKT_PS2_T2_.private_seg_size, 0
	.set _Z17sort_pairs_kernelIaLj256ELj1EN10test_utils4lessELj10EEvPKT_PS2_T2_.uses_vcc, 1
	.set _Z17sort_pairs_kernelIaLj256ELj1EN10test_utils4lessELj10EEvPKT_PS2_T2_.uses_flat_scratch, 0
	.set _Z17sort_pairs_kernelIaLj256ELj1EN10test_utils4lessELj10EEvPKT_PS2_T2_.has_dyn_sized_stack, 0
	.set _Z17sort_pairs_kernelIaLj256ELj1EN10test_utils4lessELj10EEvPKT_PS2_T2_.has_recursion, 0
	.set _Z17sort_pairs_kernelIaLj256ELj1EN10test_utils4lessELj10EEvPKT_PS2_T2_.has_indirect_call, 0
	.section	.AMDGPU.csdata,"",@progbits
; Kernel info:
; codeLenInByte = 3564
; TotalNumSgprs: 17
; NumVgprs: 58
; ScratchSize: 0
; MemoryBound: 0
; FloatMode: 240
; IeeeMode: 1
; LDSByteSize: 257 bytes/workgroup (compile time only)
; SGPRBlocks: 0
; VGPRBlocks: 7
; NumSGPRsForWavesPerEU: 17
; NumVGPRsForWavesPerEU: 58
; Occupancy: 16
; WaveLimiterHint : 0
; COMPUTE_PGM_RSRC2:SCRATCH_EN: 0
; COMPUTE_PGM_RSRC2:USER_SGPR: 2
; COMPUTE_PGM_RSRC2:TRAP_HANDLER: 0
; COMPUTE_PGM_RSRC2:TGID_X_EN: 1
; COMPUTE_PGM_RSRC2:TGID_Y_EN: 0
; COMPUTE_PGM_RSRC2:TGID_Z_EN: 0
; COMPUTE_PGM_RSRC2:TIDIG_COMP_CNT: 0
	.section	.text._Z16sort_keys_kernelIaLj256ELj2EN10test_utils4lessELj10EEvPKT_PS2_T2_,"axG",@progbits,_Z16sort_keys_kernelIaLj256ELj2EN10test_utils4lessELj10EEvPKT_PS2_T2_,comdat
	.protected	_Z16sort_keys_kernelIaLj256ELj2EN10test_utils4lessELj10EEvPKT_PS2_T2_ ; -- Begin function _Z16sort_keys_kernelIaLj256ELj2EN10test_utils4lessELj10EEvPKT_PS2_T2_
	.globl	_Z16sort_keys_kernelIaLj256ELj2EN10test_utils4lessELj10EEvPKT_PS2_T2_
	.p2align	8
	.type	_Z16sort_keys_kernelIaLj256ELj2EN10test_utils4lessELj10EEvPKT_PS2_T2_,@function
_Z16sort_keys_kernelIaLj256ELj2EN10test_utils4lessELj10EEvPKT_PS2_T2_: ; @_Z16sort_keys_kernelIaLj256ELj2EN10test_utils4lessELj10EEvPKT_PS2_T2_
; %bb.0:
	s_load_b128 s[12:15], s[0:1], 0x0
	s_lshl_b32 s16, ttmp9, 9
	s_mov_b32 s17, 0
	v_lshlrev_b32_e32 v1, 1, v0
	s_mov_b32 s11, s17
	s_delay_alu instid0(VALU_DEP_1) | instskip(SKIP_1) | instid1(VALU_DEP_2)
	v_and_b32_e32 v2, 0x1fc, v1
	v_and_b32_e32 v16, 2, v1
	v_or_b32_e32 v3, 2, v2
	v_add_nc_u32_e32 v4, 4, v2
	s_delay_alu instid0(VALU_DEP_2) | instskip(NEXT) | instid1(VALU_DEP_2)
	v_sub_nc_u32_e32 v10, v3, v2
	v_sub_nc_u32_e32 v8, v4, v3
	s_wait_kmcnt 0x0
	s_add_nc_u64 s[0:1], s[12:13], s[16:17]
	s_clause 0x1
	global_load_u8 v48, v0, s[0:1] offset:256
	global_load_u8 v47, v0, s[0:1]
	v_sub_nc_u32_e32 v9, v16, v8
	v_cmp_ge_i32_e32 vcc_lo, v16, v8
	s_delay_alu instid0(VALU_DEP_2)
	v_cndmask_b32_e32 v8, 0, v9, vcc_lo
	v_and_b32_e32 v5, 0x1f8, v1
	v_and_b32_e32 v19, 6, v1
	v_min_i32_e32 v9, v16, v10
	v_and_b32_e32 v10, 0x1f0, v1
	v_and_b32_e32 v15, 0x1e0, v1
	v_or_b32_e32 v6, 4, v5
	v_add_nc_u32_e32 v7, 8, v5
	v_and_b32_e32 v27, 14, v1
	v_add_nc_u32_e32 v14, 16, v10
	v_or_b32_e32 v17, 16, v15
	v_sub_nc_u32_e32 v13, v6, v5
	v_sub_nc_u32_e32 v11, v7, v6
	v_add_nc_u32_e32 v18, 32, v15
	v_and_b32_e32 v20, 0x1c0, v1
	v_and_b32_e32 v28, 30, v1
	v_sub_nc_u32_e32 v29, v17, v15
	v_sub_nc_u32_e32 v12, v19, v11
	v_cmp_ge_i32_e64 s0, v19, v11
	v_sub_nc_u32_e32 v25, v18, v17
	v_add_nc_u32_e32 v24, 64, v20
	v_and_b32_e32 v37, 62, v1
	v_and_b32_e32 v30, 0x100, v1
	v_cndmask_b32_e64 v11, 0, v12, s0
	v_min_i32_e32 v12, v19, v13
	v_or_b32_e32 v13, 8, v10
	v_sub_nc_u32_e32 v26, v28, v25
	v_or_b32_e32 v35, 0x80, v30
	v_add_nc_u32_e32 v36, 0x100, v30
	v_and_b32_e32 v44, 0x7e, v1
	v_sub_nc_u32_e32 v21, v14, v13
	v_and_b32_e32 v45, 0xfe, v1
	v_sub_nc_u32_e32 v22, v13, v10
	v_sub_nc_u32_e32 v40, v36, v35
	;; [unrolled: 1-line block ×4, first 2 shown]
	v_cmp_ge_i32_e64 s1, v27, v21
	v_min_i32_e32 v22, v27, v22
	v_sub_nc_u32_e32 v43, v45, v40
	v_add_nc_u32_e32 v16, v3, v16
	v_cmp_lt_i32_e64 s0, v11, v12
	s_wait_alu 0xf1ff
	v_cndmask_b32_e64 v21, 0, v23, s1
	v_or_b32_e32 v23, 32, v20
	v_cmp_ge_i32_e64 s1, v28, v25
	v_add_nc_u32_e32 v19, v6, v19
	v_add_nc_u32_e32 v27, v13, v27
	v_add_nc_u32_e32 v46, 0x100, v1
	v_sub_nc_u32_e32 v31, v24, v23
	s_wait_alu 0xf1ff
	v_cndmask_b32_e64 v25, 0, v26, s1
	v_min_i32_e32 v26, v28, v29
	v_and_b32_e32 v29, 0x180, v1
	v_sub_nc_u32_e32 v34, v23, v20
	v_sub_nc_u32_e32 v32, v37, v31
	v_cmp_ge_i32_e64 s3, v37, v31
	v_cmp_lt_i32_e64 s1, v21, v22
	v_add_nc_u32_e32 v33, 0x80, v29
	v_min_i32_e32 v34, v37, v34
	v_cmp_lt_i32_e64 s2, v25, v26
	v_cndmask_b32_e64 v31, 0, v32, s3
	v_or_b32_e32 v32, 64, v29
	v_add_nc_u32_e32 v28, v17, v28
	v_add_nc_u32_e32 v37, v23, v37
	v_cmp_lt_i32_e32 vcc_lo, v8, v9
	v_cmp_lt_i32_e64 s3, v31, v34
	v_sub_nc_u32_e32 v38, v33, v32
	v_sub_nc_u32_e32 v41, v32, v29
	s_delay_alu instid0(VALU_DEP_2) | instskip(SKIP_1) | instid1(VALU_DEP_1)
	v_sub_nc_u32_e32 v39, v44, v38
	v_cmp_ge_i32_e64 s4, v44, v38
	v_cndmask_b32_e64 v38, 0, v39, s4
	v_cmp_ge_i32_e64 s4, v45, v40
	v_min_i32_e32 v39, v44, v41
	v_min_i32_e32 v41, v45, v42
	v_subrev_nc_u32_e64 v42, 0x100, v1 clamp
	v_add_nc_u32_e32 v44, v32, v44
	s_wait_alu 0xf1ff
	v_cndmask_b32_e64 v40, 0, v43, s4
	v_min_i32_e32 v43, 0x100, v1
	v_cmp_lt_i32_e64 s4, v38, v39
	v_add_nc_u32_e32 v45, v35, v45
	s_delay_alu instid0(VALU_DEP_4) | instskip(NEXT) | instid1(VALU_DEP_4)
	v_cmp_lt_i32_e64 s5, v40, v41
	v_cmp_lt_i32_e64 s6, v42, v43
	s_branch .LBB62_2
.LBB62_1:                               ;   in Loop: Header=BB62_2 Depth=1
	s_or_b32 exec_lo, exec_lo, s8
	s_wait_dscnt 0x0
	s_delay_alu instid0(VALU_DEP_1)
	v_bfe_i32 v47, v51, 0, 8
	v_bfe_i32 v54, v53, 0, 8
	v_cmp_le_i32_e64 s8, 0x100, v52
	v_cmp_gt_i32_e64 s10, 0x200, v49
	s_add_co_i32 s11, s11, 1
	v_cmp_lt_i16_e64 s9, v54, v47
	v_cndmask_b32_e64 v47, v48, v50, s7
	s_or_b32 s8, s8, s9
	s_delay_alu instid0(SALU_CYCLE_1)
	s_and_b32 s7, s10, s8
	s_cmp_eq_u32 s11, 10
	s_wait_alu 0xfffe
	v_cndmask_b32_e64 v48, v51, v53, s7
	s_cbranch_scc1 .LBB62_66
.LBB62_2:                               ; =>This Loop Header: Depth=1
                                        ;     Child Loop BB62_4 Depth 2
                                        ;     Child Loop BB62_12 Depth 2
                                        ;     Child Loop BB62_20 Depth 2
                                        ;     Child Loop BB62_28 Depth 2
                                        ;     Child Loop BB62_36 Depth 2
                                        ;     Child Loop BB62_44 Depth 2
                                        ;     Child Loop BB62_52 Depth 2
                                        ;     Child Loop BB62_60 Depth 2
	s_wait_loadcnt 0x0
	v_bfe_i32 v49, v47, 0, 8
	s_delay_alu instid0(VALU_DEP_2) | instskip(SKIP_3) | instid1(VALU_DEP_4)
	v_bfe_i32 v50, v48, 0, 8
	v_perm_b32 v51, v48, v47, 0xc0c0004
	v_perm_b32 v47, v47, v48, 0xc0c0004
	v_mov_b32_e32 v48, v8
	v_cmp_lt_i16_e64 s7, v50, v49
	s_barrier_signal -1
	s_barrier_wait -1
	global_inv scope:SCOPE_SE
	s_wait_alu 0xf1ff
	v_cndmask_b32_e64 v47, v47, v51, s7
	s_delay_alu instid0(VALU_DEP_1)
	v_lshrrev_b16 v49, 8, v47
	ds_store_b8 v1, v47
	ds_store_b8 v1, v49 offset:1
	s_wait_loadcnt_dscnt 0x0
	s_barrier_signal -1
	s_barrier_wait -1
	global_inv scope:SCOPE_SE
	s_and_saveexec_b32 s8, vcc_lo
	s_cbranch_execz .LBB62_6
; %bb.3:                                ;   in Loop: Header=BB62_2 Depth=1
	v_dual_mov_b32 v48, v8 :: v_dual_mov_b32 v47, v9
	s_mov_b32 s9, 0
.LBB62_4:                               ;   Parent Loop BB62_2 Depth=1
                                        ; =>  This Inner Loop Header: Depth=2
	s_delay_alu instid0(VALU_DEP_1) | instskip(NEXT) | instid1(VALU_DEP_1)
	v_sub_nc_u32_e32 v49, v47, v48
	v_lshrrev_b32_e32 v49, 1, v49
	s_delay_alu instid0(VALU_DEP_1) | instskip(NEXT) | instid1(VALU_DEP_1)
	v_add_nc_u32_e32 v49, v49, v48
	v_add_nc_u32_e32 v50, v2, v49
	v_xad_u32 v51, v49, -1, v16
	v_add_nc_u32_e32 v52, 1, v49
	ds_load_i8 v50, v50
	ds_load_i8 v51, v51
	s_wait_dscnt 0x0
	v_cmp_lt_i16_e64 s7, v51, v50
	s_wait_alu 0xf1ff
	s_delay_alu instid0(VALU_DEP_1) | instskip(SKIP_1) | instid1(VALU_DEP_1)
	v_cndmask_b32_e64 v47, v47, v49, s7
	v_cndmask_b32_e64 v48, v52, v48, s7
	v_cmp_ge_i32_e64 s7, v48, v47
	s_or_b32 s9, s7, s9
	s_delay_alu instid0(SALU_CYCLE_1)
	s_and_not1_b32 exec_lo, exec_lo, s9
	s_cbranch_execnz .LBB62_4
; %bb.5:                                ;   in Loop: Header=BB62_2 Depth=1
	s_or_b32 exec_lo, exec_lo, s9
.LBB62_6:                               ;   in Loop: Header=BB62_2 Depth=1
	s_delay_alu instid0(SALU_CYCLE_1)
	s_or_b32 exec_lo, exec_lo, s8
	v_add_nc_u32_e32 v47, v48, v2
	v_sub_nc_u32_e32 v48, v16, v48
                                        ; implicit-def: $vgpr51
	ds_load_u8 v49, v47
	ds_load_u8 v50, v48
	v_cmp_le_i32_e64 s7, v3, v47
	v_cmp_gt_i32_e64 s9, v4, v48
	s_wait_dscnt 0x1
	v_bfe_i32 v49, v49, 0, 8
	s_wait_dscnt 0x0
	v_bfe_i32 v50, v50, 0, 8
	s_delay_alu instid0(VALU_DEP_1)
	v_cmp_lt_i16_e64 s8, v50, v49
	s_or_b32 s7, s7, s8
	s_wait_alu 0xfffe
	s_and_b32 s7, s9, s7
	s_wait_alu 0xfffe
	s_xor_b32 s8, s7, -1
	s_delay_alu instid0(SALU_CYCLE_1) | instskip(NEXT) | instid1(SALU_CYCLE_1)
	s_and_saveexec_b32 s9, s8
	s_xor_b32 s8, exec_lo, s9
; %bb.7:                                ;   in Loop: Header=BB62_2 Depth=1
	ds_load_u8 v51, v47 offset:1
; %bb.8:                                ;   in Loop: Header=BB62_2 Depth=1
	s_or_saveexec_b32 s8, s8
	v_mov_b32_e32 v52, v50
	s_xor_b32 exec_lo, exec_lo, s8
	s_cbranch_execz .LBB62_10
; %bb.9:                                ;   in Loop: Header=BB62_2 Depth=1
	ds_load_u8 v52, v48 offset:1
	s_wait_dscnt 0x1
	v_mov_b32_e32 v51, v49
.LBB62_10:                              ;   in Loop: Header=BB62_2 Depth=1
	s_or_b32 exec_lo, exec_lo, s8
	v_add_nc_u32_e32 v54, 1, v48
	v_add_nc_u32_e32 v53, 1, v47
	s_wait_dscnt 0x0
	v_bfe_i32 v55, v51, 0, 8
	v_bfe_i32 v56, v52, 0, 8
	s_wait_loadcnt 0x0
	v_cndmask_b32_e64 v48, v48, v54, s7
	s_barrier_signal -1
	s_barrier_wait -1
	v_cmp_lt_i16_e64 s8, v56, v55
	global_inv scope:SCOPE_SE
	v_cmp_lt_i32_e64 s10, v48, v4
	v_mov_b32_e32 v48, v11
	v_cndmask_b32_e64 v47, v53, v47, s7
	s_delay_alu instid0(VALU_DEP_1)
	v_cmp_ge_i32_e64 s9, v47, v3
	v_cndmask_b32_e64 v47, v49, v50, s7
	s_or_b32 s7, s9, s8
	s_wait_alu 0xfffe
	s_and_b32 s7, s10, s7
	s_wait_alu 0xfffe
	v_cndmask_b32_e64 v49, v51, v52, s7
	ds_store_b8 v1, v47
	ds_store_b8 v1, v49 offset:1
	s_wait_loadcnt_dscnt 0x0
	s_barrier_signal -1
	s_barrier_wait -1
	global_inv scope:SCOPE_SE
	s_and_saveexec_b32 s8, s0
	s_cbranch_execz .LBB62_14
; %bb.11:                               ;   in Loop: Header=BB62_2 Depth=1
	v_dual_mov_b32 v48, v11 :: v_dual_mov_b32 v47, v12
	s_mov_b32 s9, 0
.LBB62_12:                              ;   Parent Loop BB62_2 Depth=1
                                        ; =>  This Inner Loop Header: Depth=2
	s_delay_alu instid0(VALU_DEP_1) | instskip(NEXT) | instid1(VALU_DEP_1)
	v_sub_nc_u32_e32 v49, v47, v48
	v_lshrrev_b32_e32 v49, 1, v49
	s_delay_alu instid0(VALU_DEP_1) | instskip(NEXT) | instid1(VALU_DEP_1)
	v_add_nc_u32_e32 v49, v49, v48
	v_add_nc_u32_e32 v50, v5, v49
	v_xad_u32 v51, v49, -1, v19
	v_add_nc_u32_e32 v52, 1, v49
	ds_load_i8 v50, v50
	ds_load_i8 v51, v51
	s_wait_dscnt 0x0
	v_cmp_lt_i16_e64 s7, v51, v50
	s_wait_alu 0xf1ff
	s_delay_alu instid0(VALU_DEP_1) | instskip(SKIP_1) | instid1(VALU_DEP_1)
	v_cndmask_b32_e64 v47, v47, v49, s7
	v_cndmask_b32_e64 v48, v52, v48, s7
	v_cmp_ge_i32_e64 s7, v48, v47
	s_or_b32 s9, s7, s9
	s_delay_alu instid0(SALU_CYCLE_1)
	s_and_not1_b32 exec_lo, exec_lo, s9
	s_cbranch_execnz .LBB62_12
; %bb.13:                               ;   in Loop: Header=BB62_2 Depth=1
	s_or_b32 exec_lo, exec_lo, s9
.LBB62_14:                              ;   in Loop: Header=BB62_2 Depth=1
	s_delay_alu instid0(SALU_CYCLE_1)
	s_or_b32 exec_lo, exec_lo, s8
	v_add_nc_u32_e32 v47, v48, v5
	v_sub_nc_u32_e32 v48, v19, v48
                                        ; implicit-def: $vgpr51
	ds_load_u8 v49, v47
	ds_load_u8 v50, v48
	v_cmp_le_i32_e64 s7, v6, v47
	v_cmp_gt_i32_e64 s9, v7, v48
	s_wait_dscnt 0x1
	v_bfe_i32 v49, v49, 0, 8
	s_wait_dscnt 0x0
	v_bfe_i32 v50, v50, 0, 8
	s_delay_alu instid0(VALU_DEP_1)
	v_cmp_lt_i16_e64 s8, v50, v49
	s_or_b32 s7, s7, s8
	s_wait_alu 0xfffe
	s_and_b32 s7, s9, s7
	s_wait_alu 0xfffe
	s_xor_b32 s8, s7, -1
	s_delay_alu instid0(SALU_CYCLE_1) | instskip(NEXT) | instid1(SALU_CYCLE_1)
	s_and_saveexec_b32 s9, s8
	s_xor_b32 s8, exec_lo, s9
; %bb.15:                               ;   in Loop: Header=BB62_2 Depth=1
	ds_load_u8 v51, v47 offset:1
; %bb.16:                               ;   in Loop: Header=BB62_2 Depth=1
	s_or_saveexec_b32 s8, s8
	v_mov_b32_e32 v52, v50
	s_xor_b32 exec_lo, exec_lo, s8
	s_cbranch_execz .LBB62_18
; %bb.17:                               ;   in Loop: Header=BB62_2 Depth=1
	ds_load_u8 v52, v48 offset:1
	s_wait_dscnt 0x1
	v_mov_b32_e32 v51, v49
.LBB62_18:                              ;   in Loop: Header=BB62_2 Depth=1
	s_or_b32 exec_lo, exec_lo, s8
	v_add_nc_u32_e32 v54, 1, v48
	v_add_nc_u32_e32 v53, 1, v47
	s_wait_dscnt 0x0
	v_bfe_i32 v55, v51, 0, 8
	v_bfe_i32 v56, v52, 0, 8
	s_wait_loadcnt 0x0
	v_cndmask_b32_e64 v48, v48, v54, s7
	s_barrier_signal -1
	s_barrier_wait -1
	v_cmp_lt_i16_e64 s8, v56, v55
	global_inv scope:SCOPE_SE
	v_cmp_lt_i32_e64 s10, v48, v7
	v_mov_b32_e32 v48, v21
	v_cndmask_b32_e64 v47, v53, v47, s7
	s_delay_alu instid0(VALU_DEP_1)
	v_cmp_ge_i32_e64 s9, v47, v6
	v_cndmask_b32_e64 v47, v49, v50, s7
	s_or_b32 s7, s9, s8
	s_wait_alu 0xfffe
	s_and_b32 s7, s10, s7
	s_wait_alu 0xfffe
	v_cndmask_b32_e64 v49, v51, v52, s7
	ds_store_b8 v1, v47
	ds_store_b8 v1, v49 offset:1
	s_wait_loadcnt_dscnt 0x0
	s_barrier_signal -1
	s_barrier_wait -1
	global_inv scope:SCOPE_SE
	s_and_saveexec_b32 s8, s1
	s_cbranch_execz .LBB62_22
; %bb.19:                               ;   in Loop: Header=BB62_2 Depth=1
	v_dual_mov_b32 v48, v21 :: v_dual_mov_b32 v47, v22
	s_mov_b32 s9, 0
.LBB62_20:                              ;   Parent Loop BB62_2 Depth=1
                                        ; =>  This Inner Loop Header: Depth=2
	s_delay_alu instid0(VALU_DEP_1) | instskip(NEXT) | instid1(VALU_DEP_1)
	v_sub_nc_u32_e32 v49, v47, v48
	v_lshrrev_b32_e32 v49, 1, v49
	s_delay_alu instid0(VALU_DEP_1) | instskip(NEXT) | instid1(VALU_DEP_1)
	v_add_nc_u32_e32 v49, v49, v48
	v_add_nc_u32_e32 v50, v10, v49
	v_xad_u32 v51, v49, -1, v27
	v_add_nc_u32_e32 v52, 1, v49
	ds_load_i8 v50, v50
	ds_load_i8 v51, v51
	s_wait_dscnt 0x0
	v_cmp_lt_i16_e64 s7, v51, v50
	s_wait_alu 0xf1ff
	s_delay_alu instid0(VALU_DEP_1) | instskip(SKIP_1) | instid1(VALU_DEP_1)
	v_cndmask_b32_e64 v47, v47, v49, s7
	v_cndmask_b32_e64 v48, v52, v48, s7
	v_cmp_ge_i32_e64 s7, v48, v47
	s_or_b32 s9, s7, s9
	s_delay_alu instid0(SALU_CYCLE_1)
	s_and_not1_b32 exec_lo, exec_lo, s9
	s_cbranch_execnz .LBB62_20
; %bb.21:                               ;   in Loop: Header=BB62_2 Depth=1
	s_or_b32 exec_lo, exec_lo, s9
.LBB62_22:                              ;   in Loop: Header=BB62_2 Depth=1
	s_delay_alu instid0(SALU_CYCLE_1)
	s_or_b32 exec_lo, exec_lo, s8
	v_add_nc_u32_e32 v47, v48, v10
	v_sub_nc_u32_e32 v48, v27, v48
                                        ; implicit-def: $vgpr51
	ds_load_u8 v49, v47
	ds_load_u8 v50, v48
	v_cmp_le_i32_e64 s7, v13, v47
	v_cmp_gt_i32_e64 s9, v14, v48
	s_wait_dscnt 0x1
	v_bfe_i32 v49, v49, 0, 8
	s_wait_dscnt 0x0
	v_bfe_i32 v50, v50, 0, 8
	s_delay_alu instid0(VALU_DEP_1)
	v_cmp_lt_i16_e64 s8, v50, v49
	s_or_b32 s7, s7, s8
	s_wait_alu 0xfffe
	s_and_b32 s7, s9, s7
	s_wait_alu 0xfffe
	s_xor_b32 s8, s7, -1
	s_delay_alu instid0(SALU_CYCLE_1) | instskip(NEXT) | instid1(SALU_CYCLE_1)
	s_and_saveexec_b32 s9, s8
	s_xor_b32 s8, exec_lo, s9
; %bb.23:                               ;   in Loop: Header=BB62_2 Depth=1
	ds_load_u8 v51, v47 offset:1
; %bb.24:                               ;   in Loop: Header=BB62_2 Depth=1
	s_or_saveexec_b32 s8, s8
	v_mov_b32_e32 v52, v50
	s_xor_b32 exec_lo, exec_lo, s8
	s_cbranch_execz .LBB62_26
; %bb.25:                               ;   in Loop: Header=BB62_2 Depth=1
	ds_load_u8 v52, v48 offset:1
	s_wait_dscnt 0x1
	v_mov_b32_e32 v51, v49
.LBB62_26:                              ;   in Loop: Header=BB62_2 Depth=1
	s_or_b32 exec_lo, exec_lo, s8
	v_add_nc_u32_e32 v54, 1, v48
	v_add_nc_u32_e32 v53, 1, v47
	s_wait_dscnt 0x0
	v_bfe_i32 v55, v51, 0, 8
	v_bfe_i32 v56, v52, 0, 8
	s_wait_loadcnt 0x0
	v_cndmask_b32_e64 v48, v48, v54, s7
	s_barrier_signal -1
	s_barrier_wait -1
	v_cmp_lt_i16_e64 s8, v56, v55
	global_inv scope:SCOPE_SE
	v_cmp_lt_i32_e64 s10, v48, v14
	v_mov_b32_e32 v48, v25
	v_cndmask_b32_e64 v47, v53, v47, s7
	s_delay_alu instid0(VALU_DEP_1)
	v_cmp_ge_i32_e64 s9, v47, v13
	v_cndmask_b32_e64 v47, v49, v50, s7
	s_or_b32 s7, s9, s8
	s_wait_alu 0xfffe
	s_and_b32 s7, s10, s7
	s_wait_alu 0xfffe
	v_cndmask_b32_e64 v49, v51, v52, s7
	ds_store_b8 v1, v47
	ds_store_b8 v1, v49 offset:1
	s_wait_loadcnt_dscnt 0x0
	s_barrier_signal -1
	s_barrier_wait -1
	global_inv scope:SCOPE_SE
	s_and_saveexec_b32 s8, s2
	s_cbranch_execz .LBB62_30
; %bb.27:                               ;   in Loop: Header=BB62_2 Depth=1
	v_dual_mov_b32 v48, v25 :: v_dual_mov_b32 v47, v26
	s_mov_b32 s9, 0
.LBB62_28:                              ;   Parent Loop BB62_2 Depth=1
                                        ; =>  This Inner Loop Header: Depth=2
	s_delay_alu instid0(VALU_DEP_1) | instskip(NEXT) | instid1(VALU_DEP_1)
	v_sub_nc_u32_e32 v49, v47, v48
	v_lshrrev_b32_e32 v49, 1, v49
	s_delay_alu instid0(VALU_DEP_1) | instskip(NEXT) | instid1(VALU_DEP_1)
	v_add_nc_u32_e32 v49, v49, v48
	v_add_nc_u32_e32 v50, v15, v49
	v_xad_u32 v51, v49, -1, v28
	v_add_nc_u32_e32 v52, 1, v49
	ds_load_i8 v50, v50
	ds_load_i8 v51, v51
	s_wait_dscnt 0x0
	v_cmp_lt_i16_e64 s7, v51, v50
	s_wait_alu 0xf1ff
	s_delay_alu instid0(VALU_DEP_1) | instskip(SKIP_1) | instid1(VALU_DEP_1)
	v_cndmask_b32_e64 v47, v47, v49, s7
	v_cndmask_b32_e64 v48, v52, v48, s7
	v_cmp_ge_i32_e64 s7, v48, v47
	s_or_b32 s9, s7, s9
	s_delay_alu instid0(SALU_CYCLE_1)
	s_and_not1_b32 exec_lo, exec_lo, s9
	s_cbranch_execnz .LBB62_28
; %bb.29:                               ;   in Loop: Header=BB62_2 Depth=1
	s_or_b32 exec_lo, exec_lo, s9
.LBB62_30:                              ;   in Loop: Header=BB62_2 Depth=1
	s_delay_alu instid0(SALU_CYCLE_1)
	s_or_b32 exec_lo, exec_lo, s8
	v_add_nc_u32_e32 v47, v48, v15
	v_sub_nc_u32_e32 v48, v28, v48
                                        ; implicit-def: $vgpr51
	ds_load_u8 v49, v47
	ds_load_u8 v50, v48
	v_cmp_le_i32_e64 s7, v17, v47
	v_cmp_gt_i32_e64 s9, v18, v48
	s_wait_dscnt 0x1
	v_bfe_i32 v49, v49, 0, 8
	s_wait_dscnt 0x0
	v_bfe_i32 v50, v50, 0, 8
	s_delay_alu instid0(VALU_DEP_1)
	v_cmp_lt_i16_e64 s8, v50, v49
	s_or_b32 s7, s7, s8
	s_wait_alu 0xfffe
	s_and_b32 s7, s9, s7
	s_wait_alu 0xfffe
	s_xor_b32 s8, s7, -1
	s_delay_alu instid0(SALU_CYCLE_1) | instskip(NEXT) | instid1(SALU_CYCLE_1)
	s_and_saveexec_b32 s9, s8
	s_xor_b32 s8, exec_lo, s9
; %bb.31:                               ;   in Loop: Header=BB62_2 Depth=1
	ds_load_u8 v51, v47 offset:1
; %bb.32:                               ;   in Loop: Header=BB62_2 Depth=1
	s_or_saveexec_b32 s8, s8
	v_mov_b32_e32 v52, v50
	s_xor_b32 exec_lo, exec_lo, s8
	s_cbranch_execz .LBB62_34
; %bb.33:                               ;   in Loop: Header=BB62_2 Depth=1
	ds_load_u8 v52, v48 offset:1
	s_wait_dscnt 0x1
	v_mov_b32_e32 v51, v49
.LBB62_34:                              ;   in Loop: Header=BB62_2 Depth=1
	s_or_b32 exec_lo, exec_lo, s8
	v_add_nc_u32_e32 v54, 1, v48
	v_add_nc_u32_e32 v53, 1, v47
	s_wait_dscnt 0x0
	v_bfe_i32 v55, v51, 0, 8
	v_bfe_i32 v56, v52, 0, 8
	s_wait_loadcnt 0x0
	v_cndmask_b32_e64 v48, v48, v54, s7
	s_barrier_signal -1
	s_barrier_wait -1
	v_cmp_lt_i16_e64 s8, v56, v55
	global_inv scope:SCOPE_SE
	v_cmp_lt_i32_e64 s10, v48, v18
	v_mov_b32_e32 v48, v31
	v_cndmask_b32_e64 v47, v53, v47, s7
	s_delay_alu instid0(VALU_DEP_1)
	v_cmp_ge_i32_e64 s9, v47, v17
	v_cndmask_b32_e64 v47, v49, v50, s7
	s_or_b32 s7, s9, s8
	s_wait_alu 0xfffe
	s_and_b32 s7, s10, s7
	s_wait_alu 0xfffe
	v_cndmask_b32_e64 v49, v51, v52, s7
	ds_store_b8 v1, v47
	ds_store_b8 v1, v49 offset:1
	s_wait_loadcnt_dscnt 0x0
	s_barrier_signal -1
	s_barrier_wait -1
	global_inv scope:SCOPE_SE
	s_and_saveexec_b32 s8, s3
	s_cbranch_execz .LBB62_38
; %bb.35:                               ;   in Loop: Header=BB62_2 Depth=1
	v_dual_mov_b32 v48, v31 :: v_dual_mov_b32 v47, v34
	s_mov_b32 s9, 0
.LBB62_36:                              ;   Parent Loop BB62_2 Depth=1
                                        ; =>  This Inner Loop Header: Depth=2
	s_delay_alu instid0(VALU_DEP_1) | instskip(NEXT) | instid1(VALU_DEP_1)
	v_sub_nc_u32_e32 v49, v47, v48
	v_lshrrev_b32_e32 v49, 1, v49
	s_delay_alu instid0(VALU_DEP_1) | instskip(NEXT) | instid1(VALU_DEP_1)
	v_add_nc_u32_e32 v49, v49, v48
	v_add_nc_u32_e32 v50, v20, v49
	v_xad_u32 v51, v49, -1, v37
	v_add_nc_u32_e32 v52, 1, v49
	ds_load_i8 v50, v50
	ds_load_i8 v51, v51
	s_wait_dscnt 0x0
	v_cmp_lt_i16_e64 s7, v51, v50
	s_wait_alu 0xf1ff
	s_delay_alu instid0(VALU_DEP_1) | instskip(SKIP_1) | instid1(VALU_DEP_1)
	v_cndmask_b32_e64 v47, v47, v49, s7
	v_cndmask_b32_e64 v48, v52, v48, s7
	v_cmp_ge_i32_e64 s7, v48, v47
	s_or_b32 s9, s7, s9
	s_delay_alu instid0(SALU_CYCLE_1)
	s_and_not1_b32 exec_lo, exec_lo, s9
	s_cbranch_execnz .LBB62_36
; %bb.37:                               ;   in Loop: Header=BB62_2 Depth=1
	s_or_b32 exec_lo, exec_lo, s9
.LBB62_38:                              ;   in Loop: Header=BB62_2 Depth=1
	s_delay_alu instid0(SALU_CYCLE_1)
	s_or_b32 exec_lo, exec_lo, s8
	v_add_nc_u32_e32 v47, v48, v20
	v_sub_nc_u32_e32 v48, v37, v48
                                        ; implicit-def: $vgpr51
	ds_load_u8 v49, v47
	ds_load_u8 v50, v48
	v_cmp_le_i32_e64 s7, v23, v47
	v_cmp_gt_i32_e64 s9, v24, v48
	s_wait_dscnt 0x1
	v_bfe_i32 v49, v49, 0, 8
	s_wait_dscnt 0x0
	v_bfe_i32 v50, v50, 0, 8
	s_delay_alu instid0(VALU_DEP_1)
	v_cmp_lt_i16_e64 s8, v50, v49
	s_or_b32 s7, s7, s8
	s_wait_alu 0xfffe
	s_and_b32 s7, s9, s7
	s_wait_alu 0xfffe
	s_xor_b32 s8, s7, -1
	s_delay_alu instid0(SALU_CYCLE_1) | instskip(NEXT) | instid1(SALU_CYCLE_1)
	s_and_saveexec_b32 s9, s8
	s_xor_b32 s8, exec_lo, s9
; %bb.39:                               ;   in Loop: Header=BB62_2 Depth=1
	ds_load_u8 v51, v47 offset:1
; %bb.40:                               ;   in Loop: Header=BB62_2 Depth=1
	s_or_saveexec_b32 s8, s8
	v_mov_b32_e32 v52, v50
	s_xor_b32 exec_lo, exec_lo, s8
	s_cbranch_execz .LBB62_42
; %bb.41:                               ;   in Loop: Header=BB62_2 Depth=1
	ds_load_u8 v52, v48 offset:1
	s_wait_dscnt 0x1
	v_mov_b32_e32 v51, v49
.LBB62_42:                              ;   in Loop: Header=BB62_2 Depth=1
	s_or_b32 exec_lo, exec_lo, s8
	v_add_nc_u32_e32 v54, 1, v48
	v_add_nc_u32_e32 v53, 1, v47
	s_wait_dscnt 0x0
	v_bfe_i32 v55, v51, 0, 8
	v_bfe_i32 v56, v52, 0, 8
	s_wait_loadcnt 0x0
	v_cndmask_b32_e64 v48, v48, v54, s7
	s_barrier_signal -1
	s_barrier_wait -1
	v_cmp_lt_i16_e64 s8, v56, v55
	global_inv scope:SCOPE_SE
	v_cmp_lt_i32_e64 s10, v48, v24
	v_mov_b32_e32 v48, v38
	v_cndmask_b32_e64 v47, v53, v47, s7
	s_delay_alu instid0(VALU_DEP_1)
	v_cmp_ge_i32_e64 s9, v47, v23
	v_cndmask_b32_e64 v47, v49, v50, s7
	s_or_b32 s7, s9, s8
	s_wait_alu 0xfffe
	s_and_b32 s7, s10, s7
	s_wait_alu 0xfffe
	v_cndmask_b32_e64 v49, v51, v52, s7
	ds_store_b8 v1, v47
	ds_store_b8 v1, v49 offset:1
	s_wait_loadcnt_dscnt 0x0
	s_barrier_signal -1
	s_barrier_wait -1
	global_inv scope:SCOPE_SE
	s_and_saveexec_b32 s8, s4
	s_cbranch_execz .LBB62_46
; %bb.43:                               ;   in Loop: Header=BB62_2 Depth=1
	v_dual_mov_b32 v48, v38 :: v_dual_mov_b32 v47, v39
	s_mov_b32 s9, 0
.LBB62_44:                              ;   Parent Loop BB62_2 Depth=1
                                        ; =>  This Inner Loop Header: Depth=2
	s_delay_alu instid0(VALU_DEP_1) | instskip(NEXT) | instid1(VALU_DEP_1)
	v_sub_nc_u32_e32 v49, v47, v48
	v_lshrrev_b32_e32 v49, 1, v49
	s_delay_alu instid0(VALU_DEP_1) | instskip(NEXT) | instid1(VALU_DEP_1)
	v_add_nc_u32_e32 v49, v49, v48
	v_add_nc_u32_e32 v50, v29, v49
	v_xad_u32 v51, v49, -1, v44
	v_add_nc_u32_e32 v52, 1, v49
	ds_load_i8 v50, v50
	ds_load_i8 v51, v51
	s_wait_dscnt 0x0
	v_cmp_lt_i16_e64 s7, v51, v50
	s_wait_alu 0xf1ff
	s_delay_alu instid0(VALU_DEP_1) | instskip(SKIP_1) | instid1(VALU_DEP_1)
	v_cndmask_b32_e64 v47, v47, v49, s7
	v_cndmask_b32_e64 v48, v52, v48, s7
	v_cmp_ge_i32_e64 s7, v48, v47
	s_or_b32 s9, s7, s9
	s_delay_alu instid0(SALU_CYCLE_1)
	s_and_not1_b32 exec_lo, exec_lo, s9
	s_cbranch_execnz .LBB62_44
; %bb.45:                               ;   in Loop: Header=BB62_2 Depth=1
	s_or_b32 exec_lo, exec_lo, s9
.LBB62_46:                              ;   in Loop: Header=BB62_2 Depth=1
	s_delay_alu instid0(SALU_CYCLE_1)
	s_or_b32 exec_lo, exec_lo, s8
	v_add_nc_u32_e32 v47, v48, v29
	v_sub_nc_u32_e32 v48, v44, v48
                                        ; implicit-def: $vgpr51
	ds_load_u8 v49, v47
	ds_load_u8 v50, v48
	v_cmp_le_i32_e64 s7, v32, v47
	v_cmp_gt_i32_e64 s9, v33, v48
	s_wait_dscnt 0x1
	v_bfe_i32 v49, v49, 0, 8
	s_wait_dscnt 0x0
	v_bfe_i32 v50, v50, 0, 8
	s_delay_alu instid0(VALU_DEP_1)
	v_cmp_lt_i16_e64 s8, v50, v49
	s_or_b32 s7, s7, s8
	s_wait_alu 0xfffe
	s_and_b32 s7, s9, s7
	s_wait_alu 0xfffe
	s_xor_b32 s8, s7, -1
	s_delay_alu instid0(SALU_CYCLE_1) | instskip(NEXT) | instid1(SALU_CYCLE_1)
	s_and_saveexec_b32 s9, s8
	s_xor_b32 s8, exec_lo, s9
; %bb.47:                               ;   in Loop: Header=BB62_2 Depth=1
	ds_load_u8 v51, v47 offset:1
; %bb.48:                               ;   in Loop: Header=BB62_2 Depth=1
	s_or_saveexec_b32 s8, s8
	v_mov_b32_e32 v52, v50
	s_xor_b32 exec_lo, exec_lo, s8
	s_cbranch_execz .LBB62_50
; %bb.49:                               ;   in Loop: Header=BB62_2 Depth=1
	ds_load_u8 v52, v48 offset:1
	s_wait_dscnt 0x1
	v_mov_b32_e32 v51, v49
.LBB62_50:                              ;   in Loop: Header=BB62_2 Depth=1
	s_or_b32 exec_lo, exec_lo, s8
	v_add_nc_u32_e32 v54, 1, v48
	v_add_nc_u32_e32 v53, 1, v47
	s_wait_dscnt 0x0
	v_bfe_i32 v55, v51, 0, 8
	v_bfe_i32 v56, v52, 0, 8
	s_wait_loadcnt 0x0
	v_cndmask_b32_e64 v48, v48, v54, s7
	s_barrier_signal -1
	s_barrier_wait -1
	v_cmp_lt_i16_e64 s8, v56, v55
	global_inv scope:SCOPE_SE
	v_cmp_lt_i32_e64 s10, v48, v33
	v_mov_b32_e32 v48, v40
	v_cndmask_b32_e64 v47, v53, v47, s7
	s_delay_alu instid0(VALU_DEP_1)
	v_cmp_ge_i32_e64 s9, v47, v32
	v_cndmask_b32_e64 v47, v49, v50, s7
	s_or_b32 s7, s9, s8
	s_wait_alu 0xfffe
	s_and_b32 s7, s10, s7
	s_wait_alu 0xfffe
	v_cndmask_b32_e64 v49, v51, v52, s7
	ds_store_b8 v1, v47
	ds_store_b8 v1, v49 offset:1
	s_wait_loadcnt_dscnt 0x0
	s_barrier_signal -1
	s_barrier_wait -1
	global_inv scope:SCOPE_SE
	s_and_saveexec_b32 s8, s5
	s_cbranch_execz .LBB62_54
; %bb.51:                               ;   in Loop: Header=BB62_2 Depth=1
	v_dual_mov_b32 v48, v40 :: v_dual_mov_b32 v47, v41
	s_mov_b32 s9, 0
.LBB62_52:                              ;   Parent Loop BB62_2 Depth=1
                                        ; =>  This Inner Loop Header: Depth=2
	s_delay_alu instid0(VALU_DEP_1) | instskip(NEXT) | instid1(VALU_DEP_1)
	v_sub_nc_u32_e32 v49, v47, v48
	v_lshrrev_b32_e32 v49, 1, v49
	s_delay_alu instid0(VALU_DEP_1) | instskip(NEXT) | instid1(VALU_DEP_1)
	v_add_nc_u32_e32 v49, v49, v48
	v_add_nc_u32_e32 v50, v30, v49
	v_xad_u32 v51, v49, -1, v45
	v_add_nc_u32_e32 v52, 1, v49
	ds_load_i8 v50, v50
	ds_load_i8 v51, v51
	s_wait_dscnt 0x0
	v_cmp_lt_i16_e64 s7, v51, v50
	s_wait_alu 0xf1ff
	s_delay_alu instid0(VALU_DEP_1) | instskip(SKIP_1) | instid1(VALU_DEP_1)
	v_cndmask_b32_e64 v47, v47, v49, s7
	v_cndmask_b32_e64 v48, v52, v48, s7
	v_cmp_ge_i32_e64 s7, v48, v47
	s_or_b32 s9, s7, s9
	s_delay_alu instid0(SALU_CYCLE_1)
	s_and_not1_b32 exec_lo, exec_lo, s9
	s_cbranch_execnz .LBB62_52
; %bb.53:                               ;   in Loop: Header=BB62_2 Depth=1
	s_or_b32 exec_lo, exec_lo, s9
.LBB62_54:                              ;   in Loop: Header=BB62_2 Depth=1
	s_delay_alu instid0(SALU_CYCLE_1)
	s_or_b32 exec_lo, exec_lo, s8
	v_add_nc_u32_e32 v47, v48, v30
	v_sub_nc_u32_e32 v48, v45, v48
                                        ; implicit-def: $vgpr51
	ds_load_u8 v49, v47
	ds_load_u8 v50, v48
	v_cmp_le_i32_e64 s7, v35, v47
	v_cmp_gt_i32_e64 s9, v36, v48
	s_wait_dscnt 0x1
	v_bfe_i32 v49, v49, 0, 8
	s_wait_dscnt 0x0
	v_bfe_i32 v50, v50, 0, 8
	s_delay_alu instid0(VALU_DEP_1)
	v_cmp_lt_i16_e64 s8, v50, v49
	s_or_b32 s7, s7, s8
	s_wait_alu 0xfffe
	s_and_b32 s7, s9, s7
	s_wait_alu 0xfffe
	s_xor_b32 s8, s7, -1
	s_delay_alu instid0(SALU_CYCLE_1) | instskip(NEXT) | instid1(SALU_CYCLE_1)
	s_and_saveexec_b32 s9, s8
	s_xor_b32 s8, exec_lo, s9
; %bb.55:                               ;   in Loop: Header=BB62_2 Depth=1
	ds_load_u8 v51, v47 offset:1
; %bb.56:                               ;   in Loop: Header=BB62_2 Depth=1
	s_or_saveexec_b32 s8, s8
	v_mov_b32_e32 v52, v50
	s_xor_b32 exec_lo, exec_lo, s8
	s_cbranch_execz .LBB62_58
; %bb.57:                               ;   in Loop: Header=BB62_2 Depth=1
	ds_load_u8 v52, v48 offset:1
	s_wait_dscnt 0x1
	v_mov_b32_e32 v51, v49
.LBB62_58:                              ;   in Loop: Header=BB62_2 Depth=1
	s_or_b32 exec_lo, exec_lo, s8
	v_add_nc_u32_e32 v53, 1, v47
	v_add_nc_u32_e32 v54, 1, v48
	s_wait_dscnt 0x0
	v_bfe_i32 v55, v51, 0, 8
	v_bfe_i32 v56, v52, 0, 8
	s_wait_loadcnt 0x0
	v_cndmask_b32_e64 v47, v53, v47, s7
	s_barrier_signal -1
	s_barrier_wait -1
	v_cmp_lt_i16_e64 s8, v56, v55
	global_inv scope:SCOPE_SE
	v_cmp_ge_i32_e64 s9, v47, v35
	v_mov_b32_e32 v47, v42
	v_cndmask_b32_e64 v48, v48, v54, s7
	s_delay_alu instid0(VALU_DEP_1)
	v_cmp_lt_i32_e64 s10, v48, v36
	v_cndmask_b32_e64 v48, v49, v50, s7
	s_or_b32 s7, s9, s8
	s_wait_alu 0xfffe
	s_and_b32 s7, s10, s7
	s_wait_alu 0xfffe
	v_cndmask_b32_e64 v49, v51, v52, s7
	ds_store_b8 v1, v48
	ds_store_b8 v1, v49 offset:1
	s_wait_loadcnt_dscnt 0x0
	s_barrier_signal -1
	s_barrier_wait -1
	global_inv scope:SCOPE_SE
	s_and_saveexec_b32 s8, s6
	s_cbranch_execz .LBB62_62
; %bb.59:                               ;   in Loop: Header=BB62_2 Depth=1
	v_dual_mov_b32 v47, v42 :: v_dual_mov_b32 v48, v43
	s_mov_b32 s9, 0
.LBB62_60:                              ;   Parent Loop BB62_2 Depth=1
                                        ; =>  This Inner Loop Header: Depth=2
	s_delay_alu instid0(VALU_DEP_1) | instskip(NEXT) | instid1(VALU_DEP_1)
	v_sub_nc_u32_e32 v49, v48, v47
	v_lshrrev_b32_e32 v49, 1, v49
	s_delay_alu instid0(VALU_DEP_1) | instskip(NEXT) | instid1(VALU_DEP_1)
	v_add_nc_u32_e32 v49, v49, v47
	v_xad_u32 v50, v49, -1, v46
	v_add_nc_u32_e32 v52, 1, v49
	ds_load_i8 v51, v49
	ds_load_i8 v50, v50
	s_wait_dscnt 0x0
	v_cmp_lt_i16_e64 s7, v50, v51
	s_wait_alu 0xf1ff
	s_delay_alu instid0(VALU_DEP_1) | instskip(SKIP_1) | instid1(VALU_DEP_1)
	v_cndmask_b32_e64 v48, v48, v49, s7
	v_cndmask_b32_e64 v47, v52, v47, s7
	v_cmp_ge_i32_e64 s7, v47, v48
	s_or_b32 s9, s7, s9
	s_delay_alu instid0(SALU_CYCLE_1)
	s_and_not1_b32 exec_lo, exec_lo, s9
	s_cbranch_execnz .LBB62_60
; %bb.61:                               ;   in Loop: Header=BB62_2 Depth=1
	s_or_b32 exec_lo, exec_lo, s9
.LBB62_62:                              ;   in Loop: Header=BB62_2 Depth=1
	s_delay_alu instid0(SALU_CYCLE_1)
	s_or_b32 exec_lo, exec_lo, s8
	v_sub_nc_u32_e32 v49, v46, v47
	v_cmp_le_i32_e64 s7, 0x100, v47
                                        ; implicit-def: $vgpr51
                                        ; implicit-def: $vgpr52
	ds_load_u8 v48, v47
	ds_load_u8 v50, v49
	v_cmp_gt_i32_e64 s9, 0x200, v49
	s_wait_dscnt 0x1
	v_bfe_i32 v48, v48, 0, 8
	s_wait_dscnt 0x0
	v_bfe_i32 v50, v50, 0, 8
	s_delay_alu instid0(VALU_DEP_1)
	v_cmp_lt_i16_e64 s8, v50, v48
	s_or_b32 s7, s7, s8
	s_wait_alu 0xfffe
	s_and_b32 s7, s9, s7
	s_wait_alu 0xfffe
	s_xor_b32 s8, s7, -1
	s_delay_alu instid0(SALU_CYCLE_1) | instskip(NEXT) | instid1(SALU_CYCLE_1)
	s_and_saveexec_b32 s9, s8
	s_xor_b32 s8, exec_lo, s9
; %bb.63:                               ;   in Loop: Header=BB62_2 Depth=1
	ds_load_u8 v51, v47 offset:1
	v_add_nc_u32_e32 v52, 1, v47
                                        ; implicit-def: $vgpr47
; %bb.64:                               ;   in Loop: Header=BB62_2 Depth=1
	s_or_saveexec_b32 s8, s8
	v_mov_b32_e32 v53, v50
	s_xor_b32 exec_lo, exec_lo, s8
	s_cbranch_execz .LBB62_1
; %bb.65:                               ;   in Loop: Header=BB62_2 Depth=1
	ds_load_u8 v53, v49 offset:1
	v_dual_mov_b32 v52, v47 :: v_dual_add_nc_u32 v49, 1, v49
	s_wait_dscnt 0x1
	v_mov_b32_e32 v51, v48
	s_branch .LBB62_1
.LBB62_66:
	s_add_nc_u64 s[0:1], s[14:15], s[16:17]
	s_wait_alu 0xfffe
	v_add_co_u32 v0, s0, s0, v0
	s_wait_alu 0xf1ff
	v_add_co_ci_u32_e64 v1, null, s1, 0, s0
	s_clause 0x1
	global_store_b8 v[0:1], v47, off
	global_store_b8 v[0:1], v48, off offset:256
	s_endpgm
	.section	.rodata,"a",@progbits
	.p2align	6, 0x0
	.amdhsa_kernel _Z16sort_keys_kernelIaLj256ELj2EN10test_utils4lessELj10EEvPKT_PS2_T2_
		.amdhsa_group_segment_fixed_size 513
		.amdhsa_private_segment_fixed_size 0
		.amdhsa_kernarg_size 20
		.amdhsa_user_sgpr_count 2
		.amdhsa_user_sgpr_dispatch_ptr 0
		.amdhsa_user_sgpr_queue_ptr 0
		.amdhsa_user_sgpr_kernarg_segment_ptr 1
		.amdhsa_user_sgpr_dispatch_id 0
		.amdhsa_user_sgpr_private_segment_size 0
		.amdhsa_wavefront_size32 1
		.amdhsa_uses_dynamic_stack 0
		.amdhsa_enable_private_segment 0
		.amdhsa_system_sgpr_workgroup_id_x 1
		.amdhsa_system_sgpr_workgroup_id_y 0
		.amdhsa_system_sgpr_workgroup_id_z 0
		.amdhsa_system_sgpr_workgroup_info 0
		.amdhsa_system_vgpr_workitem_id 0
		.amdhsa_next_free_vgpr 57
		.amdhsa_next_free_sgpr 18
		.amdhsa_reserve_vcc 1
		.amdhsa_float_round_mode_32 0
		.amdhsa_float_round_mode_16_64 0
		.amdhsa_float_denorm_mode_32 3
		.amdhsa_float_denorm_mode_16_64 3
		.amdhsa_fp16_overflow 0
		.amdhsa_workgroup_processor_mode 1
		.amdhsa_memory_ordered 1
		.amdhsa_forward_progress 1
		.amdhsa_inst_pref_size 35
		.amdhsa_round_robin_scheduling 0
		.amdhsa_exception_fp_ieee_invalid_op 0
		.amdhsa_exception_fp_denorm_src 0
		.amdhsa_exception_fp_ieee_div_zero 0
		.amdhsa_exception_fp_ieee_overflow 0
		.amdhsa_exception_fp_ieee_underflow 0
		.amdhsa_exception_fp_ieee_inexact 0
		.amdhsa_exception_int_div_zero 0
	.end_amdhsa_kernel
	.section	.text._Z16sort_keys_kernelIaLj256ELj2EN10test_utils4lessELj10EEvPKT_PS2_T2_,"axG",@progbits,_Z16sort_keys_kernelIaLj256ELj2EN10test_utils4lessELj10EEvPKT_PS2_T2_,comdat
.Lfunc_end62:
	.size	_Z16sort_keys_kernelIaLj256ELj2EN10test_utils4lessELj10EEvPKT_PS2_T2_, .Lfunc_end62-_Z16sort_keys_kernelIaLj256ELj2EN10test_utils4lessELj10EEvPKT_PS2_T2_
                                        ; -- End function
	.set _Z16sort_keys_kernelIaLj256ELj2EN10test_utils4lessELj10EEvPKT_PS2_T2_.num_vgpr, 57
	.set _Z16sort_keys_kernelIaLj256ELj2EN10test_utils4lessELj10EEvPKT_PS2_T2_.num_agpr, 0
	.set _Z16sort_keys_kernelIaLj256ELj2EN10test_utils4lessELj10EEvPKT_PS2_T2_.numbered_sgpr, 18
	.set _Z16sort_keys_kernelIaLj256ELj2EN10test_utils4lessELj10EEvPKT_PS2_T2_.num_named_barrier, 0
	.set _Z16sort_keys_kernelIaLj256ELj2EN10test_utils4lessELj10EEvPKT_PS2_T2_.private_seg_size, 0
	.set _Z16sort_keys_kernelIaLj256ELj2EN10test_utils4lessELj10EEvPKT_PS2_T2_.uses_vcc, 1
	.set _Z16sort_keys_kernelIaLj256ELj2EN10test_utils4lessELj10EEvPKT_PS2_T2_.uses_flat_scratch, 0
	.set _Z16sort_keys_kernelIaLj256ELj2EN10test_utils4lessELj10EEvPKT_PS2_T2_.has_dyn_sized_stack, 0
	.set _Z16sort_keys_kernelIaLj256ELj2EN10test_utils4lessELj10EEvPKT_PS2_T2_.has_recursion, 0
	.set _Z16sort_keys_kernelIaLj256ELj2EN10test_utils4lessELj10EEvPKT_PS2_T2_.has_indirect_call, 0
	.section	.AMDGPU.csdata,"",@progbits
; Kernel info:
; codeLenInByte = 4480
; TotalNumSgprs: 20
; NumVgprs: 57
; ScratchSize: 0
; MemoryBound: 0
; FloatMode: 240
; IeeeMode: 1
; LDSByteSize: 513 bytes/workgroup (compile time only)
; SGPRBlocks: 0
; VGPRBlocks: 7
; NumSGPRsForWavesPerEU: 20
; NumVGPRsForWavesPerEU: 57
; Occupancy: 16
; WaveLimiterHint : 1
; COMPUTE_PGM_RSRC2:SCRATCH_EN: 0
; COMPUTE_PGM_RSRC2:USER_SGPR: 2
; COMPUTE_PGM_RSRC2:TRAP_HANDLER: 0
; COMPUTE_PGM_RSRC2:TGID_X_EN: 1
; COMPUTE_PGM_RSRC2:TGID_Y_EN: 0
; COMPUTE_PGM_RSRC2:TGID_Z_EN: 0
; COMPUTE_PGM_RSRC2:TIDIG_COMP_CNT: 0
	.section	.text._Z17sort_pairs_kernelIaLj256ELj2EN10test_utils4lessELj10EEvPKT_PS2_T2_,"axG",@progbits,_Z17sort_pairs_kernelIaLj256ELj2EN10test_utils4lessELj10EEvPKT_PS2_T2_,comdat
	.protected	_Z17sort_pairs_kernelIaLj256ELj2EN10test_utils4lessELj10EEvPKT_PS2_T2_ ; -- Begin function _Z17sort_pairs_kernelIaLj256ELj2EN10test_utils4lessELj10EEvPKT_PS2_T2_
	.globl	_Z17sort_pairs_kernelIaLj256ELj2EN10test_utils4lessELj10EEvPKT_PS2_T2_
	.p2align	8
	.type	_Z17sort_pairs_kernelIaLj256ELj2EN10test_utils4lessELj10EEvPKT_PS2_T2_,@function
_Z17sort_pairs_kernelIaLj256ELj2EN10test_utils4lessELj10EEvPKT_PS2_T2_: ; @_Z17sort_pairs_kernelIaLj256ELj2EN10test_utils4lessELj10EEvPKT_PS2_T2_
; %bb.0:
	s_load_b128 s[12:15], s[0:1], 0x0
	s_lshl_b32 s16, ttmp9, 9
	s_mov_b32 s17, 0
	v_lshlrev_b32_e32 v1, 1, v0
	s_mov_b32 s11, s17
	s_delay_alu instid0(VALU_DEP_1)
	v_and_b32_e32 v2, 0x1fc, v1
	v_and_b32_e32 v3, 0x1f8, v1
	;; [unrolled: 1-line block ×5, first 2 shown]
	v_or_b32_e32 v11, 2, v2
	v_add_nc_u32_e32 v12, 4, v2
	v_or_b32_e32 v13, 4, v3
	v_add_nc_u32_e32 v14, 8, v3
	v_and_b32_e32 v5, 0x1e0, v1
	v_or_b32_e32 v15, 8, v4
	v_sub_nc_u32_e32 v46, v12, v11
	s_wait_kmcnt 0x0
	s_add_nc_u64 s[0:1], s[12:13], s[16:17]
	v_add_nc_u32_e32 v16, 16, v4
	s_clause 0x1
	global_load_u8 v48, v0, s[0:1]
	global_load_u8 v47, v0, s[0:1] offset:256
	v_sub_nc_u32_e32 v32, v11, v2
	v_sub_nc_u32_e32 v49, v14, v13
	;; [unrolled: 1-line block ×3, first 2 shown]
	v_cmp_ge_i32_e64 s0, v39, v46
	v_and_b32_e32 v41, 14, v1
	v_and_b32_e32 v6, 0x1c0, v1
	v_or_b32_e32 v17, 16, v5
	v_add_nc_u32_e32 v18, 32, v5
	v_add_nc_u32_e32 v25, v11, v39
	v_sub_nc_u32_e32 v33, v13, v3
	v_sub_nc_u32_e32 v50, v16, v15
	v_min_i32_e32 v32, v39, v32
	v_sub_nc_u32_e32 v56, v40, v49
	v_cndmask_b32_e64 v39, 0, v55, s0
	v_cmp_ge_i32_e64 s0, v40, v49
	v_and_b32_e32 v42, 30, v1
	v_and_b32_e32 v7, 0x180, v1
	v_or_b32_e32 v19, 32, v6
	v_add_nc_u32_e32 v20, 64, v6
	v_add_nc_u32_e32 v26, v13, v40
	v_sub_nc_u32_e32 v34, v15, v4
	v_sub_nc_u32_e32 v51, v18, v17
	v_min_i32_e32 v33, v40, v33
	v_sub_nc_u32_e32 v57, v41, v50
	s_wait_alu 0xf1ff
	v_cndmask_b32_e64 v40, 0, v56, s0
	v_cmp_ge_i32_e64 s0, v41, v50
	v_and_b32_e32 v43, 62, v1
	v_and_b32_e32 v8, 0x100, v1
	v_or_b32_e32 v21, 64, v7
	v_add_nc_u32_e32 v22, 0x80, v7
	v_add_nc_u32_e32 v27, v15, v41
	v_sub_nc_u32_e32 v35, v17, v5
	v_sub_nc_u32_e32 v52, v20, v19
	v_min_i32_e32 v34, v41, v34
	v_sub_nc_u32_e32 v58, v42, v51
	s_wait_alu 0xf1ff
	v_cndmask_b32_e64 v41, 0, v57, s0
	v_cmp_ge_i32_e64 s0, v42, v51
	v_and_b32_e32 v44, 0x7e, v1
	v_or_b32_e32 v23, 0x80, v8
	v_add_nc_u32_e32 v24, 0x100, v8
	v_add_nc_u32_e32 v28, v17, v42
	v_sub_nc_u32_e32 v36, v19, v6
	v_sub_nc_u32_e32 v53, v22, v21
	v_min_i32_e32 v35, v42, v35
	v_sub_nc_u32_e32 v59, v43, v52
	s_wait_alu 0xf1ff
	v_cndmask_b32_e64 v42, 0, v58, s0
	v_cmp_ge_i32_e64 s0, v43, v52
	v_and_b32_e32 v45, 0xfe, v1
	v_add_nc_u32_e32 v29, v19, v43
	v_sub_nc_u32_e32 v37, v21, v7
	v_sub_nc_u32_e32 v54, v24, v23
	v_min_i32_e32 v36, v43, v36
	v_sub_nc_u32_e32 v60, v44, v53
	s_wait_alu 0xf1ff
	v_cndmask_b32_e64 v43, 0, v59, s0
	v_cmp_ge_i32_e64 s0, v44, v53
	v_add_nc_u32_e32 v30, v21, v44
	v_sub_nc_u32_e32 v38, v23, v8
	v_min_i32_e32 v37, v44, v37
	v_sub_nc_u32_e32 v61, v45, v54
	s_wait_alu 0xf1ff
	v_cndmask_b32_e64 v44, 0, v60, s0
	v_cmp_ge_i32_e64 s0, v45, v54
	v_add_nc_u32_e32 v31, v23, v45
	v_min_i32_e32 v38, v45, v38
	v_subrev_nc_u32_e64 v9, 0x100, v1 clamp
	v_min_i32_e32 v10, 0x100, v1
	s_wait_alu 0xf1ff
	v_cndmask_b32_e64 v45, 0, v61, s0
	v_cmp_lt_i32_e64 s0, v39, v32
	v_cmp_lt_i32_e64 s1, v40, v33
	v_cmp_lt_i32_e64 s2, v41, v34
	v_cmp_lt_i32_e64 s3, v42, v35
	v_cmp_lt_i32_e64 s4, v43, v36
	v_cmp_lt_i32_e64 s5, v44, v37
	v_cmp_lt_i32_e64 s6, v45, v38
	v_add_nc_u32_e32 v46, 0x100, v1
	v_cmp_lt_i32_e32 vcc_lo, v9, v10
	s_wait_loadcnt 0x1
	v_add_nc_u16 v50, v48, 1
	s_wait_loadcnt 0x0
	v_add_nc_u16 v49, v47, 1
	s_branch .LBB63_2
.LBB63_1:                               ;   in Loop: Header=BB63_2 Depth=1
	s_or_b32 exec_lo, exec_lo, s8
	s_wait_dscnt 0x0
	s_delay_alu instid0(VALU_DEP_1)
	v_bfe_i32 v49, v54, 0, 8
	v_bfe_i32 v57, v56, 0, 8
	v_cmp_le_i32_e64 s9, 0x100, v53
	v_cmp_gt_i32_e64 s8, 0x200, v50
	s_wait_loadcnt 0x0
	s_barrier_signal -1
	v_cmp_lt_i16_e64 s10, v57, v49
	s_barrier_wait -1
	global_inv scope:SCOPE_SE
	ds_store_b8 v1, v47
	ds_store_b8 v1, v48 offset:1
	s_wait_loadcnt_dscnt 0x0
	s_or_b32 s9, s9, s10
	s_barrier_signal -1
	s_wait_alu 0xfffe
	s_and_b32 s8, s8, s9
	s_barrier_wait -1
	s_wait_alu 0xfffe
	v_cndmask_b32_e64 v48, v53, v50, s8
	global_inv scope:SCOPE_SE
	v_cndmask_b32_e64 v47, v54, v56, s8
	ds_load_u8 v50, v55
	ds_load_u8 v49, v48
	v_cndmask_b32_e64 v48, v51, v52, s7
	s_add_co_i32 s11, s11, 1
	s_delay_alu instid0(SALU_CYCLE_1)
	s_cmp_eq_u32 s11, 10
	s_cbranch_scc1 .LBB63_66
.LBB63_2:                               ; =>This Loop Header: Depth=1
                                        ;     Child Loop BB63_4 Depth 2
                                        ;     Child Loop BB63_12 Depth 2
	;; [unrolled: 1-line block ×8, first 2 shown]
	s_delay_alu instid0(VALU_DEP_1) | instskip(SKIP_4) | instid1(VALU_DEP_4)
	v_bfe_i32 v51, v48, 0, 8
	v_bfe_i32 v52, v47, 0, 8
	v_perm_b32 v53, v47, v48, 0xc0c0004
	v_perm_b32 v47, v48, v47, 0xc0c0004
	v_mov_b32_e32 v48, v39
	v_cmp_lt_i16_e64 s7, v52, v51
	s_barrier_signal -1
	s_barrier_wait -1
	global_inv scope:SCOPE_SE
	s_wait_alu 0xf1ff
	v_cndmask_b32_e64 v47, v47, v53, s7
	s_delay_alu instid0(VALU_DEP_1)
	v_lshrrev_b16 v51, 8, v47
	ds_store_b8 v1, v47
	ds_store_b8 v1, v51 offset:1
	s_wait_loadcnt_dscnt 0x0
	s_barrier_signal -1
	s_barrier_wait -1
	global_inv scope:SCOPE_SE
	s_and_saveexec_b32 s9, s0
	s_cbranch_execz .LBB63_6
; %bb.3:                                ;   in Loop: Header=BB63_2 Depth=1
	v_dual_mov_b32 v48, v39 :: v_dual_mov_b32 v47, v32
	s_mov_b32 s10, 0
.LBB63_4:                               ;   Parent Loop BB63_2 Depth=1
                                        ; =>  This Inner Loop Header: Depth=2
	s_delay_alu instid0(VALU_DEP_1) | instskip(NEXT) | instid1(VALU_DEP_1)
	v_sub_nc_u32_e32 v51, v47, v48
	v_lshrrev_b32_e32 v51, 1, v51
	s_delay_alu instid0(VALU_DEP_1) | instskip(NEXT) | instid1(VALU_DEP_1)
	v_add_nc_u32_e32 v51, v51, v48
	v_add_nc_u32_e32 v52, v2, v51
	v_xad_u32 v53, v51, -1, v25
	v_add_nc_u32_e32 v54, 1, v51
	ds_load_i8 v52, v52
	ds_load_i8 v53, v53
	s_wait_dscnt 0x0
	v_cmp_lt_i16_e64 s8, v53, v52
	s_wait_alu 0xf1ff
	s_delay_alu instid0(VALU_DEP_1) | instskip(SKIP_1) | instid1(VALU_DEP_1)
	v_cndmask_b32_e64 v47, v47, v51, s8
	v_cndmask_b32_e64 v48, v54, v48, s8
	v_cmp_ge_i32_e64 s8, v48, v47
	s_or_b32 s10, s8, s10
	s_delay_alu instid0(SALU_CYCLE_1)
	s_and_not1_b32 exec_lo, exec_lo, s10
	s_cbranch_execnz .LBB63_4
; %bb.5:                                ;   in Loop: Header=BB63_2 Depth=1
	s_or_b32 exec_lo, exec_lo, s10
.LBB63_6:                               ;   in Loop: Header=BB63_2 Depth=1
	s_wait_alu 0xfffe
	s_or_b32 exec_lo, exec_lo, s9
	v_add_nc_u32_e32 v47, v48, v2
	v_sub_nc_u32_e32 v53, v25, v48
	ds_load_u8 v48, v47
	ds_load_u8 v52, v53
	v_cmp_le_i32_e64 s8, v11, v47
	v_cmp_gt_i32_e64 s10, v12, v53
	s_wait_dscnt 0x1
	v_bfe_i32 v51, v48, 0, 8
	s_wait_dscnt 0x0
	v_bfe_i32 v52, v52, 0, 8
                                        ; implicit-def: $vgpr48
	s_delay_alu instid0(VALU_DEP_1)
	v_cmp_lt_i16_e64 s9, v52, v51
	s_or_b32 s8, s8, s9
	s_wait_alu 0xfffe
	s_and_b32 s8, s10, s8
	s_wait_alu 0xfffe
	s_xor_b32 s9, s8, -1
	s_wait_alu 0xfffe
	s_and_saveexec_b32 s10, s9
	s_delay_alu instid0(SALU_CYCLE_1)
	s_xor_b32 s9, exec_lo, s10
; %bb.7:                                ;   in Loop: Header=BB63_2 Depth=1
	ds_load_u8 v48, v47 offset:1
; %bb.8:                                ;   in Loop: Header=BB63_2 Depth=1
	s_wait_alu 0xfffe
	s_or_saveexec_b32 s9, s9
	v_mov_b32_e32 v54, v52
	s_wait_alu 0xfffe
	s_xor_b32 exec_lo, exec_lo, s9
	s_cbranch_execz .LBB63_10
; %bb.9:                                ;   in Loop: Header=BB63_2 Depth=1
	ds_load_u8 v54, v53 offset:1
	s_wait_dscnt 0x1
	v_mov_b32_e32 v48, v51
.LBB63_10:                              ;   in Loop: Header=BB63_2 Depth=1
	s_or_b32 exec_lo, exec_lo, s9
	v_add_nc_u32_e32 v55, 1, v47
	v_add_nc_u32_e32 v56, 1, v53
	s_wait_dscnt 0x0
	v_bfe_i32 v58, v48, 0, 8
	v_bfe_i32 v59, v54, 0, 8
	v_perm_b32 v57, v49, v50, 0xc0c0004
	v_cndmask_b32_e64 v55, v55, v47, s8
	v_perm_b32 v49, v50, v49, 0xc0c0004
	v_cndmask_b32_e64 v50, v53, v56, s8
	v_cmp_lt_i16_e64 s9, v59, v58
	v_cndmask_b32_e64 v47, v47, v53, s8
	v_cmp_ge_i32_e64 s10, v55, v11
	v_cndmask_b32_e64 v49, v49, v57, s7
	v_cmp_lt_i32_e64 s7, v50, v12
	s_wait_loadcnt 0x0
	s_barrier_signal -1
	s_or_b32 s9, s10, s9
	v_lshrrev_b16 v53, 8, v49
	s_wait_alu 0xfffe
	s_and_b32 s7, s7, s9
	s_barrier_wait -1
	s_wait_alu 0xfffe
	v_cndmask_b32_e64 v54, v48, v54, s7
	v_cndmask_b32_e64 v48, v55, v50, s7
	global_inv scope:SCOPE_SE
	ds_store_b8 v1, v49
	ds_store_b8 v1, v53 offset:1
	s_wait_loadcnt_dscnt 0x0
	s_barrier_signal -1
	s_barrier_wait -1
	global_inv scope:SCOPE_SE
	ds_load_u8 v47, v47
	ds_load_u8 v48, v48
	v_cndmask_b32_e64 v49, v51, v52, s8
	s_wait_loadcnt_dscnt 0x0
	s_barrier_signal -1
	s_barrier_wait -1
	global_inv scope:SCOPE_SE
	ds_store_b8 v1, v49
	ds_store_b8 v1, v54 offset:1
	v_mov_b32_e32 v49, v40
	s_wait_loadcnt_dscnt 0x0
	s_barrier_signal -1
	s_barrier_wait -1
	global_inv scope:SCOPE_SE
	s_and_saveexec_b32 s8, s1
	s_cbranch_execz .LBB63_14
; %bb.11:                               ;   in Loop: Header=BB63_2 Depth=1
	v_dual_mov_b32 v49, v40 :: v_dual_mov_b32 v50, v33
	s_mov_b32 s9, 0
.LBB63_12:                              ;   Parent Loop BB63_2 Depth=1
                                        ; =>  This Inner Loop Header: Depth=2
	s_delay_alu instid0(VALU_DEP_1) | instskip(NEXT) | instid1(VALU_DEP_1)
	v_sub_nc_u32_e32 v51, v50, v49
	v_lshrrev_b32_e32 v51, 1, v51
	s_delay_alu instid0(VALU_DEP_1) | instskip(NEXT) | instid1(VALU_DEP_1)
	v_add_nc_u32_e32 v51, v51, v49
	v_add_nc_u32_e32 v52, v3, v51
	v_xad_u32 v53, v51, -1, v26
	v_add_nc_u32_e32 v54, 1, v51
	ds_load_i8 v52, v52
	ds_load_i8 v53, v53
	s_wait_dscnt 0x0
	v_cmp_lt_i16_e64 s7, v53, v52
	s_wait_alu 0xf1ff
	s_delay_alu instid0(VALU_DEP_1) | instskip(SKIP_1) | instid1(VALU_DEP_1)
	v_cndmask_b32_e64 v50, v50, v51, s7
	v_cndmask_b32_e64 v49, v54, v49, s7
	v_cmp_ge_i32_e64 s7, v49, v50
	s_wait_alu 0xfffe
	s_or_b32 s9, s7, s9
	s_wait_alu 0xfffe
	s_and_not1_b32 exec_lo, exec_lo, s9
	s_cbranch_execnz .LBB63_12
; %bb.13:                               ;   in Loop: Header=BB63_2 Depth=1
	s_or_b32 exec_lo, exec_lo, s9
.LBB63_14:                              ;   in Loop: Header=BB63_2 Depth=1
	s_wait_alu 0xfffe
	s_or_b32 exec_lo, exec_lo, s8
	v_add_nc_u32_e32 v53, v49, v3
	v_sub_nc_u32_e32 v51, v26, v49
                                        ; implicit-def: $vgpr52
	ds_load_u8 v49, v53
	ds_load_u8 v50, v51
	v_cmp_le_i32_e64 s7, v13, v53
	v_cmp_gt_i32_e64 s9, v14, v51
	s_wait_dscnt 0x1
	v_bfe_i32 v49, v49, 0, 8
	s_wait_dscnt 0x0
	v_bfe_i32 v50, v50, 0, 8
	s_delay_alu instid0(VALU_DEP_1)
	v_cmp_lt_i16_e64 s8, v50, v49
	s_or_b32 s7, s7, s8
	s_wait_alu 0xfffe
	s_and_b32 s7, s9, s7
	s_wait_alu 0xfffe
	s_xor_b32 s8, s7, -1
	s_wait_alu 0xfffe
	s_and_saveexec_b32 s9, s8
	s_wait_alu 0xfffe
	s_xor_b32 s8, exec_lo, s9
; %bb.15:                               ;   in Loop: Header=BB63_2 Depth=1
	ds_load_u8 v52, v53 offset:1
; %bb.16:                               ;   in Loop: Header=BB63_2 Depth=1
	s_wait_alu 0xfffe
	s_or_saveexec_b32 s8, s8
	v_mov_b32_e32 v54, v50
	s_wait_alu 0xfffe
	s_xor_b32 exec_lo, exec_lo, s8
	s_cbranch_execz .LBB63_18
; %bb.17:                               ;   in Loop: Header=BB63_2 Depth=1
	ds_load_u8 v54, v51 offset:1
	s_wait_dscnt 0x1
	v_mov_b32_e32 v52, v49
.LBB63_18:                              ;   in Loop: Header=BB63_2 Depth=1
	s_or_b32 exec_lo, exec_lo, s8
	v_add_nc_u32_e32 v55, 1, v53
	v_add_nc_u32_e32 v56, 1, v51
	s_wait_dscnt 0x0
	v_bfe_i32 v57, v52, 0, 8
	v_bfe_i32 v58, v54, 0, 8
	s_wait_loadcnt 0x0
	v_cndmask_b32_e64 v55, v55, v53, s7
	v_cndmask_b32_e64 v53, v53, v51, s7
	;; [unrolled: 1-line block ×3, first 2 shown]
	v_cmp_lt_i16_e64 s8, v58, v57
	s_barrier_signal -1
	v_cmp_ge_i32_e64 s9, v55, v13
	s_barrier_wait -1
	v_cmp_lt_i32_e64 s10, v51, v14
	global_inv scope:SCOPE_SE
	ds_store_b8 v1, v47
	ds_store_b8 v1, v48 offset:1
	s_or_b32 s8, s9, s8
	s_wait_loadcnt_dscnt 0x0
	s_wait_alu 0xfffe
	s_and_b32 s8, s10, s8
	s_barrier_signal -1
	s_wait_alu 0xfffe
	v_cndmask_b32_e64 v48, v55, v51, s8
	s_barrier_wait -1
	global_inv scope:SCOPE_SE
	v_cndmask_b32_e64 v49, v49, v50, s7
	ds_load_u8 v47, v53
	ds_load_u8 v48, v48
	v_cndmask_b32_e64 v52, v52, v54, s8
	s_wait_loadcnt_dscnt 0x0
	s_barrier_signal -1
	s_barrier_wait -1
	global_inv scope:SCOPE_SE
	ds_store_b8 v1, v49
	ds_store_b8 v1, v52 offset:1
	v_mov_b32_e32 v49, v41
	s_wait_loadcnt_dscnt 0x0
	s_barrier_signal -1
	s_barrier_wait -1
	global_inv scope:SCOPE_SE
	s_and_saveexec_b32 s8, s2
	s_cbranch_execz .LBB63_22
; %bb.19:                               ;   in Loop: Header=BB63_2 Depth=1
	v_dual_mov_b32 v49, v41 :: v_dual_mov_b32 v50, v34
	s_mov_b32 s9, 0
.LBB63_20:                              ;   Parent Loop BB63_2 Depth=1
                                        ; =>  This Inner Loop Header: Depth=2
	s_delay_alu instid0(VALU_DEP_1) | instskip(NEXT) | instid1(VALU_DEP_1)
	v_sub_nc_u32_e32 v51, v50, v49
	v_lshrrev_b32_e32 v51, 1, v51
	s_delay_alu instid0(VALU_DEP_1) | instskip(NEXT) | instid1(VALU_DEP_1)
	v_add_nc_u32_e32 v51, v51, v49
	v_add_nc_u32_e32 v52, v4, v51
	v_xad_u32 v53, v51, -1, v27
	v_add_nc_u32_e32 v54, 1, v51
	ds_load_i8 v52, v52
	ds_load_i8 v53, v53
	s_wait_dscnt 0x0
	v_cmp_lt_i16_e64 s7, v53, v52
	s_wait_alu 0xf1ff
	s_delay_alu instid0(VALU_DEP_1) | instskip(SKIP_1) | instid1(VALU_DEP_1)
	v_cndmask_b32_e64 v50, v50, v51, s7
	v_cndmask_b32_e64 v49, v54, v49, s7
	v_cmp_ge_i32_e64 s7, v49, v50
	s_wait_alu 0xfffe
	s_or_b32 s9, s7, s9
	s_wait_alu 0xfffe
	s_and_not1_b32 exec_lo, exec_lo, s9
	s_cbranch_execnz .LBB63_20
; %bb.21:                               ;   in Loop: Header=BB63_2 Depth=1
	s_or_b32 exec_lo, exec_lo, s9
.LBB63_22:                              ;   in Loop: Header=BB63_2 Depth=1
	s_wait_alu 0xfffe
	s_or_b32 exec_lo, exec_lo, s8
	v_add_nc_u32_e32 v53, v49, v4
	v_sub_nc_u32_e32 v51, v27, v49
                                        ; implicit-def: $vgpr52
	ds_load_u8 v49, v53
	ds_load_u8 v50, v51
	v_cmp_le_i32_e64 s7, v15, v53
	v_cmp_gt_i32_e64 s9, v16, v51
	s_wait_dscnt 0x1
	v_bfe_i32 v49, v49, 0, 8
	s_wait_dscnt 0x0
	v_bfe_i32 v50, v50, 0, 8
	s_delay_alu instid0(VALU_DEP_1)
	v_cmp_lt_i16_e64 s8, v50, v49
	s_or_b32 s7, s7, s8
	s_wait_alu 0xfffe
	s_and_b32 s7, s9, s7
	s_wait_alu 0xfffe
	s_xor_b32 s8, s7, -1
	s_wait_alu 0xfffe
	s_and_saveexec_b32 s9, s8
	s_wait_alu 0xfffe
	s_xor_b32 s8, exec_lo, s9
; %bb.23:                               ;   in Loop: Header=BB63_2 Depth=1
	ds_load_u8 v52, v53 offset:1
; %bb.24:                               ;   in Loop: Header=BB63_2 Depth=1
	s_wait_alu 0xfffe
	s_or_saveexec_b32 s8, s8
	v_mov_b32_e32 v54, v50
	s_wait_alu 0xfffe
	s_xor_b32 exec_lo, exec_lo, s8
	s_cbranch_execz .LBB63_26
; %bb.25:                               ;   in Loop: Header=BB63_2 Depth=1
	ds_load_u8 v54, v51 offset:1
	s_wait_dscnt 0x1
	v_mov_b32_e32 v52, v49
.LBB63_26:                              ;   in Loop: Header=BB63_2 Depth=1
	s_or_b32 exec_lo, exec_lo, s8
	v_add_nc_u32_e32 v55, 1, v53
	v_add_nc_u32_e32 v56, 1, v51
	s_wait_dscnt 0x0
	v_bfe_i32 v57, v52, 0, 8
	v_bfe_i32 v58, v54, 0, 8
	s_wait_loadcnt 0x0
	v_cndmask_b32_e64 v55, v55, v53, s7
	v_cndmask_b32_e64 v53, v53, v51, s7
	;; [unrolled: 1-line block ×3, first 2 shown]
	v_cmp_lt_i16_e64 s8, v58, v57
	s_barrier_signal -1
	v_cmp_ge_i32_e64 s9, v55, v15
	s_barrier_wait -1
	v_cmp_lt_i32_e64 s10, v51, v16
	global_inv scope:SCOPE_SE
	ds_store_b8 v1, v47
	ds_store_b8 v1, v48 offset:1
	s_or_b32 s8, s9, s8
	s_wait_loadcnt_dscnt 0x0
	s_wait_alu 0xfffe
	s_and_b32 s8, s10, s8
	s_barrier_signal -1
	s_wait_alu 0xfffe
	v_cndmask_b32_e64 v48, v55, v51, s8
	s_barrier_wait -1
	global_inv scope:SCOPE_SE
	v_cndmask_b32_e64 v49, v49, v50, s7
	ds_load_u8 v47, v53
	ds_load_u8 v48, v48
	v_cndmask_b32_e64 v52, v52, v54, s8
	s_wait_loadcnt_dscnt 0x0
	s_barrier_signal -1
	s_barrier_wait -1
	global_inv scope:SCOPE_SE
	ds_store_b8 v1, v49
	ds_store_b8 v1, v52 offset:1
	v_mov_b32_e32 v49, v42
	s_wait_loadcnt_dscnt 0x0
	s_barrier_signal -1
	s_barrier_wait -1
	global_inv scope:SCOPE_SE
	s_and_saveexec_b32 s8, s3
	s_cbranch_execz .LBB63_30
; %bb.27:                               ;   in Loop: Header=BB63_2 Depth=1
	v_dual_mov_b32 v49, v42 :: v_dual_mov_b32 v50, v35
	s_mov_b32 s9, 0
.LBB63_28:                              ;   Parent Loop BB63_2 Depth=1
                                        ; =>  This Inner Loop Header: Depth=2
	s_delay_alu instid0(VALU_DEP_1) | instskip(NEXT) | instid1(VALU_DEP_1)
	v_sub_nc_u32_e32 v51, v50, v49
	v_lshrrev_b32_e32 v51, 1, v51
	s_delay_alu instid0(VALU_DEP_1) | instskip(NEXT) | instid1(VALU_DEP_1)
	v_add_nc_u32_e32 v51, v51, v49
	v_add_nc_u32_e32 v52, v5, v51
	v_xad_u32 v53, v51, -1, v28
	v_add_nc_u32_e32 v54, 1, v51
	ds_load_i8 v52, v52
	ds_load_i8 v53, v53
	s_wait_dscnt 0x0
	v_cmp_lt_i16_e64 s7, v53, v52
	s_wait_alu 0xf1ff
	s_delay_alu instid0(VALU_DEP_1) | instskip(SKIP_1) | instid1(VALU_DEP_1)
	v_cndmask_b32_e64 v50, v50, v51, s7
	v_cndmask_b32_e64 v49, v54, v49, s7
	v_cmp_ge_i32_e64 s7, v49, v50
	s_wait_alu 0xfffe
	s_or_b32 s9, s7, s9
	s_wait_alu 0xfffe
	s_and_not1_b32 exec_lo, exec_lo, s9
	s_cbranch_execnz .LBB63_28
; %bb.29:                               ;   in Loop: Header=BB63_2 Depth=1
	s_or_b32 exec_lo, exec_lo, s9
.LBB63_30:                              ;   in Loop: Header=BB63_2 Depth=1
	s_wait_alu 0xfffe
	s_or_b32 exec_lo, exec_lo, s8
	v_add_nc_u32_e32 v53, v49, v5
	v_sub_nc_u32_e32 v51, v28, v49
                                        ; implicit-def: $vgpr52
	ds_load_u8 v49, v53
	ds_load_u8 v50, v51
	v_cmp_le_i32_e64 s7, v17, v53
	v_cmp_gt_i32_e64 s9, v18, v51
	s_wait_dscnt 0x1
	v_bfe_i32 v49, v49, 0, 8
	s_wait_dscnt 0x0
	v_bfe_i32 v50, v50, 0, 8
	s_delay_alu instid0(VALU_DEP_1)
	v_cmp_lt_i16_e64 s8, v50, v49
	s_or_b32 s7, s7, s8
	s_wait_alu 0xfffe
	s_and_b32 s7, s9, s7
	s_wait_alu 0xfffe
	s_xor_b32 s8, s7, -1
	s_wait_alu 0xfffe
	s_and_saveexec_b32 s9, s8
	s_wait_alu 0xfffe
	s_xor_b32 s8, exec_lo, s9
; %bb.31:                               ;   in Loop: Header=BB63_2 Depth=1
	ds_load_u8 v52, v53 offset:1
; %bb.32:                               ;   in Loop: Header=BB63_2 Depth=1
	s_wait_alu 0xfffe
	s_or_saveexec_b32 s8, s8
	v_mov_b32_e32 v54, v50
	s_wait_alu 0xfffe
	s_xor_b32 exec_lo, exec_lo, s8
	s_cbranch_execz .LBB63_34
; %bb.33:                               ;   in Loop: Header=BB63_2 Depth=1
	ds_load_u8 v54, v51 offset:1
	s_wait_dscnt 0x1
	v_mov_b32_e32 v52, v49
.LBB63_34:                              ;   in Loop: Header=BB63_2 Depth=1
	s_or_b32 exec_lo, exec_lo, s8
	v_add_nc_u32_e32 v55, 1, v53
	v_add_nc_u32_e32 v56, 1, v51
	s_wait_dscnt 0x0
	v_bfe_i32 v57, v52, 0, 8
	v_bfe_i32 v58, v54, 0, 8
	s_wait_loadcnt 0x0
	v_cndmask_b32_e64 v55, v55, v53, s7
	v_cndmask_b32_e64 v53, v53, v51, s7
	;; [unrolled: 1-line block ×3, first 2 shown]
	v_cmp_lt_i16_e64 s8, v58, v57
	s_barrier_signal -1
	v_cmp_ge_i32_e64 s9, v55, v17
	s_barrier_wait -1
	v_cmp_lt_i32_e64 s10, v51, v18
	global_inv scope:SCOPE_SE
	ds_store_b8 v1, v47
	ds_store_b8 v1, v48 offset:1
	s_or_b32 s8, s9, s8
	s_wait_loadcnt_dscnt 0x0
	s_wait_alu 0xfffe
	s_and_b32 s8, s10, s8
	s_barrier_signal -1
	s_wait_alu 0xfffe
	v_cndmask_b32_e64 v48, v55, v51, s8
	s_barrier_wait -1
	global_inv scope:SCOPE_SE
	v_cndmask_b32_e64 v49, v49, v50, s7
	ds_load_u8 v47, v53
	ds_load_u8 v48, v48
	v_cndmask_b32_e64 v52, v52, v54, s8
	s_wait_loadcnt_dscnt 0x0
	s_barrier_signal -1
	s_barrier_wait -1
	global_inv scope:SCOPE_SE
	ds_store_b8 v1, v49
	ds_store_b8 v1, v52 offset:1
	v_mov_b32_e32 v49, v43
	s_wait_loadcnt_dscnt 0x0
	s_barrier_signal -1
	s_barrier_wait -1
	global_inv scope:SCOPE_SE
	s_and_saveexec_b32 s8, s4
	s_cbranch_execz .LBB63_38
; %bb.35:                               ;   in Loop: Header=BB63_2 Depth=1
	v_dual_mov_b32 v49, v43 :: v_dual_mov_b32 v50, v36
	s_mov_b32 s9, 0
.LBB63_36:                              ;   Parent Loop BB63_2 Depth=1
                                        ; =>  This Inner Loop Header: Depth=2
	s_delay_alu instid0(VALU_DEP_1) | instskip(NEXT) | instid1(VALU_DEP_1)
	v_sub_nc_u32_e32 v51, v50, v49
	v_lshrrev_b32_e32 v51, 1, v51
	s_delay_alu instid0(VALU_DEP_1) | instskip(NEXT) | instid1(VALU_DEP_1)
	v_add_nc_u32_e32 v51, v51, v49
	v_add_nc_u32_e32 v52, v6, v51
	v_xad_u32 v53, v51, -1, v29
	v_add_nc_u32_e32 v54, 1, v51
	ds_load_i8 v52, v52
	ds_load_i8 v53, v53
	s_wait_dscnt 0x0
	v_cmp_lt_i16_e64 s7, v53, v52
	s_wait_alu 0xf1ff
	s_delay_alu instid0(VALU_DEP_1) | instskip(SKIP_1) | instid1(VALU_DEP_1)
	v_cndmask_b32_e64 v50, v50, v51, s7
	v_cndmask_b32_e64 v49, v54, v49, s7
	v_cmp_ge_i32_e64 s7, v49, v50
	s_wait_alu 0xfffe
	s_or_b32 s9, s7, s9
	s_wait_alu 0xfffe
	s_and_not1_b32 exec_lo, exec_lo, s9
	s_cbranch_execnz .LBB63_36
; %bb.37:                               ;   in Loop: Header=BB63_2 Depth=1
	s_or_b32 exec_lo, exec_lo, s9
.LBB63_38:                              ;   in Loop: Header=BB63_2 Depth=1
	s_wait_alu 0xfffe
	s_or_b32 exec_lo, exec_lo, s8
	v_add_nc_u32_e32 v53, v49, v6
	v_sub_nc_u32_e32 v51, v29, v49
                                        ; implicit-def: $vgpr52
	ds_load_u8 v49, v53
	ds_load_u8 v50, v51
	v_cmp_le_i32_e64 s7, v19, v53
	v_cmp_gt_i32_e64 s9, v20, v51
	s_wait_dscnt 0x1
	v_bfe_i32 v49, v49, 0, 8
	s_wait_dscnt 0x0
	v_bfe_i32 v50, v50, 0, 8
	s_delay_alu instid0(VALU_DEP_1)
	v_cmp_lt_i16_e64 s8, v50, v49
	s_or_b32 s7, s7, s8
	s_wait_alu 0xfffe
	s_and_b32 s7, s9, s7
	s_wait_alu 0xfffe
	s_xor_b32 s8, s7, -1
	s_wait_alu 0xfffe
	s_and_saveexec_b32 s9, s8
	s_wait_alu 0xfffe
	s_xor_b32 s8, exec_lo, s9
; %bb.39:                               ;   in Loop: Header=BB63_2 Depth=1
	ds_load_u8 v52, v53 offset:1
; %bb.40:                               ;   in Loop: Header=BB63_2 Depth=1
	s_wait_alu 0xfffe
	s_or_saveexec_b32 s8, s8
	v_mov_b32_e32 v54, v50
	s_wait_alu 0xfffe
	s_xor_b32 exec_lo, exec_lo, s8
	s_cbranch_execz .LBB63_42
; %bb.41:                               ;   in Loop: Header=BB63_2 Depth=1
	ds_load_u8 v54, v51 offset:1
	s_wait_dscnt 0x1
	v_mov_b32_e32 v52, v49
.LBB63_42:                              ;   in Loop: Header=BB63_2 Depth=1
	s_or_b32 exec_lo, exec_lo, s8
	v_add_nc_u32_e32 v55, 1, v53
	v_add_nc_u32_e32 v56, 1, v51
	s_wait_dscnt 0x0
	v_bfe_i32 v57, v52, 0, 8
	v_bfe_i32 v58, v54, 0, 8
	s_wait_loadcnt 0x0
	v_cndmask_b32_e64 v55, v55, v53, s7
	v_cndmask_b32_e64 v53, v53, v51, s7
	;; [unrolled: 1-line block ×3, first 2 shown]
	v_cmp_lt_i16_e64 s8, v58, v57
	s_barrier_signal -1
	v_cmp_ge_i32_e64 s9, v55, v19
	s_barrier_wait -1
	v_cmp_lt_i32_e64 s10, v51, v20
	global_inv scope:SCOPE_SE
	ds_store_b8 v1, v47
	ds_store_b8 v1, v48 offset:1
	s_or_b32 s8, s9, s8
	s_wait_loadcnt_dscnt 0x0
	s_wait_alu 0xfffe
	s_and_b32 s8, s10, s8
	s_barrier_signal -1
	s_wait_alu 0xfffe
	v_cndmask_b32_e64 v48, v55, v51, s8
	s_barrier_wait -1
	global_inv scope:SCOPE_SE
	v_cndmask_b32_e64 v49, v49, v50, s7
	ds_load_u8 v47, v53
	ds_load_u8 v48, v48
	v_cndmask_b32_e64 v52, v52, v54, s8
	s_wait_loadcnt_dscnt 0x0
	s_barrier_signal -1
	s_barrier_wait -1
	global_inv scope:SCOPE_SE
	ds_store_b8 v1, v49
	ds_store_b8 v1, v52 offset:1
	v_mov_b32_e32 v49, v44
	s_wait_loadcnt_dscnt 0x0
	s_barrier_signal -1
	s_barrier_wait -1
	global_inv scope:SCOPE_SE
	s_and_saveexec_b32 s8, s5
	s_cbranch_execz .LBB63_46
; %bb.43:                               ;   in Loop: Header=BB63_2 Depth=1
	v_dual_mov_b32 v49, v44 :: v_dual_mov_b32 v50, v37
	s_mov_b32 s9, 0
.LBB63_44:                              ;   Parent Loop BB63_2 Depth=1
                                        ; =>  This Inner Loop Header: Depth=2
	s_delay_alu instid0(VALU_DEP_1) | instskip(NEXT) | instid1(VALU_DEP_1)
	v_sub_nc_u32_e32 v51, v50, v49
	v_lshrrev_b32_e32 v51, 1, v51
	s_delay_alu instid0(VALU_DEP_1) | instskip(NEXT) | instid1(VALU_DEP_1)
	v_add_nc_u32_e32 v51, v51, v49
	v_add_nc_u32_e32 v52, v7, v51
	v_xad_u32 v53, v51, -1, v30
	v_add_nc_u32_e32 v54, 1, v51
	ds_load_i8 v52, v52
	ds_load_i8 v53, v53
	s_wait_dscnt 0x0
	v_cmp_lt_i16_e64 s7, v53, v52
	s_wait_alu 0xf1ff
	s_delay_alu instid0(VALU_DEP_1) | instskip(SKIP_1) | instid1(VALU_DEP_1)
	v_cndmask_b32_e64 v50, v50, v51, s7
	v_cndmask_b32_e64 v49, v54, v49, s7
	v_cmp_ge_i32_e64 s7, v49, v50
	s_wait_alu 0xfffe
	s_or_b32 s9, s7, s9
	s_wait_alu 0xfffe
	s_and_not1_b32 exec_lo, exec_lo, s9
	s_cbranch_execnz .LBB63_44
; %bb.45:                               ;   in Loop: Header=BB63_2 Depth=1
	s_or_b32 exec_lo, exec_lo, s9
.LBB63_46:                              ;   in Loop: Header=BB63_2 Depth=1
	s_wait_alu 0xfffe
	s_or_b32 exec_lo, exec_lo, s8
	v_add_nc_u32_e32 v53, v49, v7
	v_sub_nc_u32_e32 v51, v30, v49
                                        ; implicit-def: $vgpr52
	ds_load_u8 v49, v53
	ds_load_u8 v50, v51
	v_cmp_le_i32_e64 s7, v21, v53
	v_cmp_gt_i32_e64 s9, v22, v51
	s_wait_dscnt 0x1
	v_bfe_i32 v49, v49, 0, 8
	s_wait_dscnt 0x0
	v_bfe_i32 v50, v50, 0, 8
	s_delay_alu instid0(VALU_DEP_1)
	v_cmp_lt_i16_e64 s8, v50, v49
	s_or_b32 s7, s7, s8
	s_wait_alu 0xfffe
	s_and_b32 s7, s9, s7
	s_wait_alu 0xfffe
	s_xor_b32 s8, s7, -1
	s_wait_alu 0xfffe
	s_and_saveexec_b32 s9, s8
	s_wait_alu 0xfffe
	s_xor_b32 s8, exec_lo, s9
; %bb.47:                               ;   in Loop: Header=BB63_2 Depth=1
	ds_load_u8 v52, v53 offset:1
; %bb.48:                               ;   in Loop: Header=BB63_2 Depth=1
	s_wait_alu 0xfffe
	s_or_saveexec_b32 s8, s8
	v_mov_b32_e32 v54, v50
	s_wait_alu 0xfffe
	s_xor_b32 exec_lo, exec_lo, s8
	s_cbranch_execz .LBB63_50
; %bb.49:                               ;   in Loop: Header=BB63_2 Depth=1
	ds_load_u8 v54, v51 offset:1
	s_wait_dscnt 0x1
	v_mov_b32_e32 v52, v49
.LBB63_50:                              ;   in Loop: Header=BB63_2 Depth=1
	s_or_b32 exec_lo, exec_lo, s8
	v_add_nc_u32_e32 v55, 1, v53
	v_add_nc_u32_e32 v56, 1, v51
	s_wait_dscnt 0x0
	v_bfe_i32 v57, v52, 0, 8
	v_bfe_i32 v58, v54, 0, 8
	s_wait_loadcnt 0x0
	v_cndmask_b32_e64 v55, v55, v53, s7
	v_cndmask_b32_e64 v53, v53, v51, s7
	;; [unrolled: 1-line block ×3, first 2 shown]
	v_cmp_lt_i16_e64 s8, v58, v57
	s_barrier_signal -1
	v_cmp_ge_i32_e64 s9, v55, v21
	s_barrier_wait -1
	v_cmp_lt_i32_e64 s10, v51, v22
	global_inv scope:SCOPE_SE
	ds_store_b8 v1, v47
	ds_store_b8 v1, v48 offset:1
	s_or_b32 s8, s9, s8
	s_wait_loadcnt_dscnt 0x0
	s_wait_alu 0xfffe
	s_and_b32 s8, s10, s8
	s_barrier_signal -1
	s_wait_alu 0xfffe
	v_cndmask_b32_e64 v48, v55, v51, s8
	s_barrier_wait -1
	global_inv scope:SCOPE_SE
	v_cndmask_b32_e64 v49, v49, v50, s7
	ds_load_u8 v47, v53
	ds_load_u8 v48, v48
	v_cndmask_b32_e64 v52, v52, v54, s8
	s_wait_loadcnt_dscnt 0x0
	s_barrier_signal -1
	s_barrier_wait -1
	global_inv scope:SCOPE_SE
	ds_store_b8 v1, v49
	ds_store_b8 v1, v52 offset:1
	v_mov_b32_e32 v49, v45
	s_wait_loadcnt_dscnt 0x0
	s_barrier_signal -1
	s_barrier_wait -1
	global_inv scope:SCOPE_SE
	s_and_saveexec_b32 s8, s6
	s_cbranch_execz .LBB63_54
; %bb.51:                               ;   in Loop: Header=BB63_2 Depth=1
	v_dual_mov_b32 v49, v45 :: v_dual_mov_b32 v50, v38
	s_mov_b32 s9, 0
.LBB63_52:                              ;   Parent Loop BB63_2 Depth=1
                                        ; =>  This Inner Loop Header: Depth=2
	s_delay_alu instid0(VALU_DEP_1) | instskip(NEXT) | instid1(VALU_DEP_1)
	v_sub_nc_u32_e32 v51, v50, v49
	v_lshrrev_b32_e32 v51, 1, v51
	s_delay_alu instid0(VALU_DEP_1) | instskip(NEXT) | instid1(VALU_DEP_1)
	v_add_nc_u32_e32 v51, v51, v49
	v_add_nc_u32_e32 v52, v8, v51
	v_xad_u32 v53, v51, -1, v31
	v_add_nc_u32_e32 v54, 1, v51
	ds_load_i8 v52, v52
	ds_load_i8 v53, v53
	s_wait_dscnt 0x0
	v_cmp_lt_i16_e64 s7, v53, v52
	s_wait_alu 0xf1ff
	s_delay_alu instid0(VALU_DEP_1) | instskip(SKIP_1) | instid1(VALU_DEP_1)
	v_cndmask_b32_e64 v50, v50, v51, s7
	v_cndmask_b32_e64 v49, v54, v49, s7
	v_cmp_ge_i32_e64 s7, v49, v50
	s_wait_alu 0xfffe
	s_or_b32 s9, s7, s9
	s_wait_alu 0xfffe
	s_and_not1_b32 exec_lo, exec_lo, s9
	s_cbranch_execnz .LBB63_52
; %bb.53:                               ;   in Loop: Header=BB63_2 Depth=1
	s_or_b32 exec_lo, exec_lo, s9
.LBB63_54:                              ;   in Loop: Header=BB63_2 Depth=1
	s_wait_alu 0xfffe
	s_or_b32 exec_lo, exec_lo, s8
	v_add_nc_u32_e32 v53, v49, v8
	v_sub_nc_u32_e32 v51, v31, v49
                                        ; implicit-def: $vgpr52
	ds_load_u8 v49, v53
	ds_load_u8 v50, v51
	v_cmp_le_i32_e64 s7, v23, v53
	v_cmp_gt_i32_e64 s9, v24, v51
	s_wait_dscnt 0x1
	v_bfe_i32 v49, v49, 0, 8
	s_wait_dscnt 0x0
	v_bfe_i32 v50, v50, 0, 8
	s_delay_alu instid0(VALU_DEP_1)
	v_cmp_lt_i16_e64 s8, v50, v49
	s_or_b32 s7, s7, s8
	s_wait_alu 0xfffe
	s_and_b32 s7, s9, s7
	s_wait_alu 0xfffe
	s_xor_b32 s8, s7, -1
	s_wait_alu 0xfffe
	s_and_saveexec_b32 s9, s8
	s_wait_alu 0xfffe
	s_xor_b32 s8, exec_lo, s9
; %bb.55:                               ;   in Loop: Header=BB63_2 Depth=1
	ds_load_u8 v52, v53 offset:1
; %bb.56:                               ;   in Loop: Header=BB63_2 Depth=1
	s_wait_alu 0xfffe
	s_or_saveexec_b32 s8, s8
	v_mov_b32_e32 v54, v50
	s_wait_alu 0xfffe
	s_xor_b32 exec_lo, exec_lo, s8
	s_cbranch_execz .LBB63_58
; %bb.57:                               ;   in Loop: Header=BB63_2 Depth=1
	ds_load_u8 v54, v51 offset:1
	s_wait_dscnt 0x1
	v_mov_b32_e32 v52, v49
.LBB63_58:                              ;   in Loop: Header=BB63_2 Depth=1
	s_or_b32 exec_lo, exec_lo, s8
	v_add_nc_u32_e32 v55, 1, v53
	v_add_nc_u32_e32 v56, 1, v51
	s_wait_dscnt 0x0
	v_bfe_i32 v57, v52, 0, 8
	v_bfe_i32 v58, v54, 0, 8
	s_wait_loadcnt 0x0
	v_cndmask_b32_e64 v55, v55, v53, s7
	v_cndmask_b32_e64 v53, v53, v51, s7
	v_cndmask_b32_e64 v51, v51, v56, s7
	v_cmp_lt_i16_e64 s8, v58, v57
	s_barrier_signal -1
	v_cmp_ge_i32_e64 s9, v55, v23
	s_barrier_wait -1
	v_cmp_lt_i32_e64 s10, v51, v24
	global_inv scope:SCOPE_SE
	ds_store_b8 v1, v47
	ds_store_b8 v1, v48 offset:1
	s_or_b32 s8, s9, s8
	s_wait_loadcnt_dscnt 0x0
	s_wait_alu 0xfffe
	s_and_b32 s8, s10, s8
	s_barrier_signal -1
	s_wait_alu 0xfffe
	v_cndmask_b32_e64 v48, v55, v51, s8
	s_barrier_wait -1
	global_inv scope:SCOPE_SE
	v_cndmask_b32_e64 v49, v49, v50, s7
	ds_load_u8 v47, v53
	ds_load_u8 v48, v48
	v_cndmask_b32_e64 v52, v52, v54, s8
	s_wait_loadcnt_dscnt 0x0
	s_barrier_signal -1
	s_barrier_wait -1
	global_inv scope:SCOPE_SE
	ds_store_b8 v1, v49
	ds_store_b8 v1, v52 offset:1
	v_mov_b32_e32 v49, v9
	s_wait_loadcnt_dscnt 0x0
	s_barrier_signal -1
	s_barrier_wait -1
	global_inv scope:SCOPE_SE
	s_and_saveexec_b32 s8, vcc_lo
	s_cbranch_execz .LBB63_62
; %bb.59:                               ;   in Loop: Header=BB63_2 Depth=1
	v_dual_mov_b32 v49, v9 :: v_dual_mov_b32 v50, v10
	s_mov_b32 s9, 0
.LBB63_60:                              ;   Parent Loop BB63_2 Depth=1
                                        ; =>  This Inner Loop Header: Depth=2
	s_delay_alu instid0(VALU_DEP_1) | instskip(NEXT) | instid1(VALU_DEP_1)
	v_sub_nc_u32_e32 v51, v50, v49
	v_lshrrev_b32_e32 v51, 1, v51
	s_delay_alu instid0(VALU_DEP_1) | instskip(NEXT) | instid1(VALU_DEP_1)
	v_add_nc_u32_e32 v51, v51, v49
	v_xad_u32 v52, v51, -1, v46
	v_add_nc_u32_e32 v54, 1, v51
	ds_load_i8 v53, v51
	ds_load_i8 v52, v52
	s_wait_dscnt 0x0
	v_cmp_lt_i16_e64 s7, v52, v53
	s_wait_alu 0xf1ff
	s_delay_alu instid0(VALU_DEP_1) | instskip(SKIP_1) | instid1(VALU_DEP_1)
	v_cndmask_b32_e64 v50, v50, v51, s7
	v_cndmask_b32_e64 v49, v54, v49, s7
	v_cmp_ge_i32_e64 s7, v49, v50
	s_wait_alu 0xfffe
	s_or_b32 s9, s7, s9
	s_wait_alu 0xfffe
	s_and_not1_b32 exec_lo, exec_lo, s9
	s_cbranch_execnz .LBB63_60
; %bb.61:                               ;   in Loop: Header=BB63_2 Depth=1
	s_or_b32 exec_lo, exec_lo, s9
.LBB63_62:                              ;   in Loop: Header=BB63_2 Depth=1
	s_wait_alu 0xfffe
	s_or_b32 exec_lo, exec_lo, s8
	v_sub_nc_u32_e32 v50, v46, v49
	v_cmp_le_i32_e64 s7, 0x100, v49
                                        ; implicit-def: $vgpr54
                                        ; implicit-def: $vgpr53
	ds_load_u8 v51, v49
	ds_load_u8 v52, v50
	v_cmp_gt_i32_e64 s9, 0x200, v50
	s_wait_dscnt 0x1
	v_bfe_i32 v51, v51, 0, 8
	s_wait_dscnt 0x0
	v_bfe_i32 v52, v52, 0, 8
	s_delay_alu instid0(VALU_DEP_1)
	v_cmp_lt_i16_e64 s8, v52, v51
	s_or_b32 s7, s7, s8
	s_wait_alu 0xfffe
	s_and_b32 s7, s9, s7
	s_wait_alu 0xfffe
	s_xor_b32 s8, s7, -1
	s_wait_alu 0xfffe
	s_and_saveexec_b32 s9, s8
	s_wait_alu 0xfffe
	s_xor_b32 s8, exec_lo, s9
; %bb.63:                               ;   in Loop: Header=BB63_2 Depth=1
	ds_load_u8 v54, v49 offset:1
	v_add_nc_u32_e32 v53, 1, v49
; %bb.64:                               ;   in Loop: Header=BB63_2 Depth=1
	s_wait_alu 0xfffe
	s_or_saveexec_b32 s8, s8
	v_dual_mov_b32 v55, v49 :: v_dual_mov_b32 v56, v52
	s_wait_alu 0xfffe
	s_xor_b32 exec_lo, exec_lo, s8
	s_cbranch_execz .LBB63_1
; %bb.65:                               ;   in Loop: Header=BB63_2 Depth=1
	ds_load_u8 v56, v50 offset:1
	s_wait_dscnt 0x1
	v_dual_mov_b32 v55, v50 :: v_dual_add_nc_u32 v54, 1, v50
	s_delay_alu instid0(VALU_DEP_1)
	v_dual_mov_b32 v53, v49 :: v_dual_mov_b32 v50, v54
	v_mov_b32_e32 v54, v51
	s_branch .LBB63_1
.LBB63_66:
	s_add_nc_u64 s[0:1], s[14:15], s[16:17]
	s_wait_dscnt 0x1
	v_add_nc_u16 v2, v48, v50
	s_wait_alu 0xfffe
	v_add_co_u32 v0, s0, s0, v0
	s_wait_alu 0xf1ff
	v_add_co_ci_u32_e64 v1, null, s1, 0, s0
	s_wait_dscnt 0x0
	v_add_nc_u16 v3, v47, v49
	s_clause 0x1
	global_store_b8 v[0:1], v2, off
	global_store_b8 v[0:1], v3, off offset:256
	s_endpgm
	.section	.rodata,"a",@progbits
	.p2align	6, 0x0
	.amdhsa_kernel _Z17sort_pairs_kernelIaLj256ELj2EN10test_utils4lessELj10EEvPKT_PS2_T2_
		.amdhsa_group_segment_fixed_size 513
		.amdhsa_private_segment_fixed_size 0
		.amdhsa_kernarg_size 20
		.amdhsa_user_sgpr_count 2
		.amdhsa_user_sgpr_dispatch_ptr 0
		.amdhsa_user_sgpr_queue_ptr 0
		.amdhsa_user_sgpr_kernarg_segment_ptr 1
		.amdhsa_user_sgpr_dispatch_id 0
		.amdhsa_user_sgpr_private_segment_size 0
		.amdhsa_wavefront_size32 1
		.amdhsa_uses_dynamic_stack 0
		.amdhsa_enable_private_segment 0
		.amdhsa_system_sgpr_workgroup_id_x 1
		.amdhsa_system_sgpr_workgroup_id_y 0
		.amdhsa_system_sgpr_workgroup_id_z 0
		.amdhsa_system_sgpr_workgroup_info 0
		.amdhsa_system_vgpr_workitem_id 0
		.amdhsa_next_free_vgpr 62
		.amdhsa_next_free_sgpr 18
		.amdhsa_reserve_vcc 1
		.amdhsa_float_round_mode_32 0
		.amdhsa_float_round_mode_16_64 0
		.amdhsa_float_denorm_mode_32 3
		.amdhsa_float_denorm_mode_16_64 3
		.amdhsa_fp16_overflow 0
		.amdhsa_workgroup_processor_mode 1
		.amdhsa_memory_ordered 1
		.amdhsa_forward_progress 1
		.amdhsa_inst_pref_size 43
		.amdhsa_round_robin_scheduling 0
		.amdhsa_exception_fp_ieee_invalid_op 0
		.amdhsa_exception_fp_denorm_src 0
		.amdhsa_exception_fp_ieee_div_zero 0
		.amdhsa_exception_fp_ieee_overflow 0
		.amdhsa_exception_fp_ieee_underflow 0
		.amdhsa_exception_fp_ieee_inexact 0
		.amdhsa_exception_int_div_zero 0
	.end_amdhsa_kernel
	.section	.text._Z17sort_pairs_kernelIaLj256ELj2EN10test_utils4lessELj10EEvPKT_PS2_T2_,"axG",@progbits,_Z17sort_pairs_kernelIaLj256ELj2EN10test_utils4lessELj10EEvPKT_PS2_T2_,comdat
.Lfunc_end63:
	.size	_Z17sort_pairs_kernelIaLj256ELj2EN10test_utils4lessELj10EEvPKT_PS2_T2_, .Lfunc_end63-_Z17sort_pairs_kernelIaLj256ELj2EN10test_utils4lessELj10EEvPKT_PS2_T2_
                                        ; -- End function
	.set _Z17sort_pairs_kernelIaLj256ELj2EN10test_utils4lessELj10EEvPKT_PS2_T2_.num_vgpr, 62
	.set _Z17sort_pairs_kernelIaLj256ELj2EN10test_utils4lessELj10EEvPKT_PS2_T2_.num_agpr, 0
	.set _Z17sort_pairs_kernelIaLj256ELj2EN10test_utils4lessELj10EEvPKT_PS2_T2_.numbered_sgpr, 18
	.set _Z17sort_pairs_kernelIaLj256ELj2EN10test_utils4lessELj10EEvPKT_PS2_T2_.num_named_barrier, 0
	.set _Z17sort_pairs_kernelIaLj256ELj2EN10test_utils4lessELj10EEvPKT_PS2_T2_.private_seg_size, 0
	.set _Z17sort_pairs_kernelIaLj256ELj2EN10test_utils4lessELj10EEvPKT_PS2_T2_.uses_vcc, 1
	.set _Z17sort_pairs_kernelIaLj256ELj2EN10test_utils4lessELj10EEvPKT_PS2_T2_.uses_flat_scratch, 0
	.set _Z17sort_pairs_kernelIaLj256ELj2EN10test_utils4lessELj10EEvPKT_PS2_T2_.has_dyn_sized_stack, 0
	.set _Z17sort_pairs_kernelIaLj256ELj2EN10test_utils4lessELj10EEvPKT_PS2_T2_.has_recursion, 0
	.set _Z17sort_pairs_kernelIaLj256ELj2EN10test_utils4lessELj10EEvPKT_PS2_T2_.has_indirect_call, 0
	.section	.AMDGPU.csdata,"",@progbits
; Kernel info:
; codeLenInByte = 5444
; TotalNumSgprs: 20
; NumVgprs: 62
; ScratchSize: 0
; MemoryBound: 0
; FloatMode: 240
; IeeeMode: 1
; LDSByteSize: 513 bytes/workgroup (compile time only)
; SGPRBlocks: 0
; VGPRBlocks: 7
; NumSGPRsForWavesPerEU: 20
; NumVGPRsForWavesPerEU: 62
; Occupancy: 16
; WaveLimiterHint : 1
; COMPUTE_PGM_RSRC2:SCRATCH_EN: 0
; COMPUTE_PGM_RSRC2:USER_SGPR: 2
; COMPUTE_PGM_RSRC2:TRAP_HANDLER: 0
; COMPUTE_PGM_RSRC2:TGID_X_EN: 1
; COMPUTE_PGM_RSRC2:TGID_Y_EN: 0
; COMPUTE_PGM_RSRC2:TGID_Z_EN: 0
; COMPUTE_PGM_RSRC2:TIDIG_COMP_CNT: 0
	.section	.text._Z16sort_keys_kernelIaLj256ELj3EN10test_utils4lessELj10EEvPKT_PS2_T2_,"axG",@progbits,_Z16sort_keys_kernelIaLj256ELj3EN10test_utils4lessELj10EEvPKT_PS2_T2_,comdat
	.protected	_Z16sort_keys_kernelIaLj256ELj3EN10test_utils4lessELj10EEvPKT_PS2_T2_ ; -- Begin function _Z16sort_keys_kernelIaLj256ELj3EN10test_utils4lessELj10EEvPKT_PS2_T2_
	.globl	_Z16sort_keys_kernelIaLj256ELj3EN10test_utils4lessELj10EEvPKT_PS2_T2_
	.p2align	8
	.type	_Z16sort_keys_kernelIaLj256ELj3EN10test_utils4lessELj10EEvPKT_PS2_T2_,@function
_Z16sort_keys_kernelIaLj256ELj3EN10test_utils4lessELj10EEvPKT_PS2_T2_: ; @_Z16sort_keys_kernelIaLj256ELj3EN10test_utils4lessELj10EEvPKT_PS2_T2_
; %bb.0:
	s_load_b128 s[12:15], s[0:1], 0x0
	s_mul_i32 s16, ttmp9, 0x300
	s_mov_b32 s17, 0
	v_and_b32_e32 v3, 0xfe, v0
	v_and_b32_e32 v5, 0xfc, v0
	;; [unrolled: 1-line block ×5, first 2 shown]
	v_mul_u32_u24_e32 v11, 3, v3
	v_and_b32_e32 v8, 0xe0, v0
	v_mul_u32_u24_e32 v12, 3, v5
	v_mul_u32_u24_e32 v13, 3, v6
	v_and_b32_e32 v9, 0xc0, v0
	v_min_u32_e32 v26, 0x2fd, v11
	v_min_u32_e32 v18, 0x2fa, v11
	v_and_b32_e32 v10, 0x80, v0
	v_cmp_eq_u32_e32 vcc_lo, 1, v4
	v_mul_u32_u24_e32 v14, 3, v7
	v_mul_u32_u24_e32 v15, 3, v8
	v_min_u32_e32 v6, 0x300, v12
	s_wait_kmcnt 0x0
	s_add_nc_u64 s[0:1], s[12:13], s[16:17]
	v_min_u32_e32 v27, 0x2fa, v12
	s_clause 0x2
	global_load_u8 v53, v0, s[0:1] offset:256
	global_load_u8 v54, v0, s[0:1] offset:512
	global_load_u8 v55, v0, s[0:1]
	v_min_u32_e32 v19, 0x2f4, v12
	v_min_u32_e32 v7, 0x300, v13
	;; [unrolled: 1-line block ×4, first 2 shown]
	v_add_nc_u32_e32 v12, 3, v26
	v_add_nc_u32_e32 v13, 6, v18
	v_and_b32_e32 v33, 3, v0
	v_cndmask_b32_e64 v46, 0, 3, vcc_lo
	v_mul_u32_u24_e32 v16, 3, v9
	v_mul_u32_u24_e32 v17, 3, v10
	v_min_u32_e32 v5, 0x300, v11
	v_min_u32_e32 v8, 0x300, v14
	;; [unrolled: 1-line block ×7, first 2 shown]
	v_add_nc_u32_e32 v14, 6, v27
	v_add_nc_u32_e32 v15, 12, v19
	v_sub_nc_u32_e32 v56, v13, v12
	v_and_b32_e32 v34, 7, v0
	v_mul_u32_u24_e32 v47, 3, v33
	v_min_u32_e32 v10, 0x300, v16
	v_min_u32_e32 v31, 0x2a0, v16
	;; [unrolled: 1-line block ×6, first 2 shown]
	v_add_nc_u32_e32 v16, 12, v28
	v_add_nc_u32_e32 v17, 24, v20
	v_sub_nc_u32_e32 v39, v12, v5
	v_sub_nc_u32_e32 v59, v15, v14
	;; [unrolled: 1-line block ×3, first 2 shown]
	v_cmp_ge_i32_e64 s0, v46, v56
	v_and_b32_e32 v35, 15, v0
	v_mul_u32_u24_e32 v48, 3, v34
	v_add_nc_u32_e32 v18, 24, v29
	v_add_nc_u32_e32 v19, 48, v21
	;; [unrolled: 1-line block ×4, first 2 shown]
	v_sub_nc_u32_e32 v40, v14, v6
	v_sub_nc_u32_e32 v60, v17, v16
	v_min_i32_e32 v39, v46, v39
	v_sub_nc_u32_e32 v66, v47, v59
	v_cndmask_b32_e64 v46, 0, v65, s0
	v_cmp_ge_i32_e64 s0, v47, v59
	v_and_b32_e32 v36, 31, v0
	v_mul_u32_u24_e32 v49, 3, v35
	v_add_nc_u32_e32 v20, 48, v30
	v_add_nc_u32_e32 v21, 0x60, v22
	v_sub_nc_u32_e32 v41, v16, v7
	v_sub_nc_u32_e32 v61, v19, v18
	v_min_i32_e32 v40, v47, v40
	v_sub_nc_u32_e32 v67, v48, v60
	s_wait_alu 0xf1ff
	v_cndmask_b32_e64 v47, 0, v66, s0
	v_cmp_ge_i32_e64 s0, v48, v60
	v_and_b32_e32 v37, 63, v0
	v_mul_u32_u24_e32 v50, 3, v36
	v_add_nc_u32_e32 v22, 0x60, v31
	v_add_nc_u32_e32 v23, 0xc0, v23
	v_sub_nc_u32_e32 v42, v18, v8
	v_sub_nc_u32_e32 v62, v21, v20
	v_min_i32_e32 v41, v48, v41
	v_sub_nc_u32_e32 v68, v49, v61
	s_wait_alu 0xf1ff
	;; [unrolled: 11-line block ×3, first 2 shown]
	v_cndmask_b32_e64 v49, 0, v68, s0
	v_cmp_ge_i32_e64 s0, v50, v62
	v_mul_u32_u24_e32 v52, 3, v57
	v_sub_nc_u32_e32 v44, v22, v10
	v_sub_nc_u32_e32 v64, v25, v24
	v_min_i32_e32 v43, v50, v43
	v_sub_nc_u32_e32 v70, v51, v63
	s_wait_alu 0xf1ff
	v_cndmask_b32_e64 v50, 0, v69, s0
	v_cmp_ge_i32_e64 s0, v51, v63
	v_sub_nc_u32_e32 v45, v24, v11
	v_min_i32_e32 v44, v51, v44
	v_sub_nc_u32_e32 v71, v52, v64
	v_mul_u32_u24_e32 v1, 3, v0
	s_wait_alu 0xf1ff
	v_cndmask_b32_e64 v51, 0, v70, s0
	v_cmp_ge_i32_e64 s0, v52, v64
	v_min_i32_e32 v45, v52, v45
	v_mad_u32_u24 v2, v0, 3, 0x180
	v_subrev_nc_u32_e64 v3, 0x180, v1 clamp
	v_min_i32_e32 v4, 0x180, v1
	s_wait_alu 0xf1ff
	v_cndmask_b32_e64 v52, 0, v71, s0
	v_mad_u32_u24 v27, v33, 3, v27
	v_mad_u32_u24 v28, v34, 3, v28
	;; [unrolled: 1-line block ×11, first 2 shown]
	v_cmp_lt_i32_e64 s0, v46, v39
	v_cmp_lt_i32_e64 s1, v47, v40
	v_cmp_lt_i32_e64 s2, v48, v41
	v_cmp_lt_i32_e64 s3, v49, v42
	v_cmp_lt_i32_e64 s4, v50, v43
	v_cmp_lt_i32_e64 s5, v51, v44
	v_cmp_lt_i32_e64 s6, v52, v45
	s_mov_b32 s11, s17
	v_cmp_lt_i32_e32 vcc_lo, v3, v4
	s_wait_loadcnt 0x0
	v_perm_b32 v53, v55, v53, 0xc0c0004
	s_delay_alu instid0(VALU_DEP_1)
	v_lshl_or_b32 v56, v54, 16, v53
	v_mad_u32_u24 v53, v57, 3, v58
	s_branch .LBB64_2
.LBB64_1:                               ;   in Loop: Header=BB64_2 Depth=1
	s_or_b32 exec_lo, exec_lo, s9
	s_wait_dscnt 0x0
	v_bfe_i32 v61, v59, 0, 8
	v_bfe_i32 v63, v62, 0, 8
	v_cndmask_b32_e64 v57, v57, v58, s8
	v_cmp_le_i32_e64 s8, 0x180, v60
	v_cndmask_b32_e64 v54, v54, v55, s7
	v_cmp_gt_i32_e64 s7, 0x300, v56
	v_cmp_lt_i16_e64 s9, v63, v61
	v_lshlrev_b16 v56, 8, v57
	s_add_co_i32 s11, s11, 1
	v_and_b32_e32 v58, 0xff, v54
	s_or_b32 s8, s8, s9
	s_wait_alu 0xfffe
	s_and_b32 s7, s7, s8
	s_delay_alu instid0(VALU_DEP_1) | instskip(SKIP_3) | instid1(VALU_DEP_2)
	v_or_b32_e32 v56, v58, v56
	s_wait_alu 0xfffe
	v_cndmask_b32_e64 v55, v59, v62, s7
	s_cmp_eq_u32 s11, 10
	v_and_b32_e32 v56, 0xffff, v56
	s_delay_alu instid0(VALU_DEP_2) | instskip(NEXT) | instid1(VALU_DEP_1)
	v_and_b32_e32 v58, 0xff, v55
	v_lshlrev_b32_e32 v58, 16, v58
	s_delay_alu instid0(VALU_DEP_1)
	v_or_b32_e32 v56, v56, v58
	s_cbranch_scc1 .LBB64_98
.LBB64_2:                               ; =>This Loop Header: Depth=1
                                        ;     Child Loop BB64_4 Depth 2
                                        ;     Child Loop BB64_16 Depth 2
	;; [unrolled: 1-line block ×8, first 2 shown]
	s_delay_alu instid0(VALU_DEP_1) | instskip(SKIP_3) | instid1(VALU_DEP_3)
	v_lshrrev_b32_e32 v54, 8, v56
	v_bfe_i32 v55, v56, 0, 8
	v_perm_b32 v57, v56, v56, 0x7060405
	s_barrier_signal -1
	v_bfe_i32 v54, v54, 0, 8
	s_barrier_wait -1
	global_inv scope:SCOPE_SE
	v_cmp_lt_i16_e64 s7, v54, v55
	v_max_i16 v58, v54, v55
	v_min_i16 v54, v54, v55
	s_wait_alu 0xf1ff
	s_delay_alu instid0(VALU_DEP_3) | instskip(NEXT) | instid1(VALU_DEP_2)
	v_cndmask_b32_e64 v56, v56, v57, s7
	v_lshlrev_b16 v59, 8, v54
	s_delay_alu instid0(VALU_DEP_2) | instskip(SKIP_1) | instid1(VALU_DEP_2)
	v_lshrrev_b32_e32 v57, 16, v56
	v_perm_b32 v60, v56, v58, 0x7000604
	v_bfe_i32 v57, v57, 0, 8
	s_delay_alu instid0(VALU_DEP_1) | instskip(SKIP_1) | instid1(VALU_DEP_2)
	v_min_i16 v55, v57, v58
	v_cmp_lt_i16_e64 s7, v57, v58
	v_and_b32_e32 v55, 0xff, v55
	s_wait_alu 0xf1ff
	s_delay_alu instid0(VALU_DEP_2) | instskip(SKIP_1) | instid1(VALU_DEP_3)
	v_cndmask_b32_e64 v56, v56, v60, s7
	v_cmp_lt_i16_e64 s7, v57, v54
	v_or_b32_e32 v55, v55, v59
	s_delay_alu instid0(VALU_DEP_1) | instskip(NEXT) | instid1(VALU_DEP_1)
	v_and_b32_e32 v55, 0xffff, v55
	v_and_or_b32 v55, 0xffff0000, v56, v55
	s_wait_alu 0xf1ff
	s_delay_alu instid0(VALU_DEP_1) | instskip(SKIP_1) | instid1(VALU_DEP_2)
	v_cndmask_b32_e64 v54, v56, v55, s7
	v_mov_b32_e32 v56, v46
	v_lshrrev_b32_e32 v55, 8, v54
	ds_store_b8 v1, v54
	ds_store_b8 v1, v55 offset:1
	ds_store_b8_d16_hi v1, v54 offset:2
	s_wait_loadcnt_dscnt 0x0
	s_barrier_signal -1
	s_barrier_wait -1
	global_inv scope:SCOPE_SE
	s_and_saveexec_b32 s8, s0
	s_cbranch_execz .LBB64_6
; %bb.3:                                ;   in Loop: Header=BB64_2 Depth=1
	v_mov_b32_e32 v56, v46
	v_mov_b32_e32 v54, v39
	s_mov_b32 s9, 0
.LBB64_4:                               ;   Parent Loop BB64_2 Depth=1
                                        ; =>  This Inner Loop Header: Depth=2
	s_delay_alu instid0(VALU_DEP_1) | instskip(NEXT) | instid1(VALU_DEP_1)
	v_sub_nc_u32_e32 v55, v54, v56
	v_lshrrev_b32_e32 v55, 1, v55
	s_delay_alu instid0(VALU_DEP_1) | instskip(NEXT) | instid1(VALU_DEP_1)
	v_add_nc_u32_e32 v55, v55, v56
	v_add_nc_u32_e32 v57, v5, v55
	v_xad_u32 v58, v55, -1, v26
	v_add_nc_u32_e32 v59, 1, v55
	ds_load_i8 v57, v57
	ds_load_i8 v58, v58 offset:3
	s_wait_dscnt 0x0
	v_cmp_lt_i16_e64 s7, v58, v57
	s_wait_alu 0xf1ff
	s_delay_alu instid0(VALU_DEP_1) | instskip(SKIP_1) | instid1(VALU_DEP_1)
	v_cndmask_b32_e64 v54, v54, v55, s7
	v_cndmask_b32_e64 v56, v59, v56, s7
	v_cmp_ge_i32_e64 s7, v56, v54
	s_wait_alu 0xfffe
	s_or_b32 s9, s7, s9
	s_wait_alu 0xfffe
	s_and_not1_b32 exec_lo, exec_lo, s9
	s_cbranch_execnz .LBB64_4
; %bb.5:                                ;   in Loop: Header=BB64_2 Depth=1
	s_or_b32 exec_lo, exec_lo, s9
.LBB64_6:                               ;   in Loop: Header=BB64_2 Depth=1
	s_wait_alu 0xfffe
	s_or_b32 exec_lo, exec_lo, s8
	v_add_nc_u32_e32 v58, v56, v5
	v_sub_nc_u32_e32 v60, v26, v56
	v_sub_nc_u32_e32 v59, v32, v56
                                        ; implicit-def: $vgpr56
	ds_load_u8 v54, v58
	ds_load_u8 v55, v60 offset:3
	v_cmp_le_i32_e64 s7, v12, v58
	v_cmp_gt_i32_e64 s9, v13, v59
	s_wait_dscnt 0x1
	v_bfe_i32 v54, v54, 0, 8
	s_wait_dscnt 0x0
	v_bfe_i32 v55, v55, 0, 8
	s_delay_alu instid0(VALU_DEP_1)
	v_cmp_lt_i16_e64 s8, v55, v54
	s_or_b32 s7, s7, s8
	s_wait_alu 0xfffe
	s_and_b32 s7, s9, s7
	s_wait_alu 0xfffe
	s_xor_b32 s8, s7, -1
	s_wait_alu 0xfffe
	s_and_saveexec_b32 s9, s8
	s_wait_alu 0xfffe
	s_xor_b32 s8, exec_lo, s9
; %bb.7:                                ;   in Loop: Header=BB64_2 Depth=1
	ds_load_u8 v56, v58 offset:1
                                        ; implicit-def: $vgpr60
; %bb.8:                                ;   in Loop: Header=BB64_2 Depth=1
	s_wait_alu 0xfffe
	s_or_saveexec_b32 s8, s8
	v_mov_b32_e32 v57, v55
	s_wait_alu 0xfffe
	s_xor_b32 exec_lo, exec_lo, s8
	s_cbranch_execz .LBB64_10
; %bb.9:                                ;   in Loop: Header=BB64_2 Depth=1
	ds_load_u8 v57, v60 offset:4
	s_wait_dscnt 0x1
	v_mov_b32_e32 v56, v54
.LBB64_10:                              ;   in Loop: Header=BB64_2 Depth=1
	s_or_b32 exec_lo, exec_lo, s8
	v_add_nc_u32_e32 v60, 1, v58
	v_add_nc_u32_e32 v61, 1, v59
	s_wait_dscnt 0x0
	v_bfe_i32 v62, v56, 0, 8
	s_delay_alu instid0(VALU_DEP_3) | instskip(SKIP_2) | instid1(VALU_DEP_3)
	v_cndmask_b32_e64 v60, v60, v58, s7
	v_bfe_i32 v58, v57, 0, 8
	v_cndmask_b32_e64 v59, v59, v61, s7
	v_cmp_ge_i32_e64 s8, v60, v12
	s_delay_alu instid0(VALU_DEP_3) | instskip(NEXT) | instid1(VALU_DEP_3)
	v_cmp_lt_i16_e64 s9, v58, v62
	v_cmp_lt_i32_e64 s10, v59, v13
                                        ; implicit-def: $vgpr58
	s_or_b32 s8, s8, s9
	s_wait_alu 0xfffe
	s_and_b32 s8, s10, s8
	s_wait_alu 0xfffe
	s_xor_b32 s9, s8, -1
	s_wait_alu 0xfffe
	s_and_saveexec_b32 s10, s9
	s_delay_alu instid0(SALU_CYCLE_1)
	s_xor_b32 s9, exec_lo, s10
; %bb.11:                               ;   in Loop: Header=BB64_2 Depth=1
	ds_load_u8 v58, v60 offset:1
; %bb.12:                               ;   in Loop: Header=BB64_2 Depth=1
	s_wait_alu 0xfffe
	s_or_saveexec_b32 s9, s9
	v_mov_b32_e32 v61, v57
	s_wait_alu 0xfffe
	s_xor_b32 exec_lo, exec_lo, s9
	s_cbranch_execz .LBB64_14
; %bb.13:                               ;   in Loop: Header=BB64_2 Depth=1
	ds_load_u8 v61, v59 offset:1
	s_wait_dscnt 0x1
	v_mov_b32_e32 v58, v56
.LBB64_14:                              ;   in Loop: Header=BB64_2 Depth=1
	s_or_b32 exec_lo, exec_lo, s9
	v_add_nc_u32_e32 v62, 1, v60
	v_add_nc_u32_e32 v63, 1, v59
	s_wait_dscnt 0x0
	v_bfe_i32 v64, v58, 0, 8
	v_bfe_i32 v65, v61, 0, 8
	v_cndmask_b32_e64 v57, v56, v57, s8
	v_cndmask_b32_e64 v60, v62, v60, s8
	v_mov_b32_e32 v56, v47
	v_cndmask_b32_e64 v59, v59, v63, s8
	v_cmp_lt_i16_e64 s8, v65, v64
	v_cndmask_b32_e64 v54, v54, v55, s7
	v_cmp_ge_i32_e64 s9, v60, v12
	s_wait_loadcnt 0x0
	v_cmp_lt_i32_e64 s7, v59, v13
	s_barrier_signal -1
	s_barrier_wait -1
	s_or_b32 s8, s9, s8
	global_inv scope:SCOPE_SE
	s_wait_alu 0xfffe
	s_and_b32 s7, s7, s8
	s_wait_alu 0xfffe
	v_cndmask_b32_e64 v55, v58, v61, s7
	ds_store_b8 v1, v54
	ds_store_b8 v1, v57 offset:1
	ds_store_b8 v1, v55 offset:2
	s_wait_loadcnt_dscnt 0x0
	s_barrier_signal -1
	s_barrier_wait -1
	global_inv scope:SCOPE_SE
	s_and_saveexec_b32 s8, s1
	s_cbranch_execz .LBB64_18
; %bb.15:                               ;   in Loop: Header=BB64_2 Depth=1
	v_mov_b32_e32 v56, v47
	v_mov_b32_e32 v54, v40
	s_mov_b32 s9, 0
.LBB64_16:                              ;   Parent Loop BB64_2 Depth=1
                                        ; =>  This Inner Loop Header: Depth=2
	s_delay_alu instid0(VALU_DEP_1) | instskip(NEXT) | instid1(VALU_DEP_1)
	v_sub_nc_u32_e32 v55, v54, v56
	v_lshrrev_b32_e32 v55, 1, v55
	s_delay_alu instid0(VALU_DEP_1) | instskip(NEXT) | instid1(VALU_DEP_1)
	v_add_nc_u32_e32 v55, v55, v56
	v_add_nc_u32_e32 v57, v6, v55
	v_xad_u32 v58, v55, -1, v27
	v_add_nc_u32_e32 v59, 1, v55
	ds_load_i8 v57, v57
	ds_load_i8 v58, v58 offset:6
	s_wait_dscnt 0x0
	v_cmp_lt_i16_e64 s7, v58, v57
	s_wait_alu 0xf1ff
	s_delay_alu instid0(VALU_DEP_1) | instskip(SKIP_1) | instid1(VALU_DEP_1)
	v_cndmask_b32_e64 v54, v54, v55, s7
	v_cndmask_b32_e64 v56, v59, v56, s7
	v_cmp_ge_i32_e64 s7, v56, v54
	s_wait_alu 0xfffe
	s_or_b32 s9, s7, s9
	s_wait_alu 0xfffe
	s_and_not1_b32 exec_lo, exec_lo, s9
	s_cbranch_execnz .LBB64_16
; %bb.17:                               ;   in Loop: Header=BB64_2 Depth=1
	s_or_b32 exec_lo, exec_lo, s9
.LBB64_18:                              ;   in Loop: Header=BB64_2 Depth=1
	s_wait_alu 0xfffe
	s_or_b32 exec_lo, exec_lo, s8
	v_add_nc_u32_e32 v58, v56, v6
	v_sub_nc_u32_e32 v60, v27, v56
	v_sub_nc_u32_e32 v59, v33, v56
                                        ; implicit-def: $vgpr56
	ds_load_u8 v54, v58
	ds_load_u8 v55, v60 offset:6
	v_cmp_le_i32_e64 s7, v14, v58
	v_cmp_gt_i32_e64 s9, v15, v59
	s_wait_dscnt 0x1
	v_bfe_i32 v54, v54, 0, 8
	s_wait_dscnt 0x0
	v_bfe_i32 v55, v55, 0, 8
	s_delay_alu instid0(VALU_DEP_1)
	v_cmp_lt_i16_e64 s8, v55, v54
	s_or_b32 s7, s7, s8
	s_wait_alu 0xfffe
	s_and_b32 s7, s9, s7
	s_wait_alu 0xfffe
	s_xor_b32 s8, s7, -1
	s_wait_alu 0xfffe
	s_and_saveexec_b32 s9, s8
	s_wait_alu 0xfffe
	s_xor_b32 s8, exec_lo, s9
; %bb.19:                               ;   in Loop: Header=BB64_2 Depth=1
	ds_load_u8 v56, v58 offset:1
                                        ; implicit-def: $vgpr60
; %bb.20:                               ;   in Loop: Header=BB64_2 Depth=1
	s_wait_alu 0xfffe
	s_or_saveexec_b32 s8, s8
	v_mov_b32_e32 v57, v55
	s_wait_alu 0xfffe
	s_xor_b32 exec_lo, exec_lo, s8
	s_cbranch_execz .LBB64_22
; %bb.21:                               ;   in Loop: Header=BB64_2 Depth=1
	ds_load_u8 v57, v60 offset:7
	s_wait_dscnt 0x1
	v_mov_b32_e32 v56, v54
.LBB64_22:                              ;   in Loop: Header=BB64_2 Depth=1
	s_or_b32 exec_lo, exec_lo, s8
	v_add_nc_u32_e32 v60, 1, v58
	v_add_nc_u32_e32 v61, 1, v59
	s_wait_dscnt 0x0
	v_bfe_i32 v62, v56, 0, 8
	s_delay_alu instid0(VALU_DEP_3) | instskip(SKIP_2) | instid1(VALU_DEP_3)
	v_cndmask_b32_e64 v60, v60, v58, s7
	v_bfe_i32 v58, v57, 0, 8
	v_cndmask_b32_e64 v59, v59, v61, s7
	v_cmp_ge_i32_e64 s8, v60, v14
	s_delay_alu instid0(VALU_DEP_3) | instskip(NEXT) | instid1(VALU_DEP_3)
	v_cmp_lt_i16_e64 s9, v58, v62
	v_cmp_lt_i32_e64 s10, v59, v15
                                        ; implicit-def: $vgpr58
	s_or_b32 s8, s8, s9
	s_wait_alu 0xfffe
	s_and_b32 s8, s10, s8
	s_wait_alu 0xfffe
	s_xor_b32 s9, s8, -1
	s_wait_alu 0xfffe
	s_and_saveexec_b32 s10, s9
	s_delay_alu instid0(SALU_CYCLE_1)
	s_xor_b32 s9, exec_lo, s10
; %bb.23:                               ;   in Loop: Header=BB64_2 Depth=1
	ds_load_u8 v58, v60 offset:1
; %bb.24:                               ;   in Loop: Header=BB64_2 Depth=1
	s_wait_alu 0xfffe
	s_or_saveexec_b32 s9, s9
	v_mov_b32_e32 v61, v57
	s_wait_alu 0xfffe
	s_xor_b32 exec_lo, exec_lo, s9
	s_cbranch_execz .LBB64_26
; %bb.25:                               ;   in Loop: Header=BB64_2 Depth=1
	ds_load_u8 v61, v59 offset:1
	s_wait_dscnt 0x1
	v_mov_b32_e32 v58, v56
.LBB64_26:                              ;   in Loop: Header=BB64_2 Depth=1
	s_or_b32 exec_lo, exec_lo, s9
	v_add_nc_u32_e32 v62, 1, v60
	v_add_nc_u32_e32 v63, 1, v59
	s_wait_dscnt 0x0
	v_bfe_i32 v64, v58, 0, 8
	v_bfe_i32 v65, v61, 0, 8
	v_cndmask_b32_e64 v57, v56, v57, s8
	v_cndmask_b32_e64 v60, v62, v60, s8
	v_mov_b32_e32 v56, v48
	v_cndmask_b32_e64 v59, v59, v63, s8
	v_cmp_lt_i16_e64 s8, v65, v64
	v_cndmask_b32_e64 v54, v54, v55, s7
	v_cmp_ge_i32_e64 s9, v60, v14
	s_wait_loadcnt 0x0
	v_cmp_lt_i32_e64 s7, v59, v15
	s_barrier_signal -1
	s_barrier_wait -1
	s_or_b32 s8, s9, s8
	global_inv scope:SCOPE_SE
	s_wait_alu 0xfffe
	s_and_b32 s7, s7, s8
	s_wait_alu 0xfffe
	v_cndmask_b32_e64 v55, v58, v61, s7
	ds_store_b8 v1, v54
	ds_store_b8 v1, v57 offset:1
	ds_store_b8 v1, v55 offset:2
	s_wait_loadcnt_dscnt 0x0
	s_barrier_signal -1
	s_barrier_wait -1
	global_inv scope:SCOPE_SE
	s_and_saveexec_b32 s8, s2
	s_cbranch_execz .LBB64_30
; %bb.27:                               ;   in Loop: Header=BB64_2 Depth=1
	v_mov_b32_e32 v56, v48
	v_mov_b32_e32 v54, v41
	s_mov_b32 s9, 0
.LBB64_28:                              ;   Parent Loop BB64_2 Depth=1
                                        ; =>  This Inner Loop Header: Depth=2
	s_delay_alu instid0(VALU_DEP_1) | instskip(NEXT) | instid1(VALU_DEP_1)
	v_sub_nc_u32_e32 v55, v54, v56
	v_lshrrev_b32_e32 v55, 1, v55
	s_delay_alu instid0(VALU_DEP_1) | instskip(NEXT) | instid1(VALU_DEP_1)
	v_add_nc_u32_e32 v55, v55, v56
	v_add_nc_u32_e32 v57, v7, v55
	v_xad_u32 v58, v55, -1, v28
	v_add_nc_u32_e32 v59, 1, v55
	ds_load_i8 v57, v57
	ds_load_i8 v58, v58 offset:12
	s_wait_dscnt 0x0
	v_cmp_lt_i16_e64 s7, v58, v57
	s_wait_alu 0xf1ff
	s_delay_alu instid0(VALU_DEP_1) | instskip(SKIP_1) | instid1(VALU_DEP_1)
	v_cndmask_b32_e64 v54, v54, v55, s7
	v_cndmask_b32_e64 v56, v59, v56, s7
	v_cmp_ge_i32_e64 s7, v56, v54
	s_wait_alu 0xfffe
	s_or_b32 s9, s7, s9
	s_wait_alu 0xfffe
	s_and_not1_b32 exec_lo, exec_lo, s9
	s_cbranch_execnz .LBB64_28
; %bb.29:                               ;   in Loop: Header=BB64_2 Depth=1
	s_or_b32 exec_lo, exec_lo, s9
.LBB64_30:                              ;   in Loop: Header=BB64_2 Depth=1
	s_wait_alu 0xfffe
	s_or_b32 exec_lo, exec_lo, s8
	v_add_nc_u32_e32 v58, v56, v7
	v_sub_nc_u32_e32 v60, v28, v56
	v_sub_nc_u32_e32 v59, v34, v56
                                        ; implicit-def: $vgpr56
	ds_load_u8 v54, v58
	ds_load_u8 v55, v60 offset:12
	v_cmp_le_i32_e64 s7, v16, v58
	v_cmp_gt_i32_e64 s9, v17, v59
	s_wait_dscnt 0x1
	v_bfe_i32 v54, v54, 0, 8
	s_wait_dscnt 0x0
	v_bfe_i32 v55, v55, 0, 8
	s_delay_alu instid0(VALU_DEP_1)
	v_cmp_lt_i16_e64 s8, v55, v54
	s_or_b32 s7, s7, s8
	s_wait_alu 0xfffe
	s_and_b32 s7, s9, s7
	s_wait_alu 0xfffe
	s_xor_b32 s8, s7, -1
	s_wait_alu 0xfffe
	s_and_saveexec_b32 s9, s8
	s_wait_alu 0xfffe
	s_xor_b32 s8, exec_lo, s9
; %bb.31:                               ;   in Loop: Header=BB64_2 Depth=1
	ds_load_u8 v56, v58 offset:1
                                        ; implicit-def: $vgpr60
; %bb.32:                               ;   in Loop: Header=BB64_2 Depth=1
	s_wait_alu 0xfffe
	s_or_saveexec_b32 s8, s8
	v_mov_b32_e32 v57, v55
	s_wait_alu 0xfffe
	s_xor_b32 exec_lo, exec_lo, s8
	s_cbranch_execz .LBB64_34
; %bb.33:                               ;   in Loop: Header=BB64_2 Depth=1
	ds_load_u8 v57, v60 offset:13
	s_wait_dscnt 0x1
	v_mov_b32_e32 v56, v54
.LBB64_34:                              ;   in Loop: Header=BB64_2 Depth=1
	s_or_b32 exec_lo, exec_lo, s8
	v_add_nc_u32_e32 v60, 1, v58
	v_add_nc_u32_e32 v61, 1, v59
	s_wait_dscnt 0x0
	v_bfe_i32 v62, v56, 0, 8
	s_delay_alu instid0(VALU_DEP_3) | instskip(SKIP_2) | instid1(VALU_DEP_3)
	v_cndmask_b32_e64 v60, v60, v58, s7
	v_bfe_i32 v58, v57, 0, 8
	v_cndmask_b32_e64 v59, v59, v61, s7
	v_cmp_ge_i32_e64 s8, v60, v16
	s_delay_alu instid0(VALU_DEP_3) | instskip(NEXT) | instid1(VALU_DEP_3)
	v_cmp_lt_i16_e64 s9, v58, v62
	v_cmp_lt_i32_e64 s10, v59, v17
                                        ; implicit-def: $vgpr58
	s_or_b32 s8, s8, s9
	s_wait_alu 0xfffe
	s_and_b32 s8, s10, s8
	s_wait_alu 0xfffe
	s_xor_b32 s9, s8, -1
	s_wait_alu 0xfffe
	s_and_saveexec_b32 s10, s9
	s_delay_alu instid0(SALU_CYCLE_1)
	s_xor_b32 s9, exec_lo, s10
; %bb.35:                               ;   in Loop: Header=BB64_2 Depth=1
	ds_load_u8 v58, v60 offset:1
; %bb.36:                               ;   in Loop: Header=BB64_2 Depth=1
	s_wait_alu 0xfffe
	s_or_saveexec_b32 s9, s9
	v_mov_b32_e32 v61, v57
	s_wait_alu 0xfffe
	s_xor_b32 exec_lo, exec_lo, s9
	s_cbranch_execz .LBB64_38
; %bb.37:                               ;   in Loop: Header=BB64_2 Depth=1
	ds_load_u8 v61, v59 offset:1
	s_wait_dscnt 0x1
	v_mov_b32_e32 v58, v56
.LBB64_38:                              ;   in Loop: Header=BB64_2 Depth=1
	s_or_b32 exec_lo, exec_lo, s9
	v_add_nc_u32_e32 v62, 1, v60
	v_add_nc_u32_e32 v63, 1, v59
	s_wait_dscnt 0x0
	v_bfe_i32 v64, v58, 0, 8
	v_bfe_i32 v65, v61, 0, 8
	v_cndmask_b32_e64 v57, v56, v57, s8
	v_cndmask_b32_e64 v60, v62, v60, s8
	v_mov_b32_e32 v56, v49
	v_cndmask_b32_e64 v59, v59, v63, s8
	v_cmp_lt_i16_e64 s8, v65, v64
	v_cndmask_b32_e64 v54, v54, v55, s7
	v_cmp_ge_i32_e64 s9, v60, v16
	s_wait_loadcnt 0x0
	v_cmp_lt_i32_e64 s7, v59, v17
	s_barrier_signal -1
	s_barrier_wait -1
	s_or_b32 s8, s9, s8
	global_inv scope:SCOPE_SE
	s_wait_alu 0xfffe
	s_and_b32 s7, s7, s8
	s_wait_alu 0xfffe
	v_cndmask_b32_e64 v55, v58, v61, s7
	ds_store_b8 v1, v54
	ds_store_b8 v1, v57 offset:1
	ds_store_b8 v1, v55 offset:2
	s_wait_loadcnt_dscnt 0x0
	s_barrier_signal -1
	s_barrier_wait -1
	global_inv scope:SCOPE_SE
	s_and_saveexec_b32 s8, s3
	s_cbranch_execz .LBB64_42
; %bb.39:                               ;   in Loop: Header=BB64_2 Depth=1
	v_mov_b32_e32 v56, v49
	v_mov_b32_e32 v54, v42
	s_mov_b32 s9, 0
.LBB64_40:                              ;   Parent Loop BB64_2 Depth=1
                                        ; =>  This Inner Loop Header: Depth=2
	s_delay_alu instid0(VALU_DEP_1) | instskip(NEXT) | instid1(VALU_DEP_1)
	v_sub_nc_u32_e32 v55, v54, v56
	v_lshrrev_b32_e32 v55, 1, v55
	s_delay_alu instid0(VALU_DEP_1) | instskip(NEXT) | instid1(VALU_DEP_1)
	v_add_nc_u32_e32 v55, v55, v56
	v_add_nc_u32_e32 v57, v8, v55
	v_xad_u32 v58, v55, -1, v29
	v_add_nc_u32_e32 v59, 1, v55
	ds_load_i8 v57, v57
	ds_load_i8 v58, v58 offset:24
	s_wait_dscnt 0x0
	v_cmp_lt_i16_e64 s7, v58, v57
	s_wait_alu 0xf1ff
	s_delay_alu instid0(VALU_DEP_1) | instskip(SKIP_1) | instid1(VALU_DEP_1)
	v_cndmask_b32_e64 v54, v54, v55, s7
	v_cndmask_b32_e64 v56, v59, v56, s7
	v_cmp_ge_i32_e64 s7, v56, v54
	s_wait_alu 0xfffe
	s_or_b32 s9, s7, s9
	s_wait_alu 0xfffe
	s_and_not1_b32 exec_lo, exec_lo, s9
	s_cbranch_execnz .LBB64_40
; %bb.41:                               ;   in Loop: Header=BB64_2 Depth=1
	s_or_b32 exec_lo, exec_lo, s9
.LBB64_42:                              ;   in Loop: Header=BB64_2 Depth=1
	s_wait_alu 0xfffe
	s_or_b32 exec_lo, exec_lo, s8
	v_add_nc_u32_e32 v58, v56, v8
	v_sub_nc_u32_e32 v60, v29, v56
	v_sub_nc_u32_e32 v59, v35, v56
                                        ; implicit-def: $vgpr56
	ds_load_u8 v54, v58
	ds_load_u8 v55, v60 offset:24
	v_cmp_le_i32_e64 s7, v18, v58
	v_cmp_gt_i32_e64 s9, v19, v59
	s_wait_dscnt 0x1
	v_bfe_i32 v54, v54, 0, 8
	s_wait_dscnt 0x0
	v_bfe_i32 v55, v55, 0, 8
	s_delay_alu instid0(VALU_DEP_1)
	v_cmp_lt_i16_e64 s8, v55, v54
	s_or_b32 s7, s7, s8
	s_wait_alu 0xfffe
	s_and_b32 s7, s9, s7
	s_wait_alu 0xfffe
	s_xor_b32 s8, s7, -1
	s_wait_alu 0xfffe
	s_and_saveexec_b32 s9, s8
	s_wait_alu 0xfffe
	s_xor_b32 s8, exec_lo, s9
; %bb.43:                               ;   in Loop: Header=BB64_2 Depth=1
	ds_load_u8 v56, v58 offset:1
                                        ; implicit-def: $vgpr60
; %bb.44:                               ;   in Loop: Header=BB64_2 Depth=1
	s_wait_alu 0xfffe
	s_or_saveexec_b32 s8, s8
	v_mov_b32_e32 v57, v55
	s_wait_alu 0xfffe
	s_xor_b32 exec_lo, exec_lo, s8
	s_cbranch_execz .LBB64_46
; %bb.45:                               ;   in Loop: Header=BB64_2 Depth=1
	ds_load_u8 v57, v60 offset:25
	s_wait_dscnt 0x1
	v_mov_b32_e32 v56, v54
.LBB64_46:                              ;   in Loop: Header=BB64_2 Depth=1
	s_or_b32 exec_lo, exec_lo, s8
	v_add_nc_u32_e32 v60, 1, v58
	v_add_nc_u32_e32 v61, 1, v59
	s_wait_dscnt 0x0
	v_bfe_i32 v62, v56, 0, 8
	s_delay_alu instid0(VALU_DEP_3) | instskip(SKIP_2) | instid1(VALU_DEP_3)
	v_cndmask_b32_e64 v60, v60, v58, s7
	v_bfe_i32 v58, v57, 0, 8
	v_cndmask_b32_e64 v59, v59, v61, s7
	v_cmp_ge_i32_e64 s8, v60, v18
	s_delay_alu instid0(VALU_DEP_3) | instskip(NEXT) | instid1(VALU_DEP_3)
	v_cmp_lt_i16_e64 s9, v58, v62
	v_cmp_lt_i32_e64 s10, v59, v19
                                        ; implicit-def: $vgpr58
	s_or_b32 s8, s8, s9
	s_wait_alu 0xfffe
	s_and_b32 s8, s10, s8
	s_wait_alu 0xfffe
	s_xor_b32 s9, s8, -1
	s_wait_alu 0xfffe
	s_and_saveexec_b32 s10, s9
	s_delay_alu instid0(SALU_CYCLE_1)
	s_xor_b32 s9, exec_lo, s10
; %bb.47:                               ;   in Loop: Header=BB64_2 Depth=1
	ds_load_u8 v58, v60 offset:1
; %bb.48:                               ;   in Loop: Header=BB64_2 Depth=1
	s_wait_alu 0xfffe
	s_or_saveexec_b32 s9, s9
	v_mov_b32_e32 v61, v57
	s_wait_alu 0xfffe
	s_xor_b32 exec_lo, exec_lo, s9
	s_cbranch_execz .LBB64_50
; %bb.49:                               ;   in Loop: Header=BB64_2 Depth=1
	ds_load_u8 v61, v59 offset:1
	s_wait_dscnt 0x1
	v_mov_b32_e32 v58, v56
.LBB64_50:                              ;   in Loop: Header=BB64_2 Depth=1
	s_or_b32 exec_lo, exec_lo, s9
	v_add_nc_u32_e32 v62, 1, v60
	v_add_nc_u32_e32 v63, 1, v59
	s_wait_dscnt 0x0
	v_bfe_i32 v64, v58, 0, 8
	v_bfe_i32 v65, v61, 0, 8
	v_cndmask_b32_e64 v57, v56, v57, s8
	v_cndmask_b32_e64 v60, v62, v60, s8
	v_mov_b32_e32 v56, v50
	v_cndmask_b32_e64 v59, v59, v63, s8
	v_cmp_lt_i16_e64 s8, v65, v64
	v_cndmask_b32_e64 v54, v54, v55, s7
	v_cmp_ge_i32_e64 s9, v60, v18
	s_wait_loadcnt 0x0
	v_cmp_lt_i32_e64 s7, v59, v19
	s_barrier_signal -1
	s_barrier_wait -1
	s_or_b32 s8, s9, s8
	global_inv scope:SCOPE_SE
	s_wait_alu 0xfffe
	s_and_b32 s7, s7, s8
	s_wait_alu 0xfffe
	v_cndmask_b32_e64 v55, v58, v61, s7
	ds_store_b8 v1, v54
	ds_store_b8 v1, v57 offset:1
	ds_store_b8 v1, v55 offset:2
	s_wait_loadcnt_dscnt 0x0
	s_barrier_signal -1
	s_barrier_wait -1
	global_inv scope:SCOPE_SE
	s_and_saveexec_b32 s8, s4
	s_cbranch_execz .LBB64_54
; %bb.51:                               ;   in Loop: Header=BB64_2 Depth=1
	v_mov_b32_e32 v56, v50
	v_mov_b32_e32 v54, v43
	s_mov_b32 s9, 0
.LBB64_52:                              ;   Parent Loop BB64_2 Depth=1
                                        ; =>  This Inner Loop Header: Depth=2
	s_delay_alu instid0(VALU_DEP_1) | instskip(NEXT) | instid1(VALU_DEP_1)
	v_sub_nc_u32_e32 v55, v54, v56
	v_lshrrev_b32_e32 v55, 1, v55
	s_delay_alu instid0(VALU_DEP_1) | instskip(NEXT) | instid1(VALU_DEP_1)
	v_add_nc_u32_e32 v55, v55, v56
	v_add_nc_u32_e32 v57, v9, v55
	v_xad_u32 v58, v55, -1, v30
	v_add_nc_u32_e32 v59, 1, v55
	ds_load_i8 v57, v57
	ds_load_i8 v58, v58 offset:48
	s_wait_dscnt 0x0
	v_cmp_lt_i16_e64 s7, v58, v57
	s_wait_alu 0xf1ff
	s_delay_alu instid0(VALU_DEP_1) | instskip(SKIP_1) | instid1(VALU_DEP_1)
	v_cndmask_b32_e64 v54, v54, v55, s7
	v_cndmask_b32_e64 v56, v59, v56, s7
	v_cmp_ge_i32_e64 s7, v56, v54
	s_wait_alu 0xfffe
	s_or_b32 s9, s7, s9
	s_wait_alu 0xfffe
	s_and_not1_b32 exec_lo, exec_lo, s9
	s_cbranch_execnz .LBB64_52
; %bb.53:                               ;   in Loop: Header=BB64_2 Depth=1
	s_or_b32 exec_lo, exec_lo, s9
.LBB64_54:                              ;   in Loop: Header=BB64_2 Depth=1
	s_wait_alu 0xfffe
	s_or_b32 exec_lo, exec_lo, s8
	v_add_nc_u32_e32 v58, v56, v9
	v_sub_nc_u32_e32 v60, v30, v56
	v_sub_nc_u32_e32 v59, v36, v56
                                        ; implicit-def: $vgpr56
	ds_load_u8 v54, v58
	ds_load_u8 v55, v60 offset:48
	v_cmp_le_i32_e64 s7, v20, v58
	v_cmp_gt_i32_e64 s9, v21, v59
	s_wait_dscnt 0x1
	v_bfe_i32 v54, v54, 0, 8
	s_wait_dscnt 0x0
	v_bfe_i32 v55, v55, 0, 8
	s_delay_alu instid0(VALU_DEP_1)
	v_cmp_lt_i16_e64 s8, v55, v54
	s_or_b32 s7, s7, s8
	s_wait_alu 0xfffe
	s_and_b32 s7, s9, s7
	s_wait_alu 0xfffe
	s_xor_b32 s8, s7, -1
	s_wait_alu 0xfffe
	s_and_saveexec_b32 s9, s8
	s_wait_alu 0xfffe
	s_xor_b32 s8, exec_lo, s9
; %bb.55:                               ;   in Loop: Header=BB64_2 Depth=1
	ds_load_u8 v56, v58 offset:1
                                        ; implicit-def: $vgpr60
; %bb.56:                               ;   in Loop: Header=BB64_2 Depth=1
	s_wait_alu 0xfffe
	s_or_saveexec_b32 s8, s8
	v_mov_b32_e32 v57, v55
	s_wait_alu 0xfffe
	s_xor_b32 exec_lo, exec_lo, s8
	s_cbranch_execz .LBB64_58
; %bb.57:                               ;   in Loop: Header=BB64_2 Depth=1
	ds_load_u8 v57, v60 offset:49
	s_wait_dscnt 0x1
	v_mov_b32_e32 v56, v54
.LBB64_58:                              ;   in Loop: Header=BB64_2 Depth=1
	s_or_b32 exec_lo, exec_lo, s8
	v_add_nc_u32_e32 v60, 1, v58
	v_add_nc_u32_e32 v61, 1, v59
	s_wait_dscnt 0x0
	v_bfe_i32 v62, v56, 0, 8
	s_delay_alu instid0(VALU_DEP_3) | instskip(SKIP_2) | instid1(VALU_DEP_3)
	v_cndmask_b32_e64 v60, v60, v58, s7
	v_bfe_i32 v58, v57, 0, 8
	v_cndmask_b32_e64 v59, v59, v61, s7
	v_cmp_ge_i32_e64 s8, v60, v20
	s_delay_alu instid0(VALU_DEP_3) | instskip(NEXT) | instid1(VALU_DEP_3)
	v_cmp_lt_i16_e64 s9, v58, v62
	v_cmp_lt_i32_e64 s10, v59, v21
                                        ; implicit-def: $vgpr58
	s_or_b32 s8, s8, s9
	s_wait_alu 0xfffe
	s_and_b32 s8, s10, s8
	s_wait_alu 0xfffe
	s_xor_b32 s9, s8, -1
	s_wait_alu 0xfffe
	s_and_saveexec_b32 s10, s9
	s_delay_alu instid0(SALU_CYCLE_1)
	s_xor_b32 s9, exec_lo, s10
; %bb.59:                               ;   in Loop: Header=BB64_2 Depth=1
	ds_load_u8 v58, v60 offset:1
; %bb.60:                               ;   in Loop: Header=BB64_2 Depth=1
	s_wait_alu 0xfffe
	s_or_saveexec_b32 s9, s9
	v_mov_b32_e32 v61, v57
	s_wait_alu 0xfffe
	s_xor_b32 exec_lo, exec_lo, s9
	s_cbranch_execz .LBB64_62
; %bb.61:                               ;   in Loop: Header=BB64_2 Depth=1
	ds_load_u8 v61, v59 offset:1
	s_wait_dscnt 0x1
	v_mov_b32_e32 v58, v56
.LBB64_62:                              ;   in Loop: Header=BB64_2 Depth=1
	s_or_b32 exec_lo, exec_lo, s9
	v_add_nc_u32_e32 v62, 1, v60
	v_add_nc_u32_e32 v63, 1, v59
	s_wait_dscnt 0x0
	v_bfe_i32 v64, v58, 0, 8
	v_bfe_i32 v65, v61, 0, 8
	v_cndmask_b32_e64 v57, v56, v57, s8
	v_cndmask_b32_e64 v60, v62, v60, s8
	v_mov_b32_e32 v56, v51
	v_cndmask_b32_e64 v59, v59, v63, s8
	v_cmp_lt_i16_e64 s8, v65, v64
	v_cndmask_b32_e64 v54, v54, v55, s7
	v_cmp_ge_i32_e64 s9, v60, v20
	s_wait_loadcnt 0x0
	v_cmp_lt_i32_e64 s7, v59, v21
	s_barrier_signal -1
	s_barrier_wait -1
	s_or_b32 s8, s9, s8
	global_inv scope:SCOPE_SE
	s_wait_alu 0xfffe
	s_and_b32 s7, s7, s8
	s_wait_alu 0xfffe
	v_cndmask_b32_e64 v55, v58, v61, s7
	ds_store_b8 v1, v54
	ds_store_b8 v1, v57 offset:1
	ds_store_b8 v1, v55 offset:2
	s_wait_loadcnt_dscnt 0x0
	s_barrier_signal -1
	s_barrier_wait -1
	global_inv scope:SCOPE_SE
	s_and_saveexec_b32 s8, s5
	s_cbranch_execz .LBB64_66
; %bb.63:                               ;   in Loop: Header=BB64_2 Depth=1
	v_mov_b32_e32 v56, v51
	v_mov_b32_e32 v54, v44
	s_mov_b32 s9, 0
.LBB64_64:                              ;   Parent Loop BB64_2 Depth=1
                                        ; =>  This Inner Loop Header: Depth=2
	s_delay_alu instid0(VALU_DEP_1) | instskip(NEXT) | instid1(VALU_DEP_1)
	v_sub_nc_u32_e32 v55, v54, v56
	v_lshrrev_b32_e32 v55, 1, v55
	s_delay_alu instid0(VALU_DEP_1) | instskip(NEXT) | instid1(VALU_DEP_1)
	v_add_nc_u32_e32 v55, v55, v56
	v_add_nc_u32_e32 v57, v10, v55
	v_xad_u32 v58, v55, -1, v31
	v_add_nc_u32_e32 v59, 1, v55
	ds_load_i8 v57, v57
	ds_load_i8 v58, v58 offset:96
	s_wait_dscnt 0x0
	v_cmp_lt_i16_e64 s7, v58, v57
	s_wait_alu 0xf1ff
	s_delay_alu instid0(VALU_DEP_1) | instskip(SKIP_1) | instid1(VALU_DEP_1)
	v_cndmask_b32_e64 v54, v54, v55, s7
	v_cndmask_b32_e64 v56, v59, v56, s7
	v_cmp_ge_i32_e64 s7, v56, v54
	s_wait_alu 0xfffe
	s_or_b32 s9, s7, s9
	s_wait_alu 0xfffe
	s_and_not1_b32 exec_lo, exec_lo, s9
	s_cbranch_execnz .LBB64_64
; %bb.65:                               ;   in Loop: Header=BB64_2 Depth=1
	s_or_b32 exec_lo, exec_lo, s9
.LBB64_66:                              ;   in Loop: Header=BB64_2 Depth=1
	s_wait_alu 0xfffe
	s_or_b32 exec_lo, exec_lo, s8
	v_add_nc_u32_e32 v58, v56, v10
	v_sub_nc_u32_e32 v60, v31, v56
	v_sub_nc_u32_e32 v59, v37, v56
                                        ; implicit-def: $vgpr56
	ds_load_u8 v54, v58
	ds_load_u8 v55, v60 offset:96
	v_cmp_le_i32_e64 s7, v22, v58
	v_cmp_gt_i32_e64 s9, v23, v59
	s_wait_dscnt 0x1
	v_bfe_i32 v54, v54, 0, 8
	s_wait_dscnt 0x0
	v_bfe_i32 v55, v55, 0, 8
	s_delay_alu instid0(VALU_DEP_1)
	v_cmp_lt_i16_e64 s8, v55, v54
	s_or_b32 s7, s7, s8
	s_wait_alu 0xfffe
	s_and_b32 s7, s9, s7
	s_wait_alu 0xfffe
	s_xor_b32 s8, s7, -1
	s_wait_alu 0xfffe
	s_and_saveexec_b32 s9, s8
	s_wait_alu 0xfffe
	s_xor_b32 s8, exec_lo, s9
; %bb.67:                               ;   in Loop: Header=BB64_2 Depth=1
	ds_load_u8 v56, v58 offset:1
                                        ; implicit-def: $vgpr60
; %bb.68:                               ;   in Loop: Header=BB64_2 Depth=1
	s_wait_alu 0xfffe
	s_or_saveexec_b32 s8, s8
	v_mov_b32_e32 v57, v55
	s_wait_alu 0xfffe
	s_xor_b32 exec_lo, exec_lo, s8
	s_cbranch_execz .LBB64_70
; %bb.69:                               ;   in Loop: Header=BB64_2 Depth=1
	ds_load_u8 v57, v60 offset:97
	s_wait_dscnt 0x1
	v_mov_b32_e32 v56, v54
.LBB64_70:                              ;   in Loop: Header=BB64_2 Depth=1
	s_or_b32 exec_lo, exec_lo, s8
	v_add_nc_u32_e32 v60, 1, v58
	v_add_nc_u32_e32 v61, 1, v59
	s_wait_dscnt 0x0
	v_bfe_i32 v62, v56, 0, 8
	s_delay_alu instid0(VALU_DEP_3) | instskip(SKIP_2) | instid1(VALU_DEP_3)
	v_cndmask_b32_e64 v60, v60, v58, s7
	v_bfe_i32 v58, v57, 0, 8
	v_cndmask_b32_e64 v59, v59, v61, s7
	v_cmp_ge_i32_e64 s8, v60, v22
	s_delay_alu instid0(VALU_DEP_3) | instskip(NEXT) | instid1(VALU_DEP_3)
	v_cmp_lt_i16_e64 s9, v58, v62
	v_cmp_lt_i32_e64 s10, v59, v23
                                        ; implicit-def: $vgpr58
	s_or_b32 s8, s8, s9
	s_wait_alu 0xfffe
	s_and_b32 s8, s10, s8
	s_wait_alu 0xfffe
	s_xor_b32 s9, s8, -1
	s_wait_alu 0xfffe
	s_and_saveexec_b32 s10, s9
	s_delay_alu instid0(SALU_CYCLE_1)
	s_xor_b32 s9, exec_lo, s10
; %bb.71:                               ;   in Loop: Header=BB64_2 Depth=1
	ds_load_u8 v58, v60 offset:1
; %bb.72:                               ;   in Loop: Header=BB64_2 Depth=1
	s_wait_alu 0xfffe
	s_or_saveexec_b32 s9, s9
	v_mov_b32_e32 v61, v57
	s_wait_alu 0xfffe
	s_xor_b32 exec_lo, exec_lo, s9
	s_cbranch_execz .LBB64_74
; %bb.73:                               ;   in Loop: Header=BB64_2 Depth=1
	ds_load_u8 v61, v59 offset:1
	s_wait_dscnt 0x1
	v_mov_b32_e32 v58, v56
.LBB64_74:                              ;   in Loop: Header=BB64_2 Depth=1
	s_or_b32 exec_lo, exec_lo, s9
	v_add_nc_u32_e32 v62, 1, v60
	v_add_nc_u32_e32 v63, 1, v59
	s_wait_dscnt 0x0
	v_bfe_i32 v64, v58, 0, 8
	v_bfe_i32 v65, v61, 0, 8
	v_cndmask_b32_e64 v57, v56, v57, s8
	v_cndmask_b32_e64 v60, v62, v60, s8
	v_mov_b32_e32 v56, v52
	v_cndmask_b32_e64 v59, v59, v63, s8
	v_cmp_lt_i16_e64 s8, v65, v64
	v_cndmask_b32_e64 v54, v54, v55, s7
	v_cmp_ge_i32_e64 s9, v60, v22
	s_wait_loadcnt 0x0
	v_cmp_lt_i32_e64 s7, v59, v23
	s_barrier_signal -1
	s_barrier_wait -1
	s_or_b32 s8, s9, s8
	global_inv scope:SCOPE_SE
	s_wait_alu 0xfffe
	s_and_b32 s7, s7, s8
	s_wait_alu 0xfffe
	v_cndmask_b32_e64 v55, v58, v61, s7
	ds_store_b8 v1, v54
	ds_store_b8 v1, v57 offset:1
	ds_store_b8 v1, v55 offset:2
	s_wait_loadcnt_dscnt 0x0
	s_barrier_signal -1
	s_barrier_wait -1
	global_inv scope:SCOPE_SE
	s_and_saveexec_b32 s8, s6
	s_cbranch_execz .LBB64_78
; %bb.75:                               ;   in Loop: Header=BB64_2 Depth=1
	v_mov_b32_e32 v56, v52
	v_mov_b32_e32 v54, v45
	s_mov_b32 s9, 0
.LBB64_76:                              ;   Parent Loop BB64_2 Depth=1
                                        ; =>  This Inner Loop Header: Depth=2
	s_delay_alu instid0(VALU_DEP_1) | instskip(NEXT) | instid1(VALU_DEP_1)
	v_sub_nc_u32_e32 v55, v54, v56
	v_lshrrev_b32_e32 v55, 1, v55
	s_delay_alu instid0(VALU_DEP_1) | instskip(NEXT) | instid1(VALU_DEP_1)
	v_add_nc_u32_e32 v55, v55, v56
	v_add_nc_u32_e32 v57, v11, v55
	v_xad_u32 v58, v55, -1, v53
	v_add_nc_u32_e32 v59, 1, v55
	ds_load_i8 v57, v57
	ds_load_i8 v58, v58 offset:192
	s_wait_dscnt 0x0
	v_cmp_lt_i16_e64 s7, v58, v57
	s_wait_alu 0xf1ff
	s_delay_alu instid0(VALU_DEP_1) | instskip(SKIP_1) | instid1(VALU_DEP_1)
	v_cndmask_b32_e64 v54, v54, v55, s7
	v_cndmask_b32_e64 v56, v59, v56, s7
	v_cmp_ge_i32_e64 s7, v56, v54
	s_wait_alu 0xfffe
	s_or_b32 s9, s7, s9
	s_wait_alu 0xfffe
	s_and_not1_b32 exec_lo, exec_lo, s9
	s_cbranch_execnz .LBB64_76
; %bb.77:                               ;   in Loop: Header=BB64_2 Depth=1
	s_or_b32 exec_lo, exec_lo, s9
.LBB64_78:                              ;   in Loop: Header=BB64_2 Depth=1
	s_wait_alu 0xfffe
	s_or_b32 exec_lo, exec_lo, s8
	v_add_nc_u32_e32 v58, v56, v11
	v_sub_nc_u32_e32 v60, v53, v56
	v_sub_nc_u32_e32 v59, v38, v56
                                        ; implicit-def: $vgpr56
	ds_load_u8 v54, v58
	ds_load_u8 v55, v60 offset:192
	v_cmp_le_i32_e64 s7, v24, v58
	v_cmp_gt_i32_e64 s9, v25, v59
	s_wait_dscnt 0x1
	v_bfe_i32 v54, v54, 0, 8
	s_wait_dscnt 0x0
	v_bfe_i32 v55, v55, 0, 8
	s_delay_alu instid0(VALU_DEP_1)
	v_cmp_lt_i16_e64 s8, v55, v54
	s_or_b32 s7, s7, s8
	s_wait_alu 0xfffe
	s_and_b32 s7, s9, s7
	s_wait_alu 0xfffe
	s_xor_b32 s8, s7, -1
	s_wait_alu 0xfffe
	s_and_saveexec_b32 s9, s8
	s_wait_alu 0xfffe
	s_xor_b32 s8, exec_lo, s9
; %bb.79:                               ;   in Loop: Header=BB64_2 Depth=1
	ds_load_u8 v56, v58 offset:1
                                        ; implicit-def: $vgpr60
; %bb.80:                               ;   in Loop: Header=BB64_2 Depth=1
	s_wait_alu 0xfffe
	s_or_saveexec_b32 s8, s8
	v_mov_b32_e32 v57, v55
	s_wait_alu 0xfffe
	s_xor_b32 exec_lo, exec_lo, s8
	s_cbranch_execz .LBB64_82
; %bb.81:                               ;   in Loop: Header=BB64_2 Depth=1
	ds_load_u8 v57, v60 offset:193
	s_wait_dscnt 0x1
	v_mov_b32_e32 v56, v54
.LBB64_82:                              ;   in Loop: Header=BB64_2 Depth=1
	s_or_b32 exec_lo, exec_lo, s8
	v_add_nc_u32_e32 v60, 1, v58
	v_add_nc_u32_e32 v61, 1, v59
	s_wait_dscnt 0x0
	v_bfe_i32 v62, v56, 0, 8
	s_delay_alu instid0(VALU_DEP_3) | instskip(SKIP_2) | instid1(VALU_DEP_3)
	v_cndmask_b32_e64 v60, v60, v58, s7
	v_bfe_i32 v58, v57, 0, 8
	v_cndmask_b32_e64 v59, v59, v61, s7
	v_cmp_ge_i32_e64 s8, v60, v24
	s_delay_alu instid0(VALU_DEP_3) | instskip(NEXT) | instid1(VALU_DEP_3)
	v_cmp_lt_i16_e64 s9, v58, v62
	v_cmp_lt_i32_e64 s10, v59, v25
                                        ; implicit-def: $vgpr58
	s_or_b32 s8, s8, s9
	s_wait_alu 0xfffe
	s_and_b32 s8, s10, s8
	s_wait_alu 0xfffe
	s_xor_b32 s9, s8, -1
	s_wait_alu 0xfffe
	s_and_saveexec_b32 s10, s9
	s_delay_alu instid0(SALU_CYCLE_1)
	s_xor_b32 s9, exec_lo, s10
; %bb.83:                               ;   in Loop: Header=BB64_2 Depth=1
	ds_load_u8 v58, v60 offset:1
; %bb.84:                               ;   in Loop: Header=BB64_2 Depth=1
	s_wait_alu 0xfffe
	s_or_saveexec_b32 s9, s9
	v_mov_b32_e32 v61, v57
	s_wait_alu 0xfffe
	s_xor_b32 exec_lo, exec_lo, s9
	s_cbranch_execz .LBB64_86
; %bb.85:                               ;   in Loop: Header=BB64_2 Depth=1
	ds_load_u8 v61, v59 offset:1
	s_wait_dscnt 0x1
	v_mov_b32_e32 v58, v56
.LBB64_86:                              ;   in Loop: Header=BB64_2 Depth=1
	s_or_b32 exec_lo, exec_lo, s9
	v_add_nc_u32_e32 v62, 1, v60
	v_add_nc_u32_e32 v63, 1, v59
	s_wait_dscnt 0x0
	v_bfe_i32 v64, v58, 0, 8
	v_bfe_i32 v65, v61, 0, 8
	v_cndmask_b32_e64 v57, v56, v57, s8
	v_cndmask_b32_e64 v60, v62, v60, s8
	v_mov_b32_e32 v56, v3
	v_cndmask_b32_e64 v59, v59, v63, s8
	v_cmp_lt_i16_e64 s8, v65, v64
	v_cndmask_b32_e64 v54, v54, v55, s7
	v_cmp_ge_i32_e64 s9, v60, v24
	s_wait_loadcnt 0x0
	v_cmp_lt_i32_e64 s7, v59, v25
	s_barrier_signal -1
	s_barrier_wait -1
	s_or_b32 s8, s9, s8
	global_inv scope:SCOPE_SE
	s_wait_alu 0xfffe
	s_and_b32 s7, s7, s8
	s_wait_alu 0xfffe
	v_cndmask_b32_e64 v55, v58, v61, s7
	ds_store_b8 v1, v54
	ds_store_b8 v1, v57 offset:1
	ds_store_b8 v1, v55 offset:2
	s_wait_loadcnt_dscnt 0x0
	s_barrier_signal -1
	s_barrier_wait -1
	global_inv scope:SCOPE_SE
	s_and_saveexec_b32 s8, vcc_lo
	s_cbranch_execz .LBB64_90
; %bb.87:                               ;   in Loop: Header=BB64_2 Depth=1
	v_mov_b32_e32 v56, v3
	v_mov_b32_e32 v54, v4
	s_mov_b32 s9, 0
.LBB64_88:                              ;   Parent Loop BB64_2 Depth=1
                                        ; =>  This Inner Loop Header: Depth=2
	s_delay_alu instid0(VALU_DEP_1) | instskip(NEXT) | instid1(VALU_DEP_1)
	v_sub_nc_u32_e32 v55, v54, v56
	v_lshrrev_b32_e32 v55, 1, v55
	s_delay_alu instid0(VALU_DEP_1) | instskip(NEXT) | instid1(VALU_DEP_1)
	v_add_nc_u32_e32 v55, v55, v56
	v_xad_u32 v57, v55, -1, v1
	v_add_nc_u32_e32 v59, 1, v55
	ds_load_i8 v58, v55
	ds_load_i8 v57, v57 offset:384
	s_wait_dscnt 0x0
	v_cmp_lt_i16_e64 s7, v57, v58
	s_wait_alu 0xf1ff
	s_delay_alu instid0(VALU_DEP_1) | instskip(SKIP_1) | instid1(VALU_DEP_1)
	v_cndmask_b32_e64 v54, v54, v55, s7
	v_cndmask_b32_e64 v56, v59, v56, s7
	v_cmp_ge_i32_e64 s7, v56, v54
	s_wait_alu 0xfffe
	s_or_b32 s9, s7, s9
	s_wait_alu 0xfffe
	s_and_not1_b32 exec_lo, exec_lo, s9
	s_cbranch_execnz .LBB64_88
; %bb.89:                               ;   in Loop: Header=BB64_2 Depth=1
	s_or_b32 exec_lo, exec_lo, s9
.LBB64_90:                              ;   in Loop: Header=BB64_2 Depth=1
	s_wait_alu 0xfffe
	s_or_b32 exec_lo, exec_lo, s8
	v_sub_nc_u32_e32 v60, v1, v56
	v_sub_nc_u32_e32 v59, v2, v56
	v_cmp_le_i32_e64 s7, 0x180, v56
                                        ; implicit-def: $vgpr57
	ds_load_u8 v54, v56
	ds_load_u8 v55, v60 offset:384
	v_cmp_gt_i32_e64 s9, 0x300, v59
	s_wait_dscnt 0x1
	v_bfe_i32 v54, v54, 0, 8
	s_wait_dscnt 0x0
	v_bfe_i32 v55, v55, 0, 8
	s_delay_alu instid0(VALU_DEP_1)
	v_cmp_lt_i16_e64 s8, v55, v54
	s_or_b32 s7, s7, s8
	s_wait_alu 0xfffe
	s_and_b32 s7, s9, s7
	s_wait_alu 0xfffe
	s_xor_b32 s8, s7, -1
	s_wait_alu 0xfffe
	s_and_saveexec_b32 s9, s8
	s_wait_alu 0xfffe
	s_xor_b32 s8, exec_lo, s9
; %bb.91:                               ;   in Loop: Header=BB64_2 Depth=1
	ds_load_u8 v57, v56 offset:1
                                        ; implicit-def: $vgpr60
; %bb.92:                               ;   in Loop: Header=BB64_2 Depth=1
	s_wait_alu 0xfffe
	s_or_saveexec_b32 s8, s8
	v_mov_b32_e32 v58, v55
	s_wait_alu 0xfffe
	s_xor_b32 exec_lo, exec_lo, s8
	s_cbranch_execz .LBB64_94
; %bb.93:                               ;   in Loop: Header=BB64_2 Depth=1
	ds_load_u8 v58, v60 offset:385
	s_wait_dscnt 0x1
	v_mov_b32_e32 v57, v54
.LBB64_94:                              ;   in Loop: Header=BB64_2 Depth=1
	s_or_b32 exec_lo, exec_lo, s8
	v_add_nc_u32_e32 v60, 1, v56
	v_add_nc_u32_e32 v62, 1, v59
	s_wait_dscnt 0x0
	v_bfe_i32 v63, v57, 0, 8
	s_delay_alu instid0(VALU_DEP_3) | instskip(SKIP_2) | instid1(VALU_DEP_3)
	v_cndmask_b32_e64 v61, v60, v56, s7
	v_bfe_i32 v60, v58, 0, 8
	v_cndmask_b32_e64 v56, v59, v62, s7
                                        ; implicit-def: $vgpr59
	v_cmp_le_i32_e64 s8, 0x180, v61
	s_delay_alu instid0(VALU_DEP_3) | instskip(NEXT) | instid1(VALU_DEP_3)
	v_cmp_lt_i16_e64 s9, v60, v63
	v_cmp_gt_i32_e64 s10, 0x300, v56
                                        ; implicit-def: $vgpr60
	s_or_b32 s8, s8, s9
	s_wait_alu 0xfffe
	s_and_b32 s8, s10, s8
	s_wait_alu 0xfffe
	s_xor_b32 s9, s8, -1
	s_wait_alu 0xfffe
	s_and_saveexec_b32 s10, s9
	s_delay_alu instid0(SALU_CYCLE_1)
	s_xor_b32 s9, exec_lo, s10
; %bb.95:                               ;   in Loop: Header=BB64_2 Depth=1
	ds_load_u8 v59, v61 offset:1
	v_add_nc_u32_e32 v60, 1, v61
                                        ; implicit-def: $vgpr61
; %bb.96:                               ;   in Loop: Header=BB64_2 Depth=1
	s_wait_alu 0xfffe
	s_or_saveexec_b32 s9, s9
	v_mov_b32_e32 v62, v58
	s_wait_alu 0xfffe
	s_xor_b32 exec_lo, exec_lo, s9
	s_cbranch_execz .LBB64_1
; %bb.97:                               ;   in Loop: Header=BB64_2 Depth=1
	ds_load_u8 v62, v56 offset:1
	s_wait_dscnt 0x1
	v_dual_mov_b32 v59, v57 :: v_dual_add_nc_u32 v56, 1, v56
	v_mov_b32_e32 v60, v61
	s_branch .LBB64_1
.LBB64_98:
	s_add_nc_u64 s[0:1], s[14:15], s[16:17]
	s_wait_alu 0xfffe
	v_add_co_u32 v0, s0, s0, v0
	s_wait_alu 0xf1ff
	v_add_co_ci_u32_e64 v1, null, s1, 0, s0
	s_clause 0x2
	global_store_b8 v[0:1], v54, off
	global_store_b8 v[0:1], v57, off offset:256
	global_store_b8 v[0:1], v55, off offset:512
	s_endpgm
	.section	.rodata,"a",@progbits
	.p2align	6, 0x0
	.amdhsa_kernel _Z16sort_keys_kernelIaLj256ELj3EN10test_utils4lessELj10EEvPKT_PS2_T2_
		.amdhsa_group_segment_fixed_size 769
		.amdhsa_private_segment_fixed_size 0
		.amdhsa_kernarg_size 20
		.amdhsa_user_sgpr_count 2
		.amdhsa_user_sgpr_dispatch_ptr 0
		.amdhsa_user_sgpr_queue_ptr 0
		.amdhsa_user_sgpr_kernarg_segment_ptr 1
		.amdhsa_user_sgpr_dispatch_id 0
		.amdhsa_user_sgpr_private_segment_size 0
		.amdhsa_wavefront_size32 1
		.amdhsa_uses_dynamic_stack 0
		.amdhsa_enable_private_segment 0
		.amdhsa_system_sgpr_workgroup_id_x 1
		.amdhsa_system_sgpr_workgroup_id_y 0
		.amdhsa_system_sgpr_workgroup_id_z 0
		.amdhsa_system_sgpr_workgroup_info 0
		.amdhsa_system_vgpr_workitem_id 0
		.amdhsa_next_free_vgpr 72
		.amdhsa_next_free_sgpr 18
		.amdhsa_reserve_vcc 1
		.amdhsa_float_round_mode_32 0
		.amdhsa_float_round_mode_16_64 0
		.amdhsa_float_denorm_mode_32 3
		.amdhsa_float_denorm_mode_16_64 3
		.amdhsa_fp16_overflow 0
		.amdhsa_workgroup_processor_mode 1
		.amdhsa_memory_ordered 1
		.amdhsa_forward_progress 1
		.amdhsa_inst_pref_size 52
		.amdhsa_round_robin_scheduling 0
		.amdhsa_exception_fp_ieee_invalid_op 0
		.amdhsa_exception_fp_denorm_src 0
		.amdhsa_exception_fp_ieee_div_zero 0
		.amdhsa_exception_fp_ieee_overflow 0
		.amdhsa_exception_fp_ieee_underflow 0
		.amdhsa_exception_fp_ieee_inexact 0
		.amdhsa_exception_int_div_zero 0
	.end_amdhsa_kernel
	.section	.text._Z16sort_keys_kernelIaLj256ELj3EN10test_utils4lessELj10EEvPKT_PS2_T2_,"axG",@progbits,_Z16sort_keys_kernelIaLj256ELj3EN10test_utils4lessELj10EEvPKT_PS2_T2_,comdat
.Lfunc_end64:
	.size	_Z16sort_keys_kernelIaLj256ELj3EN10test_utils4lessELj10EEvPKT_PS2_T2_, .Lfunc_end64-_Z16sort_keys_kernelIaLj256ELj3EN10test_utils4lessELj10EEvPKT_PS2_T2_
                                        ; -- End function
	.set _Z16sort_keys_kernelIaLj256ELj3EN10test_utils4lessELj10EEvPKT_PS2_T2_.num_vgpr, 72
	.set _Z16sort_keys_kernelIaLj256ELj3EN10test_utils4lessELj10EEvPKT_PS2_T2_.num_agpr, 0
	.set _Z16sort_keys_kernelIaLj256ELj3EN10test_utils4lessELj10EEvPKT_PS2_T2_.numbered_sgpr, 18
	.set _Z16sort_keys_kernelIaLj256ELj3EN10test_utils4lessELj10EEvPKT_PS2_T2_.num_named_barrier, 0
	.set _Z16sort_keys_kernelIaLj256ELj3EN10test_utils4lessELj10EEvPKT_PS2_T2_.private_seg_size, 0
	.set _Z16sort_keys_kernelIaLj256ELj3EN10test_utils4lessELj10EEvPKT_PS2_T2_.uses_vcc, 1
	.set _Z16sort_keys_kernelIaLj256ELj3EN10test_utils4lessELj10EEvPKT_PS2_T2_.uses_flat_scratch, 0
	.set _Z16sort_keys_kernelIaLj256ELj3EN10test_utils4lessELj10EEvPKT_PS2_T2_.has_dyn_sized_stack, 0
	.set _Z16sort_keys_kernelIaLj256ELj3EN10test_utils4lessELj10EEvPKT_PS2_T2_.has_recursion, 0
	.set _Z16sort_keys_kernelIaLj256ELj3EN10test_utils4lessELj10EEvPKT_PS2_T2_.has_indirect_call, 0
	.section	.AMDGPU.csdata,"",@progbits
; Kernel info:
; codeLenInByte = 6616
; TotalNumSgprs: 20
; NumVgprs: 72
; ScratchSize: 0
; MemoryBound: 0
; FloatMode: 240
; IeeeMode: 1
; LDSByteSize: 769 bytes/workgroup (compile time only)
; SGPRBlocks: 0
; VGPRBlocks: 8
; NumSGPRsForWavesPerEU: 20
; NumVGPRsForWavesPerEU: 72
; Occupancy: 16
; WaveLimiterHint : 1
; COMPUTE_PGM_RSRC2:SCRATCH_EN: 0
; COMPUTE_PGM_RSRC2:USER_SGPR: 2
; COMPUTE_PGM_RSRC2:TRAP_HANDLER: 0
; COMPUTE_PGM_RSRC2:TGID_X_EN: 1
; COMPUTE_PGM_RSRC2:TGID_Y_EN: 0
; COMPUTE_PGM_RSRC2:TGID_Z_EN: 0
; COMPUTE_PGM_RSRC2:TIDIG_COMP_CNT: 0
	.section	.text._Z17sort_pairs_kernelIaLj256ELj3EN10test_utils4lessELj10EEvPKT_PS2_T2_,"axG",@progbits,_Z17sort_pairs_kernelIaLj256ELj3EN10test_utils4lessELj10EEvPKT_PS2_T2_,comdat
	.protected	_Z17sort_pairs_kernelIaLj256ELj3EN10test_utils4lessELj10EEvPKT_PS2_T2_ ; -- Begin function _Z17sort_pairs_kernelIaLj256ELj3EN10test_utils4lessELj10EEvPKT_PS2_T2_
	.globl	_Z17sort_pairs_kernelIaLj256ELj3EN10test_utils4lessELj10EEvPKT_PS2_T2_
	.p2align	8
	.type	_Z17sort_pairs_kernelIaLj256ELj3EN10test_utils4lessELj10EEvPKT_PS2_T2_,@function
_Z17sort_pairs_kernelIaLj256ELj3EN10test_utils4lessELj10EEvPKT_PS2_T2_: ; @_Z17sort_pairs_kernelIaLj256ELj3EN10test_utils4lessELj10EEvPKT_PS2_T2_
; %bb.0:
	s_load_b128 s[12:15], s[0:1], 0x0
	s_mul_i32 s16, ttmp9, 0x300
	s_mov_b32 s17, 0
	v_and_b32_e32 v3, 0xfe, v0
	v_and_b32_e32 v5, 0xfc, v0
	;; [unrolled: 1-line block ×5, first 2 shown]
	v_mul_u32_u24_e32 v11, 3, v3
	v_and_b32_e32 v8, 0xe0, v0
	v_mul_u32_u24_e32 v12, 3, v5
	v_mul_u32_u24_e32 v13, 3, v6
	v_and_b32_e32 v9, 0xc0, v0
	v_min_u32_e32 v26, 0x2fd, v11
	v_min_u32_e32 v18, 0x2fa, v11
	v_and_b32_e32 v10, 0x80, v0
	v_cmp_eq_u32_e32 vcc_lo, 1, v4
	v_mul_u32_u24_e32 v14, 3, v7
	v_mul_u32_u24_e32 v15, 3, v8
	v_min_u32_e32 v6, 0x300, v12
	s_wait_kmcnt 0x0
	s_add_nc_u64 s[0:1], s[12:13], s[16:17]
	v_min_u32_e32 v27, 0x2fa, v12
	s_clause 0x2
	global_load_u8 v53, v0, s[0:1]
	global_load_u8 v54, v0, s[0:1] offset:256
	global_load_u8 v57, v0, s[0:1] offset:512
	v_min_u32_e32 v19, 0x2f4, v12
	v_min_u32_e32 v7, 0x300, v13
	;; [unrolled: 1-line block ×4, first 2 shown]
	v_add_nc_u32_e32 v12, 3, v26
	v_add_nc_u32_e32 v13, 6, v18
	v_and_b32_e32 v33, 3, v0
	v_cndmask_b32_e64 v46, 0, 3, vcc_lo
	v_mul_u32_u24_e32 v16, 3, v9
	v_mul_u32_u24_e32 v17, 3, v10
	v_min_u32_e32 v5, 0x300, v11
	v_min_u32_e32 v8, 0x300, v14
	v_min_u32_e32 v29, 0x2e8, v14
	v_min_u32_e32 v21, 0x2d0, v14
	v_min_u32_e32 v9, 0x300, v15
	v_min_u32_e32 v30, 0x2d0, v15
	v_min_u32_e32 v22, 0x2a0, v15
	v_add_nc_u32_e32 v14, 6, v27
	v_add_nc_u32_e32 v15, 12, v19
	v_sub_nc_u32_e32 v55, v13, v12
	v_and_b32_e32 v34, 7, v0
	v_mul_u32_u24_e32 v47, 3, v33
	v_min_u32_e32 v10, 0x300, v16
	v_min_u32_e32 v31, 0x2a0, v16
	v_min_u32_e32 v23, 0x240, v16
	v_min_u32_e32 v11, 0x300, v17
	v_min_u32_e32 v60, 0x240, v17
	v_min_u32_e32 v25, 0x180, v17
	v_add_nc_u32_e32 v16, 12, v28
	v_add_nc_u32_e32 v17, 24, v20
	v_sub_nc_u32_e32 v39, v12, v5
	v_sub_nc_u32_e32 v56, v15, v14
	;; [unrolled: 1-line block ×3, first 2 shown]
	v_cmp_ge_i32_e64 s0, v46, v55
	v_and_b32_e32 v35, 15, v0
	v_mul_u32_u24_e32 v48, 3, v34
	v_add_nc_u32_e32 v18, 24, v29
	v_add_nc_u32_e32 v19, 48, v21
	;; [unrolled: 1-line block ×4, first 2 shown]
	v_sub_nc_u32_e32 v40, v14, v6
	v_sub_nc_u32_e32 v58, v17, v16
	v_min_i32_e32 v39, v46, v39
	v_sub_nc_u32_e32 v66, v47, v56
	v_cndmask_b32_e64 v46, 0, v65, s0
	v_cmp_ge_i32_e64 s0, v47, v56
	v_and_b32_e32 v36, 31, v0
	v_mul_u32_u24_e32 v49, 3, v35
	v_add_nc_u32_e32 v20, 48, v30
	v_add_nc_u32_e32 v21, 0x60, v22
	v_sub_nc_u32_e32 v41, v16, v7
	v_sub_nc_u32_e32 v61, v19, v18
	v_min_i32_e32 v40, v47, v40
	v_sub_nc_u32_e32 v67, v48, v58
	s_wait_alu 0xf1ff
	v_cndmask_b32_e64 v47, 0, v66, s0
	v_cmp_ge_i32_e64 s0, v48, v58
	v_and_b32_e32 v37, 63, v0
	v_mul_u32_u24_e32 v50, 3, v36
	v_add_nc_u32_e32 v22, 0x60, v31
	v_add_nc_u32_e32 v23, 0xc0, v23
	v_sub_nc_u32_e32 v42, v18, v8
	v_sub_nc_u32_e32 v62, v21, v20
	v_min_i32_e32 v41, v48, v41
	v_sub_nc_u32_e32 v68, v49, v61
	s_wait_alu 0xf1ff
	;; [unrolled: 11-line block ×3, first 2 shown]
	v_cndmask_b32_e64 v49, 0, v68, s0
	v_cmp_ge_i32_e64 s0, v50, v62
	v_mul_u32_u24_e32 v52, 3, v59
	v_sub_nc_u32_e32 v44, v22, v10
	v_sub_nc_u32_e32 v64, v25, v24
	v_min_i32_e32 v43, v50, v43
	v_sub_nc_u32_e32 v70, v51, v63
	s_wait_alu 0xf1ff
	v_cndmask_b32_e64 v50, 0, v69, s0
	v_cmp_ge_i32_e64 s0, v51, v63
	v_sub_nc_u32_e32 v45, v24, v11
	v_min_i32_e32 v44, v51, v44
	v_sub_nc_u32_e32 v71, v52, v64
	v_mul_u32_u24_e32 v1, 3, v0
	s_wait_alu 0xf1ff
	v_cndmask_b32_e64 v51, 0, v70, s0
	v_cmp_ge_i32_e64 s0, v52, v64
	v_min_i32_e32 v45, v52, v45
	v_mad_u32_u24 v2, v0, 3, 0x180
	v_subrev_nc_u32_e64 v3, 0x180, v1 clamp
	v_min_i32_e32 v4, 0x180, v1
	s_wait_alu 0xf1ff
	v_cndmask_b32_e64 v52, 0, v71, s0
	v_mad_u32_u24 v27, v33, 3, v27
	v_mad_u32_u24 v28, v34, 3, v28
	;; [unrolled: 1-line block ×11, first 2 shown]
	v_cmp_lt_i32_e64 s0, v46, v39
	v_cmp_lt_i32_e64 s1, v47, v40
	;; [unrolled: 1-line block ×7, first 2 shown]
	s_mov_b32 s18, s17
	v_cmp_lt_i32_e32 vcc_lo, v3, v4
	s_wait_loadcnt 0x2
	v_add_nc_u16 v56, v53, 1
	s_wait_loadcnt 0x1
	v_perm_b32 v58, v53, v54, 0xc0c0004
	s_wait_loadcnt 0x0
	v_lshlrev_b32_e32 v61, 16, v57
	v_add_nc_u16 v55, v54, 1
	v_add_nc_u16 v54, v57, 1
	v_mad_u32_u24 v53, v59, 3, v60
	s_delay_alu instid0(VALU_DEP_4)
	v_or_b32_e32 v58, v58, v61
	s_branch .LBB65_2
.LBB65_1:                               ;   in Loop: Header=BB65_2 Depth=1
	s_or_b32 exec_lo, exec_lo, s9
	s_wait_dscnt 0x0
	s_delay_alu instid0(VALU_DEP_1)
	v_bfe_i32 v68, v66, 0, 8
	v_bfe_i32 v69, v67, 0, 8
	v_cndmask_b32_e64 v60, v59, v60, s7
	v_cndmask_b32_e64 v59, v61, v62, s8
	v_cmp_le_i32_e64 s8, 0x180, v64
	v_cndmask_b32_e64 v58, v57, v58, s7
	v_cmp_lt_i16_e64 s9, v69, v68
	v_cmp_gt_i32_e64 s7, 0x300, v63
	s_wait_loadcnt 0x0
	s_barrier_signal -1
	s_barrier_wait -1
	s_or_b32 s8, s8, s9
	global_inv scope:SCOPE_SE
	s_wait_alu 0xfffe
	s_and_b32 s7, s7, s8
	ds_store_b8 v1, v54
	ds_store_b8 v1, v56 offset:1
	ds_store_b8 v1, v55 offset:2
	s_wait_alu 0xfffe
	v_cndmask_b32_e64 v63, v64, v63, s7
	s_wait_loadcnt_dscnt 0x0
	s_barrier_signal -1
	s_barrier_wait -1
	global_inv scope:SCOPE_SE
	ds_load_u8 v56, v58
	ds_load_u8 v55, v65
	;; [unrolled: 1-line block ×3, first 2 shown]
	v_lshlrev_b16 v61, 8, v59
	v_and_b32_e32 v62, 0xff, v60
	v_cndmask_b32_e64 v57, v66, v67, s7
	s_add_co_i32 s18, s18, 1
	s_delay_alu instid0(SALU_CYCLE_1) | instskip(NEXT) | instid1(VALU_DEP_2)
	s_cmp_eq_u32 s18, 10
	v_or_b32_e32 v58, v62, v61
	s_delay_alu instid0(VALU_DEP_2) | instskip(NEXT) | instid1(VALU_DEP_2)
	v_and_b32_e32 v61, 0xff, v57
	v_and_b32_e32 v58, 0xffff, v58
	s_delay_alu instid0(VALU_DEP_2) | instskip(NEXT) | instid1(VALU_DEP_1)
	v_lshlrev_b32_e32 v61, 16, v61
	v_or_b32_e32 v58, v58, v61
	s_cbranch_scc1 .LBB65_98
.LBB65_2:                               ; =>This Loop Header: Depth=1
                                        ;     Child Loop BB65_4 Depth 2
                                        ;     Child Loop BB65_16 Depth 2
	;; [unrolled: 1-line block ×8, first 2 shown]
	s_delay_alu instid0(VALU_DEP_1) | instskip(SKIP_3) | instid1(VALU_DEP_3)
	v_lshrrev_b32_e32 v57, 8, v58
	v_bfe_i32 v59, v58, 0, 8
	v_perm_b32 v60, v58, v58, 0x7060405
	s_barrier_signal -1
	v_bfe_i32 v57, v57, 0, 8
	s_barrier_wait -1
	global_inv scope:SCOPE_SE
	v_cmp_lt_i16_e64 s9, v57, v59
	v_max_i16 v57, v57, v59
	s_wait_alu 0xf1ff
	s_delay_alu instid0(VALU_DEP_2) | instskip(NEXT) | instid1(VALU_DEP_1)
	v_cndmask_b32_e64 v58, v58, v60, s9
	v_lshrrev_b32_e32 v60, 16, v58
	s_delay_alu instid0(VALU_DEP_1) | instskip(SKIP_1) | instid1(VALU_DEP_2)
	v_bfe_i32 v59, v60, 0, 8
	v_perm_b32 v60, v58, v57, 0x7000604
	v_cmp_lt_i16_e64 s8, v59, v57
	v_min_i16 v57, v59, v57
	s_wait_alu 0xf1ff
	s_delay_alu instid0(VALU_DEP_2) | instskip(NEXT) | instid1(VALU_DEP_2)
	v_cndmask_b32_e64 v58, v58, v60, s8
	v_and_b32_e32 v60, 0xff, v57
	s_delay_alu instid0(VALU_DEP_2) | instskip(NEXT) | instid1(VALU_DEP_1)
	v_lshlrev_b16 v59, 8, v58
	v_or_b32_e32 v59, v60, v59
	v_bfe_i32 v60, v58, 0, 8
	s_delay_alu instid0(VALU_DEP_2) | instskip(NEXT) | instid1(VALU_DEP_2)
	v_and_b32_e32 v59, 0xffff, v59
	v_cmp_lt_i16_e64 s7, v57, v60
	s_delay_alu instid0(VALU_DEP_2) | instskip(SKIP_1) | instid1(VALU_DEP_1)
	v_and_or_b32 v59, 0xffff0000, v58, v59
	s_wait_alu 0xf1ff
	v_cndmask_b32_e64 v57, v58, v59, s7
	v_mov_b32_e32 v59, v46
	s_delay_alu instid0(VALU_DEP_2)
	v_lshrrev_b32_e32 v58, 8, v57
	ds_store_b8 v1, v57
	ds_store_b8 v1, v58 offset:1
	ds_store_b8_d16_hi v1, v57 offset:2
	s_wait_loadcnt_dscnt 0x0
	s_barrier_signal -1
	s_barrier_wait -1
	global_inv scope:SCOPE_SE
	s_and_saveexec_b32 s11, s0
	s_cbranch_execz .LBB65_6
; %bb.3:                                ;   in Loop: Header=BB65_2 Depth=1
	v_mov_b32_e32 v59, v46
	v_mov_b32_e32 v57, v39
	s_mov_b32 s12, 0
.LBB65_4:                               ;   Parent Loop BB65_2 Depth=1
                                        ; =>  This Inner Loop Header: Depth=2
	s_delay_alu instid0(VALU_DEP_1) | instskip(NEXT) | instid1(VALU_DEP_1)
	v_sub_nc_u32_e32 v58, v57, v59
	v_lshrrev_b32_e32 v58, 1, v58
	s_delay_alu instid0(VALU_DEP_1) | instskip(NEXT) | instid1(VALU_DEP_1)
	v_add_nc_u32_e32 v58, v58, v59
	v_add_nc_u32_e32 v60, v5, v58
	v_xad_u32 v61, v58, -1, v26
	v_add_nc_u32_e32 v62, 1, v58
	ds_load_i8 v60, v60
	ds_load_i8 v61, v61 offset:3
	s_wait_dscnt 0x0
	v_cmp_lt_i16_e64 s10, v61, v60
	s_wait_alu 0xf1ff
	s_delay_alu instid0(VALU_DEP_1) | instskip(SKIP_1) | instid1(VALU_DEP_1)
	v_cndmask_b32_e64 v57, v57, v58, s10
	v_cndmask_b32_e64 v59, v62, v59, s10
	v_cmp_ge_i32_e64 s10, v59, v57
	s_or_b32 s12, s10, s12
	s_delay_alu instid0(SALU_CYCLE_1)
	s_and_not1_b32 exec_lo, exec_lo, s12
	s_cbranch_execnz .LBB65_4
; %bb.5:                                ;   in Loop: Header=BB65_2 Depth=1
	s_or_b32 exec_lo, exec_lo, s12
.LBB65_6:                               ;   in Loop: Header=BB65_2 Depth=1
	s_wait_alu 0xfffe
	s_or_b32 exec_lo, exec_lo, s11
	v_add_nc_u32_e32 v61, v59, v5
	v_sub_nc_u32_e32 v63, v26, v59
	v_sub_nc_u32_e32 v62, v32, v59
                                        ; implicit-def: $vgpr59
	ds_load_u8 v57, v61
	ds_load_u8 v58, v63 offset:3
	v_cmp_le_i32_e64 s10, v12, v61
	v_cmp_gt_i32_e64 s12, v13, v62
	s_wait_dscnt 0x1
	v_bfe_i32 v57, v57, 0, 8
	s_wait_dscnt 0x0
	v_bfe_i32 v58, v58, 0, 8
	s_delay_alu instid0(VALU_DEP_1)
	v_cmp_lt_i16_e64 s11, v58, v57
	s_or_b32 s10, s10, s11
	s_wait_alu 0xfffe
	s_and_b32 s10, s12, s10
	s_wait_alu 0xfffe
	s_xor_b32 s11, s10, -1
	s_wait_alu 0xfffe
	s_and_saveexec_b32 s12, s11
	s_delay_alu instid0(SALU_CYCLE_1)
	s_xor_b32 s11, exec_lo, s12
; %bb.7:                                ;   in Loop: Header=BB65_2 Depth=1
	ds_load_u8 v59, v61 offset:1
                                        ; implicit-def: $vgpr63
; %bb.8:                                ;   in Loop: Header=BB65_2 Depth=1
	s_wait_alu 0xfffe
	s_or_saveexec_b32 s11, s11
	v_mov_b32_e32 v60, v58
	s_wait_alu 0xfffe
	s_xor_b32 exec_lo, exec_lo, s11
	s_cbranch_execz .LBB65_10
; %bb.9:                                ;   in Loop: Header=BB65_2 Depth=1
	ds_load_u8 v60, v63 offset:4
	s_wait_dscnt 0x1
	v_mov_b32_e32 v59, v57
.LBB65_10:                              ;   in Loop: Header=BB65_2 Depth=1
	s_or_b32 exec_lo, exec_lo, s11
	v_add_nc_u32_e32 v63, 1, v61
	v_add_nc_u32_e32 v64, 1, v62
	s_wait_dscnt 0x0
	v_bfe_i32 v66, v59, 0, 8
	s_delay_alu instid0(VALU_DEP_3) | instskip(SKIP_2) | instid1(VALU_DEP_3)
	v_cndmask_b32_e64 v65, v63, v61, s10
	v_bfe_i32 v63, v60, 0, 8
	v_cndmask_b32_e64 v64, v62, v64, s10
	v_cmp_ge_i32_e64 s11, v65, v12
	s_delay_alu instid0(VALU_DEP_3) | instskip(NEXT) | instid1(VALU_DEP_3)
	v_cmp_lt_i16_e64 s12, v63, v66
	v_cmp_lt_i32_e64 s13, v64, v13
                                        ; implicit-def: $vgpr63
	s_or_b32 s11, s11, s12
	s_wait_alu 0xfffe
	s_and_b32 s11, s13, s11
	s_wait_alu 0xfffe
	s_xor_b32 s12, s11, -1
	s_delay_alu instid0(SALU_CYCLE_1) | instskip(NEXT) | instid1(SALU_CYCLE_1)
	s_and_saveexec_b32 s13, s12
	s_xor_b32 s12, exec_lo, s13
; %bb.11:                               ;   in Loop: Header=BB65_2 Depth=1
	ds_load_u8 v63, v65 offset:1
; %bb.12:                               ;   in Loop: Header=BB65_2 Depth=1
	s_or_saveexec_b32 s12, s12
	v_mov_b32_e32 v66, v60
	s_xor_b32 exec_lo, exec_lo, s12
	s_cbranch_execz .LBB65_14
; %bb.13:                               ;   in Loop: Header=BB65_2 Depth=1
	ds_load_u8 v66, v64 offset:1
	s_wait_dscnt 0x1
	v_mov_b32_e32 v63, v59
.LBB65_14:                              ;   in Loop: Header=BB65_2 Depth=1
	s_or_b32 exec_lo, exec_lo, s12
	v_perm_b32 v67, v55, v56, 0xc0c0004
	v_perm_b32 v55, v56, v55, 0xc0c0004
	v_and_b32_e32 v56, 0xff, v54
	v_cndmask_b32_e64 v61, v61, v62, s10
	s_wait_dscnt 0x0
	v_bfe_i32 v68, v63, 0, 8
	v_bfe_i32 v69, v66, 0, 8
	v_cndmask_b32_e64 v55, v55, v67, s9
	v_lshlrev_b32_e32 v56, 16, v56
	s_wait_loadcnt 0x0
	s_barrier_signal -1
	s_barrier_wait -1
	v_lshrrev_b16 v67, 8, v55
	v_perm_b32 v54, v55, v54, 0xc0c0004
	v_or_b32_e32 v55, v55, v56
	v_add_nc_u32_e32 v56, 1, v65
	global_inv scope:SCOPE_SE
	v_lshlrev_b32_e32 v67, 16, v67
	v_cndmask_b32_e64 v57, v57, v58, s10
	v_cndmask_b32_e64 v59, v59, v60, s11
	;; [unrolled: 1-line block ×3, first 2 shown]
	s_delay_alu instid0(VALU_DEP_4) | instskip(SKIP_1) | instid1(VALU_DEP_3)
	v_or_b32_e32 v54, v54, v67
	v_cndmask_b32_e64 v67, v65, v64, s11
	v_cmp_ge_i32_e64 s9, v56, v12
	s_delay_alu instid0(VALU_DEP_3) | instskip(SKIP_2) | instid1(VALU_DEP_3)
	v_cndmask_b32_e64 v54, v55, v54, s8
	v_add_nc_u32_e32 v55, 1, v64
	v_cmp_lt_i16_e64 s8, v69, v68
	v_perm_b32 v62, 0, v54, 0xc0c0001
	s_delay_alu instid0(VALU_DEP_3) | instskip(SKIP_1) | instid1(VALU_DEP_2)
	v_cndmask_b32_e64 v55, v64, v55, s11
	s_or_b32 s8, s9, s8
	v_and_or_b32 v62, 0xff0000, v54, v62
	s_delay_alu instid0(VALU_DEP_1) | instskip(NEXT) | instid1(VALU_DEP_3)
	v_cndmask_b32_e64 v54, v54, v62, s7
	v_cmp_lt_i32_e64 s7, v55, v13
	s_delay_alu instid0(VALU_DEP_2)
	v_lshrrev_b32_e32 v62, 8, v54
	s_wait_alu 0xfffe
	s_and_b32 s7, s7, s8
	ds_store_b8 v1, v54
	ds_store_b8 v1, v62 offset:1
	ds_store_b8_d16_hi v1, v54 offset:2
	s_wait_alu 0xfffe
	v_cndmask_b32_e64 v55, v56, v55, s7
	s_wait_loadcnt_dscnt 0x0
	s_barrier_signal -1
	s_barrier_wait -1
	global_inv scope:SCOPE_SE
	ds_load_u8 v54, v61
	ds_load_u8 v55, v55
	;; [unrolled: 1-line block ×3, first 2 shown]
	v_cndmask_b32_e64 v63, v63, v66, s7
	s_wait_loadcnt_dscnt 0x0
	s_barrier_signal -1
	s_barrier_wait -1
	global_inv scope:SCOPE_SE
	ds_store_b8 v1, v57
	ds_store_b8 v1, v59 offset:1
	ds_store_b8 v1, v63 offset:2
	v_mov_b32_e32 v59, v47
	s_wait_loadcnt_dscnt 0x0
	s_barrier_signal -1
	s_barrier_wait -1
	global_inv scope:SCOPE_SE
	s_and_saveexec_b32 s8, s1
	s_cbranch_execz .LBB65_18
; %bb.15:                               ;   in Loop: Header=BB65_2 Depth=1
	v_mov_b32_e32 v59, v47
	v_mov_b32_e32 v57, v40
	s_mov_b32 s9, 0
.LBB65_16:                              ;   Parent Loop BB65_2 Depth=1
                                        ; =>  This Inner Loop Header: Depth=2
	s_delay_alu instid0(VALU_DEP_1) | instskip(NEXT) | instid1(VALU_DEP_1)
	v_sub_nc_u32_e32 v58, v57, v59
	v_lshrrev_b32_e32 v58, 1, v58
	s_delay_alu instid0(VALU_DEP_1) | instskip(NEXT) | instid1(VALU_DEP_1)
	v_add_nc_u32_e32 v58, v58, v59
	v_add_nc_u32_e32 v60, v6, v58
	v_xad_u32 v61, v58, -1, v27
	v_add_nc_u32_e32 v62, 1, v58
	ds_load_i8 v60, v60
	ds_load_i8 v61, v61 offset:6
	s_wait_dscnt 0x0
	v_cmp_lt_i16_e64 s7, v61, v60
	s_wait_alu 0xf1ff
	s_delay_alu instid0(VALU_DEP_1) | instskip(SKIP_1) | instid1(VALU_DEP_1)
	v_cndmask_b32_e64 v57, v57, v58, s7
	v_cndmask_b32_e64 v59, v62, v59, s7
	v_cmp_ge_i32_e64 s7, v59, v57
	s_wait_alu 0xfffe
	s_or_b32 s9, s7, s9
	s_wait_alu 0xfffe
	s_and_not1_b32 exec_lo, exec_lo, s9
	s_cbranch_execnz .LBB65_16
; %bb.17:                               ;   in Loop: Header=BB65_2 Depth=1
	s_or_b32 exec_lo, exec_lo, s9
.LBB65_18:                              ;   in Loop: Header=BB65_2 Depth=1
	s_wait_alu 0xfffe
	s_or_b32 exec_lo, exec_lo, s8
	v_add_nc_u32_e32 v60, v59, v6
	v_sub_nc_u32_e32 v63, v27, v59
	v_sub_nc_u32_e32 v62, v33, v59
                                        ; implicit-def: $vgpr59
	ds_load_u8 v57, v60
	ds_load_u8 v58, v63 offset:6
	v_cmp_le_i32_e64 s7, v14, v60
	v_cmp_gt_i32_e64 s9, v15, v62
	s_wait_dscnt 0x1
	v_bfe_i32 v57, v57, 0, 8
	s_wait_dscnt 0x0
	v_bfe_i32 v58, v58, 0, 8
	s_delay_alu instid0(VALU_DEP_1)
	v_cmp_lt_i16_e64 s8, v58, v57
	s_or_b32 s7, s7, s8
	s_wait_alu 0xfffe
	s_and_b32 s7, s9, s7
	s_wait_alu 0xfffe
	s_xor_b32 s8, s7, -1
	s_wait_alu 0xfffe
	s_and_saveexec_b32 s9, s8
	s_wait_alu 0xfffe
	s_xor_b32 s8, exec_lo, s9
; %bb.19:                               ;   in Loop: Header=BB65_2 Depth=1
	ds_load_u8 v59, v60 offset:1
                                        ; implicit-def: $vgpr63
; %bb.20:                               ;   in Loop: Header=BB65_2 Depth=1
	s_wait_alu 0xfffe
	s_or_saveexec_b32 s8, s8
	v_mov_b32_e32 v61, v58
	s_wait_alu 0xfffe
	s_xor_b32 exec_lo, exec_lo, s8
	s_cbranch_execz .LBB65_22
; %bb.21:                               ;   in Loop: Header=BB65_2 Depth=1
	ds_load_u8 v61, v63 offset:7
	s_wait_dscnt 0x1
	v_mov_b32_e32 v59, v57
.LBB65_22:                              ;   in Loop: Header=BB65_2 Depth=1
	s_or_b32 exec_lo, exec_lo, s8
	v_add_nc_u32_e32 v63, 1, v60
	v_add_nc_u32_e32 v65, 1, v62
	s_wait_dscnt 0x0
	v_bfe_i32 v66, v59, 0, 8
	s_delay_alu instid0(VALU_DEP_3) | instskip(SKIP_2) | instid1(VALU_DEP_3)
	v_cndmask_b32_e64 v64, v63, v60, s7
	v_bfe_i32 v63, v61, 0, 8
	v_cndmask_b32_e64 v65, v62, v65, s7
	v_cmp_ge_i32_e64 s8, v64, v14
	s_delay_alu instid0(VALU_DEP_3) | instskip(NEXT) | instid1(VALU_DEP_3)
	v_cmp_lt_i16_e64 s9, v63, v66
	v_cmp_lt_i32_e64 s10, v65, v15
                                        ; implicit-def: $vgpr63
	s_or_b32 s8, s8, s9
	s_wait_alu 0xfffe
	s_and_b32 s8, s10, s8
	s_wait_alu 0xfffe
	s_xor_b32 s9, s8, -1
	s_wait_alu 0xfffe
	s_and_saveexec_b32 s10, s9
	s_wait_alu 0xfffe
	s_xor_b32 s9, exec_lo, s10
; %bb.23:                               ;   in Loop: Header=BB65_2 Depth=1
	ds_load_u8 v63, v64 offset:1
; %bb.24:                               ;   in Loop: Header=BB65_2 Depth=1
	s_wait_alu 0xfffe
	s_or_saveexec_b32 s9, s9
	v_mov_b32_e32 v66, v61
	s_wait_alu 0xfffe
	s_xor_b32 exec_lo, exec_lo, s9
	s_cbranch_execz .LBB65_26
; %bb.25:                               ;   in Loop: Header=BB65_2 Depth=1
	ds_load_u8 v66, v65 offset:1
	s_wait_dscnt 0x1
	v_mov_b32_e32 v63, v59
.LBB65_26:                              ;   in Loop: Header=BB65_2 Depth=1
	s_or_b32 exec_lo, exec_lo, s9
	v_add_nc_u32_e32 v67, 1, v64
	v_add_nc_u32_e32 v68, 1, v65
	s_wait_dscnt 0x0
	v_bfe_i32 v69, v63, 0, 8
	v_bfe_i32 v70, v66, 0, 8
	v_cndmask_b32_e64 v60, v60, v62, s7
	v_cndmask_b32_e64 v67, v67, v64, s8
	;; [unrolled: 1-line block ×4, first 2 shown]
	v_cmp_lt_i16_e64 s9, v70, v69
	s_wait_loadcnt 0x0
	v_cmp_ge_i32_e64 s10, v67, v14
	s_barrier_signal -1
	v_cmp_lt_i32_e64 s11, v65, v15
	s_barrier_wait -1
	global_inv scope:SCOPE_SE
	s_or_b32 s9, s10, s9
	ds_store_b8 v1, v54
	ds_store_b8 v1, v56 offset:1
	ds_store_b8 v1, v55 offset:2
	s_wait_alu 0xfffe
	s_and_b32 s9, s11, s9
	s_wait_loadcnt_dscnt 0x0
	s_wait_alu 0xfffe
	v_cndmask_b32_e64 v62, v63, v66, s9
	v_cndmask_b32_e64 v63, v67, v65, s9
	s_barrier_signal -1
	s_barrier_wait -1
	global_inv scope:SCOPE_SE
	ds_load_u8 v54, v60
	ds_load_u8 v55, v63
	ds_load_u8 v56, v64
	v_cndmask_b32_e64 v57, v57, v58, s7
	v_cndmask_b32_e64 v59, v59, v61, s8
	s_wait_loadcnt_dscnt 0x0
	s_barrier_signal -1
	s_barrier_wait -1
	global_inv scope:SCOPE_SE
	ds_store_b8 v1, v57
	ds_store_b8 v1, v59 offset:1
	ds_store_b8 v1, v62 offset:2
	v_mov_b32_e32 v59, v48
	s_wait_loadcnt_dscnt 0x0
	s_barrier_signal -1
	s_barrier_wait -1
	global_inv scope:SCOPE_SE
	s_and_saveexec_b32 s8, s2
	s_cbranch_execz .LBB65_30
; %bb.27:                               ;   in Loop: Header=BB65_2 Depth=1
	v_mov_b32_e32 v59, v48
	v_mov_b32_e32 v57, v41
	s_mov_b32 s9, 0
.LBB65_28:                              ;   Parent Loop BB65_2 Depth=1
                                        ; =>  This Inner Loop Header: Depth=2
	s_delay_alu instid0(VALU_DEP_1) | instskip(NEXT) | instid1(VALU_DEP_1)
	v_sub_nc_u32_e32 v58, v57, v59
	v_lshrrev_b32_e32 v58, 1, v58
	s_delay_alu instid0(VALU_DEP_1) | instskip(NEXT) | instid1(VALU_DEP_1)
	v_add_nc_u32_e32 v58, v58, v59
	v_add_nc_u32_e32 v60, v7, v58
	v_xad_u32 v61, v58, -1, v28
	v_add_nc_u32_e32 v62, 1, v58
	ds_load_i8 v60, v60
	ds_load_i8 v61, v61 offset:12
	s_wait_dscnt 0x0
	v_cmp_lt_i16_e64 s7, v61, v60
	s_wait_alu 0xf1ff
	s_delay_alu instid0(VALU_DEP_1) | instskip(SKIP_1) | instid1(VALU_DEP_1)
	v_cndmask_b32_e64 v57, v57, v58, s7
	v_cndmask_b32_e64 v59, v62, v59, s7
	v_cmp_ge_i32_e64 s7, v59, v57
	s_wait_alu 0xfffe
	s_or_b32 s9, s7, s9
	s_wait_alu 0xfffe
	s_and_not1_b32 exec_lo, exec_lo, s9
	s_cbranch_execnz .LBB65_28
; %bb.29:                               ;   in Loop: Header=BB65_2 Depth=1
	s_or_b32 exec_lo, exec_lo, s9
.LBB65_30:                              ;   in Loop: Header=BB65_2 Depth=1
	s_wait_alu 0xfffe
	s_or_b32 exec_lo, exec_lo, s8
	v_add_nc_u32_e32 v60, v59, v7
	v_sub_nc_u32_e32 v63, v28, v59
	v_sub_nc_u32_e32 v62, v34, v59
                                        ; implicit-def: $vgpr59
	ds_load_u8 v57, v60
	ds_load_u8 v58, v63 offset:12
	v_cmp_le_i32_e64 s7, v16, v60
	v_cmp_gt_i32_e64 s9, v17, v62
	s_wait_dscnt 0x1
	v_bfe_i32 v57, v57, 0, 8
	s_wait_dscnt 0x0
	v_bfe_i32 v58, v58, 0, 8
	s_delay_alu instid0(VALU_DEP_1)
	v_cmp_lt_i16_e64 s8, v58, v57
	s_or_b32 s7, s7, s8
	s_wait_alu 0xfffe
	s_and_b32 s7, s9, s7
	s_wait_alu 0xfffe
	s_xor_b32 s8, s7, -1
	s_wait_alu 0xfffe
	s_and_saveexec_b32 s9, s8
	s_wait_alu 0xfffe
	s_xor_b32 s8, exec_lo, s9
; %bb.31:                               ;   in Loop: Header=BB65_2 Depth=1
	ds_load_u8 v59, v60 offset:1
                                        ; implicit-def: $vgpr63
; %bb.32:                               ;   in Loop: Header=BB65_2 Depth=1
	s_wait_alu 0xfffe
	s_or_saveexec_b32 s8, s8
	v_mov_b32_e32 v61, v58
	s_wait_alu 0xfffe
	s_xor_b32 exec_lo, exec_lo, s8
	s_cbranch_execz .LBB65_34
; %bb.33:                               ;   in Loop: Header=BB65_2 Depth=1
	ds_load_u8 v61, v63 offset:13
	s_wait_dscnt 0x1
	v_mov_b32_e32 v59, v57
.LBB65_34:                              ;   in Loop: Header=BB65_2 Depth=1
	s_or_b32 exec_lo, exec_lo, s8
	v_add_nc_u32_e32 v63, 1, v60
	v_add_nc_u32_e32 v65, 1, v62
	s_wait_dscnt 0x0
	v_bfe_i32 v66, v59, 0, 8
	s_delay_alu instid0(VALU_DEP_3) | instskip(SKIP_2) | instid1(VALU_DEP_3)
	v_cndmask_b32_e64 v64, v63, v60, s7
	v_bfe_i32 v63, v61, 0, 8
	v_cndmask_b32_e64 v65, v62, v65, s7
	v_cmp_ge_i32_e64 s8, v64, v16
	s_delay_alu instid0(VALU_DEP_3) | instskip(NEXT) | instid1(VALU_DEP_3)
	v_cmp_lt_i16_e64 s9, v63, v66
	v_cmp_lt_i32_e64 s10, v65, v17
                                        ; implicit-def: $vgpr63
	s_or_b32 s8, s8, s9
	s_wait_alu 0xfffe
	s_and_b32 s8, s10, s8
	s_wait_alu 0xfffe
	s_xor_b32 s9, s8, -1
	s_wait_alu 0xfffe
	s_and_saveexec_b32 s10, s9
	s_wait_alu 0xfffe
	s_xor_b32 s9, exec_lo, s10
; %bb.35:                               ;   in Loop: Header=BB65_2 Depth=1
	ds_load_u8 v63, v64 offset:1
; %bb.36:                               ;   in Loop: Header=BB65_2 Depth=1
	s_wait_alu 0xfffe
	s_or_saveexec_b32 s9, s9
	v_mov_b32_e32 v66, v61
	s_wait_alu 0xfffe
	s_xor_b32 exec_lo, exec_lo, s9
	s_cbranch_execz .LBB65_38
; %bb.37:                               ;   in Loop: Header=BB65_2 Depth=1
	ds_load_u8 v66, v65 offset:1
	s_wait_dscnt 0x1
	v_mov_b32_e32 v63, v59
.LBB65_38:                              ;   in Loop: Header=BB65_2 Depth=1
	s_or_b32 exec_lo, exec_lo, s9
	v_add_nc_u32_e32 v67, 1, v64
	v_add_nc_u32_e32 v68, 1, v65
	s_wait_dscnt 0x0
	v_bfe_i32 v69, v63, 0, 8
	v_bfe_i32 v70, v66, 0, 8
	v_cndmask_b32_e64 v60, v60, v62, s7
	v_cndmask_b32_e64 v67, v67, v64, s8
	;; [unrolled: 1-line block ×4, first 2 shown]
	v_cmp_lt_i16_e64 s9, v70, v69
	s_wait_loadcnt 0x0
	v_cmp_ge_i32_e64 s10, v67, v16
	s_barrier_signal -1
	v_cmp_lt_i32_e64 s11, v65, v17
	s_barrier_wait -1
	global_inv scope:SCOPE_SE
	s_or_b32 s9, s10, s9
	ds_store_b8 v1, v54
	ds_store_b8 v1, v56 offset:1
	ds_store_b8 v1, v55 offset:2
	s_wait_alu 0xfffe
	s_and_b32 s9, s11, s9
	s_wait_loadcnt_dscnt 0x0
	s_wait_alu 0xfffe
	v_cndmask_b32_e64 v62, v63, v66, s9
	v_cndmask_b32_e64 v63, v67, v65, s9
	s_barrier_signal -1
	s_barrier_wait -1
	global_inv scope:SCOPE_SE
	ds_load_u8 v54, v60
	ds_load_u8 v55, v63
	;; [unrolled: 1-line block ×3, first 2 shown]
	v_cndmask_b32_e64 v57, v57, v58, s7
	v_cndmask_b32_e64 v59, v59, v61, s8
	s_wait_loadcnt_dscnt 0x0
	s_barrier_signal -1
	s_barrier_wait -1
	global_inv scope:SCOPE_SE
	ds_store_b8 v1, v57
	ds_store_b8 v1, v59 offset:1
	ds_store_b8 v1, v62 offset:2
	v_mov_b32_e32 v59, v49
	s_wait_loadcnt_dscnt 0x0
	s_barrier_signal -1
	s_barrier_wait -1
	global_inv scope:SCOPE_SE
	s_and_saveexec_b32 s8, s3
	s_cbranch_execz .LBB65_42
; %bb.39:                               ;   in Loop: Header=BB65_2 Depth=1
	v_mov_b32_e32 v59, v49
	v_mov_b32_e32 v57, v42
	s_mov_b32 s9, 0
.LBB65_40:                              ;   Parent Loop BB65_2 Depth=1
                                        ; =>  This Inner Loop Header: Depth=2
	s_delay_alu instid0(VALU_DEP_1) | instskip(NEXT) | instid1(VALU_DEP_1)
	v_sub_nc_u32_e32 v58, v57, v59
	v_lshrrev_b32_e32 v58, 1, v58
	s_delay_alu instid0(VALU_DEP_1) | instskip(NEXT) | instid1(VALU_DEP_1)
	v_add_nc_u32_e32 v58, v58, v59
	v_add_nc_u32_e32 v60, v8, v58
	v_xad_u32 v61, v58, -1, v29
	v_add_nc_u32_e32 v62, 1, v58
	ds_load_i8 v60, v60
	ds_load_i8 v61, v61 offset:24
	s_wait_dscnt 0x0
	v_cmp_lt_i16_e64 s7, v61, v60
	s_wait_alu 0xf1ff
	s_delay_alu instid0(VALU_DEP_1) | instskip(SKIP_1) | instid1(VALU_DEP_1)
	v_cndmask_b32_e64 v57, v57, v58, s7
	v_cndmask_b32_e64 v59, v62, v59, s7
	v_cmp_ge_i32_e64 s7, v59, v57
	s_wait_alu 0xfffe
	s_or_b32 s9, s7, s9
	s_wait_alu 0xfffe
	s_and_not1_b32 exec_lo, exec_lo, s9
	s_cbranch_execnz .LBB65_40
; %bb.41:                               ;   in Loop: Header=BB65_2 Depth=1
	s_or_b32 exec_lo, exec_lo, s9
.LBB65_42:                              ;   in Loop: Header=BB65_2 Depth=1
	s_wait_alu 0xfffe
	s_or_b32 exec_lo, exec_lo, s8
	v_add_nc_u32_e32 v60, v59, v8
	v_sub_nc_u32_e32 v63, v29, v59
	v_sub_nc_u32_e32 v62, v35, v59
                                        ; implicit-def: $vgpr59
	ds_load_u8 v57, v60
	ds_load_u8 v58, v63 offset:24
	v_cmp_le_i32_e64 s7, v18, v60
	v_cmp_gt_i32_e64 s9, v19, v62
	s_wait_dscnt 0x1
	v_bfe_i32 v57, v57, 0, 8
	s_wait_dscnt 0x0
	v_bfe_i32 v58, v58, 0, 8
	s_delay_alu instid0(VALU_DEP_1)
	v_cmp_lt_i16_e64 s8, v58, v57
	s_or_b32 s7, s7, s8
	s_wait_alu 0xfffe
	s_and_b32 s7, s9, s7
	s_wait_alu 0xfffe
	s_xor_b32 s8, s7, -1
	s_wait_alu 0xfffe
	s_and_saveexec_b32 s9, s8
	s_wait_alu 0xfffe
	s_xor_b32 s8, exec_lo, s9
; %bb.43:                               ;   in Loop: Header=BB65_2 Depth=1
	ds_load_u8 v59, v60 offset:1
                                        ; implicit-def: $vgpr63
; %bb.44:                               ;   in Loop: Header=BB65_2 Depth=1
	s_wait_alu 0xfffe
	s_or_saveexec_b32 s8, s8
	v_mov_b32_e32 v61, v58
	s_wait_alu 0xfffe
	s_xor_b32 exec_lo, exec_lo, s8
	s_cbranch_execz .LBB65_46
; %bb.45:                               ;   in Loop: Header=BB65_2 Depth=1
	ds_load_u8 v61, v63 offset:25
	s_wait_dscnt 0x1
	v_mov_b32_e32 v59, v57
.LBB65_46:                              ;   in Loop: Header=BB65_2 Depth=1
	s_or_b32 exec_lo, exec_lo, s8
	v_add_nc_u32_e32 v63, 1, v60
	v_add_nc_u32_e32 v65, 1, v62
	s_wait_dscnt 0x0
	v_bfe_i32 v66, v59, 0, 8
	s_delay_alu instid0(VALU_DEP_3) | instskip(SKIP_2) | instid1(VALU_DEP_3)
	v_cndmask_b32_e64 v64, v63, v60, s7
	v_bfe_i32 v63, v61, 0, 8
	v_cndmask_b32_e64 v65, v62, v65, s7
	v_cmp_ge_i32_e64 s8, v64, v18
	s_delay_alu instid0(VALU_DEP_3) | instskip(NEXT) | instid1(VALU_DEP_3)
	v_cmp_lt_i16_e64 s9, v63, v66
	v_cmp_lt_i32_e64 s10, v65, v19
                                        ; implicit-def: $vgpr63
	s_or_b32 s8, s8, s9
	s_wait_alu 0xfffe
	s_and_b32 s8, s10, s8
	s_wait_alu 0xfffe
	s_xor_b32 s9, s8, -1
	s_wait_alu 0xfffe
	s_and_saveexec_b32 s10, s9
	s_wait_alu 0xfffe
	s_xor_b32 s9, exec_lo, s10
; %bb.47:                               ;   in Loop: Header=BB65_2 Depth=1
	ds_load_u8 v63, v64 offset:1
; %bb.48:                               ;   in Loop: Header=BB65_2 Depth=1
	s_wait_alu 0xfffe
	s_or_saveexec_b32 s9, s9
	v_mov_b32_e32 v66, v61
	s_wait_alu 0xfffe
	s_xor_b32 exec_lo, exec_lo, s9
	s_cbranch_execz .LBB65_50
; %bb.49:                               ;   in Loop: Header=BB65_2 Depth=1
	ds_load_u8 v66, v65 offset:1
	s_wait_dscnt 0x1
	v_mov_b32_e32 v63, v59
.LBB65_50:                              ;   in Loop: Header=BB65_2 Depth=1
	s_or_b32 exec_lo, exec_lo, s9
	v_add_nc_u32_e32 v67, 1, v64
	v_add_nc_u32_e32 v68, 1, v65
	s_wait_dscnt 0x0
	v_bfe_i32 v69, v63, 0, 8
	v_bfe_i32 v70, v66, 0, 8
	v_cndmask_b32_e64 v60, v60, v62, s7
	v_cndmask_b32_e64 v67, v67, v64, s8
	;; [unrolled: 1-line block ×4, first 2 shown]
	v_cmp_lt_i16_e64 s9, v70, v69
	s_wait_loadcnt 0x0
	v_cmp_ge_i32_e64 s10, v67, v18
	s_barrier_signal -1
	v_cmp_lt_i32_e64 s11, v65, v19
	s_barrier_wait -1
	global_inv scope:SCOPE_SE
	s_or_b32 s9, s10, s9
	ds_store_b8 v1, v54
	ds_store_b8 v1, v56 offset:1
	ds_store_b8 v1, v55 offset:2
	s_wait_alu 0xfffe
	s_and_b32 s9, s11, s9
	s_wait_loadcnt_dscnt 0x0
	s_wait_alu 0xfffe
	v_cndmask_b32_e64 v62, v63, v66, s9
	v_cndmask_b32_e64 v63, v67, v65, s9
	s_barrier_signal -1
	s_barrier_wait -1
	global_inv scope:SCOPE_SE
	ds_load_u8 v54, v60
	ds_load_u8 v55, v63
	;; [unrolled: 1-line block ×3, first 2 shown]
	v_cndmask_b32_e64 v57, v57, v58, s7
	v_cndmask_b32_e64 v59, v59, v61, s8
	s_wait_loadcnt_dscnt 0x0
	s_barrier_signal -1
	s_barrier_wait -1
	global_inv scope:SCOPE_SE
	ds_store_b8 v1, v57
	ds_store_b8 v1, v59 offset:1
	ds_store_b8 v1, v62 offset:2
	v_mov_b32_e32 v59, v50
	s_wait_loadcnt_dscnt 0x0
	s_barrier_signal -1
	s_barrier_wait -1
	global_inv scope:SCOPE_SE
	s_and_saveexec_b32 s8, s4
	s_cbranch_execz .LBB65_54
; %bb.51:                               ;   in Loop: Header=BB65_2 Depth=1
	v_mov_b32_e32 v59, v50
	v_mov_b32_e32 v57, v43
	s_mov_b32 s9, 0
.LBB65_52:                              ;   Parent Loop BB65_2 Depth=1
                                        ; =>  This Inner Loop Header: Depth=2
	s_delay_alu instid0(VALU_DEP_1) | instskip(NEXT) | instid1(VALU_DEP_1)
	v_sub_nc_u32_e32 v58, v57, v59
	v_lshrrev_b32_e32 v58, 1, v58
	s_delay_alu instid0(VALU_DEP_1) | instskip(NEXT) | instid1(VALU_DEP_1)
	v_add_nc_u32_e32 v58, v58, v59
	v_add_nc_u32_e32 v60, v9, v58
	v_xad_u32 v61, v58, -1, v30
	v_add_nc_u32_e32 v62, 1, v58
	ds_load_i8 v60, v60
	ds_load_i8 v61, v61 offset:48
	s_wait_dscnt 0x0
	v_cmp_lt_i16_e64 s7, v61, v60
	s_wait_alu 0xf1ff
	s_delay_alu instid0(VALU_DEP_1) | instskip(SKIP_1) | instid1(VALU_DEP_1)
	v_cndmask_b32_e64 v57, v57, v58, s7
	v_cndmask_b32_e64 v59, v62, v59, s7
	v_cmp_ge_i32_e64 s7, v59, v57
	s_wait_alu 0xfffe
	s_or_b32 s9, s7, s9
	s_wait_alu 0xfffe
	s_and_not1_b32 exec_lo, exec_lo, s9
	s_cbranch_execnz .LBB65_52
; %bb.53:                               ;   in Loop: Header=BB65_2 Depth=1
	s_or_b32 exec_lo, exec_lo, s9
.LBB65_54:                              ;   in Loop: Header=BB65_2 Depth=1
	s_wait_alu 0xfffe
	s_or_b32 exec_lo, exec_lo, s8
	v_add_nc_u32_e32 v60, v59, v9
	v_sub_nc_u32_e32 v63, v30, v59
	v_sub_nc_u32_e32 v62, v36, v59
                                        ; implicit-def: $vgpr59
	ds_load_u8 v57, v60
	ds_load_u8 v58, v63 offset:48
	v_cmp_le_i32_e64 s7, v20, v60
	v_cmp_gt_i32_e64 s9, v21, v62
	s_wait_dscnt 0x1
	v_bfe_i32 v57, v57, 0, 8
	s_wait_dscnt 0x0
	v_bfe_i32 v58, v58, 0, 8
	s_delay_alu instid0(VALU_DEP_1)
	v_cmp_lt_i16_e64 s8, v58, v57
	s_or_b32 s7, s7, s8
	s_wait_alu 0xfffe
	s_and_b32 s7, s9, s7
	s_wait_alu 0xfffe
	s_xor_b32 s8, s7, -1
	s_wait_alu 0xfffe
	s_and_saveexec_b32 s9, s8
	s_wait_alu 0xfffe
	s_xor_b32 s8, exec_lo, s9
; %bb.55:                               ;   in Loop: Header=BB65_2 Depth=1
	ds_load_u8 v59, v60 offset:1
                                        ; implicit-def: $vgpr63
; %bb.56:                               ;   in Loop: Header=BB65_2 Depth=1
	s_wait_alu 0xfffe
	s_or_saveexec_b32 s8, s8
	v_mov_b32_e32 v61, v58
	s_wait_alu 0xfffe
	s_xor_b32 exec_lo, exec_lo, s8
	s_cbranch_execz .LBB65_58
; %bb.57:                               ;   in Loop: Header=BB65_2 Depth=1
	ds_load_u8 v61, v63 offset:49
	s_wait_dscnt 0x1
	v_mov_b32_e32 v59, v57
.LBB65_58:                              ;   in Loop: Header=BB65_2 Depth=1
	s_or_b32 exec_lo, exec_lo, s8
	v_add_nc_u32_e32 v63, 1, v60
	v_add_nc_u32_e32 v65, 1, v62
	s_wait_dscnt 0x0
	v_bfe_i32 v66, v59, 0, 8
	s_delay_alu instid0(VALU_DEP_3) | instskip(SKIP_2) | instid1(VALU_DEP_3)
	v_cndmask_b32_e64 v64, v63, v60, s7
	v_bfe_i32 v63, v61, 0, 8
	v_cndmask_b32_e64 v65, v62, v65, s7
	v_cmp_ge_i32_e64 s8, v64, v20
	s_delay_alu instid0(VALU_DEP_3) | instskip(NEXT) | instid1(VALU_DEP_3)
	v_cmp_lt_i16_e64 s9, v63, v66
	v_cmp_lt_i32_e64 s10, v65, v21
                                        ; implicit-def: $vgpr63
	s_or_b32 s8, s8, s9
	s_wait_alu 0xfffe
	s_and_b32 s8, s10, s8
	s_wait_alu 0xfffe
	s_xor_b32 s9, s8, -1
	s_wait_alu 0xfffe
	s_and_saveexec_b32 s10, s9
	s_wait_alu 0xfffe
	s_xor_b32 s9, exec_lo, s10
; %bb.59:                               ;   in Loop: Header=BB65_2 Depth=1
	ds_load_u8 v63, v64 offset:1
; %bb.60:                               ;   in Loop: Header=BB65_2 Depth=1
	s_wait_alu 0xfffe
	s_or_saveexec_b32 s9, s9
	v_mov_b32_e32 v66, v61
	s_wait_alu 0xfffe
	s_xor_b32 exec_lo, exec_lo, s9
	s_cbranch_execz .LBB65_62
; %bb.61:                               ;   in Loop: Header=BB65_2 Depth=1
	ds_load_u8 v66, v65 offset:1
	s_wait_dscnt 0x1
	v_mov_b32_e32 v63, v59
.LBB65_62:                              ;   in Loop: Header=BB65_2 Depth=1
	s_or_b32 exec_lo, exec_lo, s9
	v_add_nc_u32_e32 v67, 1, v64
	v_add_nc_u32_e32 v68, 1, v65
	s_wait_dscnt 0x0
	v_bfe_i32 v69, v63, 0, 8
	v_bfe_i32 v70, v66, 0, 8
	v_cndmask_b32_e64 v60, v60, v62, s7
	v_cndmask_b32_e64 v67, v67, v64, s8
	v_cndmask_b32_e64 v64, v64, v65, s8
	v_cndmask_b32_e64 v65, v65, v68, s8
	v_cmp_lt_i16_e64 s9, v70, v69
	s_wait_loadcnt 0x0
	v_cmp_ge_i32_e64 s10, v67, v20
	s_barrier_signal -1
	v_cmp_lt_i32_e64 s11, v65, v21
	s_barrier_wait -1
	global_inv scope:SCOPE_SE
	s_or_b32 s9, s10, s9
	ds_store_b8 v1, v54
	ds_store_b8 v1, v56 offset:1
	ds_store_b8 v1, v55 offset:2
	s_wait_alu 0xfffe
	s_and_b32 s9, s11, s9
	s_wait_loadcnt_dscnt 0x0
	s_wait_alu 0xfffe
	v_cndmask_b32_e64 v62, v63, v66, s9
	v_cndmask_b32_e64 v63, v67, v65, s9
	s_barrier_signal -1
	s_barrier_wait -1
	global_inv scope:SCOPE_SE
	ds_load_u8 v54, v60
	ds_load_u8 v55, v63
	;; [unrolled: 1-line block ×3, first 2 shown]
	v_cndmask_b32_e64 v57, v57, v58, s7
	v_cndmask_b32_e64 v59, v59, v61, s8
	s_wait_loadcnt_dscnt 0x0
	s_barrier_signal -1
	s_barrier_wait -1
	global_inv scope:SCOPE_SE
	ds_store_b8 v1, v57
	ds_store_b8 v1, v59 offset:1
	ds_store_b8 v1, v62 offset:2
	v_mov_b32_e32 v59, v51
	s_wait_loadcnt_dscnt 0x0
	s_barrier_signal -1
	s_barrier_wait -1
	global_inv scope:SCOPE_SE
	s_and_saveexec_b32 s8, s5
	s_cbranch_execz .LBB65_66
; %bb.63:                               ;   in Loop: Header=BB65_2 Depth=1
	v_mov_b32_e32 v59, v51
	v_mov_b32_e32 v57, v44
	s_mov_b32 s9, 0
.LBB65_64:                              ;   Parent Loop BB65_2 Depth=1
                                        ; =>  This Inner Loop Header: Depth=2
	s_delay_alu instid0(VALU_DEP_1) | instskip(NEXT) | instid1(VALU_DEP_1)
	v_sub_nc_u32_e32 v58, v57, v59
	v_lshrrev_b32_e32 v58, 1, v58
	s_delay_alu instid0(VALU_DEP_1) | instskip(NEXT) | instid1(VALU_DEP_1)
	v_add_nc_u32_e32 v58, v58, v59
	v_add_nc_u32_e32 v60, v10, v58
	v_xad_u32 v61, v58, -1, v31
	v_add_nc_u32_e32 v62, 1, v58
	ds_load_i8 v60, v60
	ds_load_i8 v61, v61 offset:96
	s_wait_dscnt 0x0
	v_cmp_lt_i16_e64 s7, v61, v60
	s_wait_alu 0xf1ff
	s_delay_alu instid0(VALU_DEP_1) | instskip(SKIP_1) | instid1(VALU_DEP_1)
	v_cndmask_b32_e64 v57, v57, v58, s7
	v_cndmask_b32_e64 v59, v62, v59, s7
	v_cmp_ge_i32_e64 s7, v59, v57
	s_wait_alu 0xfffe
	s_or_b32 s9, s7, s9
	s_wait_alu 0xfffe
	s_and_not1_b32 exec_lo, exec_lo, s9
	s_cbranch_execnz .LBB65_64
; %bb.65:                               ;   in Loop: Header=BB65_2 Depth=1
	s_or_b32 exec_lo, exec_lo, s9
.LBB65_66:                              ;   in Loop: Header=BB65_2 Depth=1
	s_wait_alu 0xfffe
	s_or_b32 exec_lo, exec_lo, s8
	v_add_nc_u32_e32 v60, v59, v10
	v_sub_nc_u32_e32 v63, v31, v59
	v_sub_nc_u32_e32 v62, v37, v59
                                        ; implicit-def: $vgpr59
	ds_load_u8 v57, v60
	ds_load_u8 v58, v63 offset:96
	v_cmp_le_i32_e64 s7, v22, v60
	v_cmp_gt_i32_e64 s9, v23, v62
	s_wait_dscnt 0x1
	v_bfe_i32 v57, v57, 0, 8
	s_wait_dscnt 0x0
	v_bfe_i32 v58, v58, 0, 8
	s_delay_alu instid0(VALU_DEP_1)
	v_cmp_lt_i16_e64 s8, v58, v57
	s_or_b32 s7, s7, s8
	s_wait_alu 0xfffe
	s_and_b32 s7, s9, s7
	s_wait_alu 0xfffe
	s_xor_b32 s8, s7, -1
	s_wait_alu 0xfffe
	s_and_saveexec_b32 s9, s8
	s_wait_alu 0xfffe
	s_xor_b32 s8, exec_lo, s9
; %bb.67:                               ;   in Loop: Header=BB65_2 Depth=1
	ds_load_u8 v59, v60 offset:1
                                        ; implicit-def: $vgpr63
; %bb.68:                               ;   in Loop: Header=BB65_2 Depth=1
	s_wait_alu 0xfffe
	s_or_saveexec_b32 s8, s8
	v_mov_b32_e32 v61, v58
	s_wait_alu 0xfffe
	s_xor_b32 exec_lo, exec_lo, s8
	s_cbranch_execz .LBB65_70
; %bb.69:                               ;   in Loop: Header=BB65_2 Depth=1
	ds_load_u8 v61, v63 offset:97
	s_wait_dscnt 0x1
	v_mov_b32_e32 v59, v57
.LBB65_70:                              ;   in Loop: Header=BB65_2 Depth=1
	s_or_b32 exec_lo, exec_lo, s8
	v_add_nc_u32_e32 v63, 1, v60
	v_add_nc_u32_e32 v65, 1, v62
	s_wait_dscnt 0x0
	v_bfe_i32 v66, v59, 0, 8
	s_delay_alu instid0(VALU_DEP_3) | instskip(SKIP_2) | instid1(VALU_DEP_3)
	v_cndmask_b32_e64 v64, v63, v60, s7
	v_bfe_i32 v63, v61, 0, 8
	v_cndmask_b32_e64 v65, v62, v65, s7
	v_cmp_ge_i32_e64 s8, v64, v22
	s_delay_alu instid0(VALU_DEP_3) | instskip(NEXT) | instid1(VALU_DEP_3)
	v_cmp_lt_i16_e64 s9, v63, v66
	v_cmp_lt_i32_e64 s10, v65, v23
                                        ; implicit-def: $vgpr63
	s_or_b32 s8, s8, s9
	s_wait_alu 0xfffe
	s_and_b32 s8, s10, s8
	s_wait_alu 0xfffe
	s_xor_b32 s9, s8, -1
	s_wait_alu 0xfffe
	s_and_saveexec_b32 s10, s9
	s_wait_alu 0xfffe
	s_xor_b32 s9, exec_lo, s10
; %bb.71:                               ;   in Loop: Header=BB65_2 Depth=1
	ds_load_u8 v63, v64 offset:1
; %bb.72:                               ;   in Loop: Header=BB65_2 Depth=1
	s_wait_alu 0xfffe
	s_or_saveexec_b32 s9, s9
	v_mov_b32_e32 v66, v61
	s_wait_alu 0xfffe
	s_xor_b32 exec_lo, exec_lo, s9
	s_cbranch_execz .LBB65_74
; %bb.73:                               ;   in Loop: Header=BB65_2 Depth=1
	ds_load_u8 v66, v65 offset:1
	s_wait_dscnt 0x1
	v_mov_b32_e32 v63, v59
.LBB65_74:                              ;   in Loop: Header=BB65_2 Depth=1
	s_or_b32 exec_lo, exec_lo, s9
	v_add_nc_u32_e32 v67, 1, v64
	v_add_nc_u32_e32 v68, 1, v65
	s_wait_dscnt 0x0
	v_bfe_i32 v69, v63, 0, 8
	v_bfe_i32 v70, v66, 0, 8
	v_cndmask_b32_e64 v60, v60, v62, s7
	v_cndmask_b32_e64 v67, v67, v64, s8
	;; [unrolled: 1-line block ×4, first 2 shown]
	v_cmp_lt_i16_e64 s9, v70, v69
	s_wait_loadcnt 0x0
	v_cmp_ge_i32_e64 s10, v67, v22
	s_barrier_signal -1
	v_cmp_lt_i32_e64 s11, v65, v23
	s_barrier_wait -1
	global_inv scope:SCOPE_SE
	s_or_b32 s9, s10, s9
	ds_store_b8 v1, v54
	ds_store_b8 v1, v56 offset:1
	ds_store_b8 v1, v55 offset:2
	s_wait_alu 0xfffe
	s_and_b32 s9, s11, s9
	s_wait_loadcnt_dscnt 0x0
	s_wait_alu 0xfffe
	v_cndmask_b32_e64 v62, v63, v66, s9
	v_cndmask_b32_e64 v63, v67, v65, s9
	s_barrier_signal -1
	s_barrier_wait -1
	global_inv scope:SCOPE_SE
	ds_load_u8 v54, v60
	ds_load_u8 v55, v63
	;; [unrolled: 1-line block ×3, first 2 shown]
	v_cndmask_b32_e64 v57, v57, v58, s7
	v_cndmask_b32_e64 v59, v59, v61, s8
	s_wait_loadcnt_dscnt 0x0
	s_barrier_signal -1
	s_barrier_wait -1
	global_inv scope:SCOPE_SE
	ds_store_b8 v1, v57
	ds_store_b8 v1, v59 offset:1
	ds_store_b8 v1, v62 offset:2
	v_mov_b32_e32 v59, v52
	s_wait_loadcnt_dscnt 0x0
	s_barrier_signal -1
	s_barrier_wait -1
	global_inv scope:SCOPE_SE
	s_and_saveexec_b32 s8, s6
	s_cbranch_execz .LBB65_78
; %bb.75:                               ;   in Loop: Header=BB65_2 Depth=1
	v_mov_b32_e32 v59, v52
	v_mov_b32_e32 v57, v45
	s_mov_b32 s9, 0
.LBB65_76:                              ;   Parent Loop BB65_2 Depth=1
                                        ; =>  This Inner Loop Header: Depth=2
	s_delay_alu instid0(VALU_DEP_1) | instskip(NEXT) | instid1(VALU_DEP_1)
	v_sub_nc_u32_e32 v58, v57, v59
	v_lshrrev_b32_e32 v58, 1, v58
	s_delay_alu instid0(VALU_DEP_1) | instskip(NEXT) | instid1(VALU_DEP_1)
	v_add_nc_u32_e32 v58, v58, v59
	v_add_nc_u32_e32 v60, v11, v58
	v_xad_u32 v61, v58, -1, v53
	v_add_nc_u32_e32 v62, 1, v58
	ds_load_i8 v60, v60
	ds_load_i8 v61, v61 offset:192
	s_wait_dscnt 0x0
	v_cmp_lt_i16_e64 s7, v61, v60
	s_wait_alu 0xf1ff
	s_delay_alu instid0(VALU_DEP_1) | instskip(SKIP_1) | instid1(VALU_DEP_1)
	v_cndmask_b32_e64 v57, v57, v58, s7
	v_cndmask_b32_e64 v59, v62, v59, s7
	v_cmp_ge_i32_e64 s7, v59, v57
	s_wait_alu 0xfffe
	s_or_b32 s9, s7, s9
	s_wait_alu 0xfffe
	s_and_not1_b32 exec_lo, exec_lo, s9
	s_cbranch_execnz .LBB65_76
; %bb.77:                               ;   in Loop: Header=BB65_2 Depth=1
	s_or_b32 exec_lo, exec_lo, s9
.LBB65_78:                              ;   in Loop: Header=BB65_2 Depth=1
	s_wait_alu 0xfffe
	s_or_b32 exec_lo, exec_lo, s8
	v_add_nc_u32_e32 v60, v59, v11
	v_sub_nc_u32_e32 v63, v53, v59
	v_sub_nc_u32_e32 v62, v38, v59
                                        ; implicit-def: $vgpr59
	ds_load_u8 v57, v60
	ds_load_u8 v58, v63 offset:192
	v_cmp_le_i32_e64 s7, v24, v60
	v_cmp_gt_i32_e64 s9, v25, v62
	s_wait_dscnt 0x1
	v_bfe_i32 v57, v57, 0, 8
	s_wait_dscnt 0x0
	v_bfe_i32 v58, v58, 0, 8
	s_delay_alu instid0(VALU_DEP_1)
	v_cmp_lt_i16_e64 s8, v58, v57
	s_or_b32 s7, s7, s8
	s_wait_alu 0xfffe
	s_and_b32 s7, s9, s7
	s_wait_alu 0xfffe
	s_xor_b32 s8, s7, -1
	s_wait_alu 0xfffe
	s_and_saveexec_b32 s9, s8
	s_wait_alu 0xfffe
	s_xor_b32 s8, exec_lo, s9
; %bb.79:                               ;   in Loop: Header=BB65_2 Depth=1
	ds_load_u8 v59, v60 offset:1
                                        ; implicit-def: $vgpr63
; %bb.80:                               ;   in Loop: Header=BB65_2 Depth=1
	s_wait_alu 0xfffe
	s_or_saveexec_b32 s8, s8
	v_mov_b32_e32 v61, v58
	s_wait_alu 0xfffe
	s_xor_b32 exec_lo, exec_lo, s8
	s_cbranch_execz .LBB65_82
; %bb.81:                               ;   in Loop: Header=BB65_2 Depth=1
	ds_load_u8 v61, v63 offset:193
	s_wait_dscnt 0x1
	v_mov_b32_e32 v59, v57
.LBB65_82:                              ;   in Loop: Header=BB65_2 Depth=1
	s_or_b32 exec_lo, exec_lo, s8
	v_add_nc_u32_e32 v63, 1, v60
	v_add_nc_u32_e32 v65, 1, v62
	s_wait_dscnt 0x0
	v_bfe_i32 v66, v59, 0, 8
	s_delay_alu instid0(VALU_DEP_3) | instskip(SKIP_2) | instid1(VALU_DEP_3)
	v_cndmask_b32_e64 v64, v63, v60, s7
	v_bfe_i32 v63, v61, 0, 8
	v_cndmask_b32_e64 v65, v62, v65, s7
	v_cmp_ge_i32_e64 s8, v64, v24
	s_delay_alu instid0(VALU_DEP_3) | instskip(NEXT) | instid1(VALU_DEP_3)
	v_cmp_lt_i16_e64 s9, v63, v66
	v_cmp_lt_i32_e64 s10, v65, v25
                                        ; implicit-def: $vgpr63
	s_or_b32 s8, s8, s9
	s_wait_alu 0xfffe
	s_and_b32 s8, s10, s8
	s_wait_alu 0xfffe
	s_xor_b32 s9, s8, -1
	s_wait_alu 0xfffe
	s_and_saveexec_b32 s10, s9
	s_wait_alu 0xfffe
	s_xor_b32 s9, exec_lo, s10
; %bb.83:                               ;   in Loop: Header=BB65_2 Depth=1
	ds_load_u8 v63, v64 offset:1
; %bb.84:                               ;   in Loop: Header=BB65_2 Depth=1
	s_wait_alu 0xfffe
	s_or_saveexec_b32 s9, s9
	v_mov_b32_e32 v66, v61
	s_wait_alu 0xfffe
	s_xor_b32 exec_lo, exec_lo, s9
	s_cbranch_execz .LBB65_86
; %bb.85:                               ;   in Loop: Header=BB65_2 Depth=1
	ds_load_u8 v66, v65 offset:1
	s_wait_dscnt 0x1
	v_mov_b32_e32 v63, v59
.LBB65_86:                              ;   in Loop: Header=BB65_2 Depth=1
	s_or_b32 exec_lo, exec_lo, s9
	v_add_nc_u32_e32 v67, 1, v64
	v_add_nc_u32_e32 v68, 1, v65
	s_wait_dscnt 0x0
	v_bfe_i32 v69, v63, 0, 8
	v_bfe_i32 v70, v66, 0, 8
	v_cndmask_b32_e64 v60, v60, v62, s7
	v_cndmask_b32_e64 v67, v67, v64, s8
	;; [unrolled: 1-line block ×4, first 2 shown]
	v_cmp_lt_i16_e64 s9, v70, v69
	s_wait_loadcnt 0x0
	v_cmp_ge_i32_e64 s10, v67, v24
	s_barrier_signal -1
	v_cmp_lt_i32_e64 s11, v65, v25
	s_barrier_wait -1
	global_inv scope:SCOPE_SE
	s_or_b32 s9, s10, s9
	ds_store_b8 v1, v54
	ds_store_b8 v1, v56 offset:1
	ds_store_b8 v1, v55 offset:2
	s_wait_alu 0xfffe
	s_and_b32 s9, s11, s9
	s_wait_loadcnt_dscnt 0x0
	s_wait_alu 0xfffe
	v_cndmask_b32_e64 v62, v63, v66, s9
	v_cndmask_b32_e64 v63, v67, v65, s9
	s_barrier_signal -1
	s_barrier_wait -1
	global_inv scope:SCOPE_SE
	ds_load_u8 v54, v60
	ds_load_u8 v55, v63
	;; [unrolled: 1-line block ×3, first 2 shown]
	v_cndmask_b32_e64 v57, v57, v58, s7
	v_cndmask_b32_e64 v59, v59, v61, s8
	s_wait_loadcnt_dscnt 0x0
	s_barrier_signal -1
	s_barrier_wait -1
	global_inv scope:SCOPE_SE
	ds_store_b8 v1, v57
	ds_store_b8 v1, v59 offset:1
	ds_store_b8 v1, v62 offset:2
	v_mov_b32_e32 v57, v3
	s_wait_loadcnt_dscnt 0x0
	s_barrier_signal -1
	s_barrier_wait -1
	global_inv scope:SCOPE_SE
	s_and_saveexec_b32 s8, vcc_lo
	s_cbranch_execz .LBB65_90
; %bb.87:                               ;   in Loop: Header=BB65_2 Depth=1
	v_dual_mov_b32 v57, v3 :: v_dual_mov_b32 v58, v4
	s_mov_b32 s9, 0
.LBB65_88:                              ;   Parent Loop BB65_2 Depth=1
                                        ; =>  This Inner Loop Header: Depth=2
	s_delay_alu instid0(VALU_DEP_1) | instskip(NEXT) | instid1(VALU_DEP_1)
	v_sub_nc_u32_e32 v59, v58, v57
	v_lshrrev_b32_e32 v59, 1, v59
	s_delay_alu instid0(VALU_DEP_1) | instskip(NEXT) | instid1(VALU_DEP_1)
	v_add_nc_u32_e32 v59, v59, v57
	v_xad_u32 v60, v59, -1, v1
	v_add_nc_u32_e32 v62, 1, v59
	ds_load_i8 v61, v59
	ds_load_i8 v60, v60 offset:384
	s_wait_dscnt 0x0
	v_cmp_lt_i16_e64 s7, v60, v61
	s_wait_alu 0xf1ff
	s_delay_alu instid0(VALU_DEP_1) | instskip(SKIP_1) | instid1(VALU_DEP_1)
	v_cndmask_b32_e64 v58, v58, v59, s7
	v_cndmask_b32_e64 v57, v62, v57, s7
	v_cmp_ge_i32_e64 s7, v57, v58
	s_wait_alu 0xfffe
	s_or_b32 s9, s7, s9
	s_wait_alu 0xfffe
	s_and_not1_b32 exec_lo, exec_lo, s9
	s_cbranch_execnz .LBB65_88
; %bb.89:                               ;   in Loop: Header=BB65_2 Depth=1
	s_or_b32 exec_lo, exec_lo, s9
.LBB65_90:                              ;   in Loop: Header=BB65_2 Depth=1
	s_wait_alu 0xfffe
	s_or_b32 exec_lo, exec_lo, s8
	v_sub_nc_u32_e32 v63, v1, v57
	v_cmp_le_i32_e64 s7, 0x180, v57
                                        ; implicit-def: $vgpr61
	ds_load_u8 v58, v57
	ds_load_u8 v60, v63 offset:384
	s_wait_dscnt 0x1
	v_bfe_i32 v59, v58, 0, 8
	s_wait_dscnt 0x0
	v_bfe_i32 v60, v60, 0, 8
	v_sub_nc_u32_e32 v58, v2, v57
	s_delay_alu instid0(VALU_DEP_2) | instskip(NEXT) | instid1(VALU_DEP_2)
	v_cmp_lt_i16_e64 s8, v60, v59
	v_cmp_gt_i32_e64 s9, 0x300, v58
	s_or_b32 s7, s7, s8
	s_wait_alu 0xfffe
	s_and_b32 s7, s9, s7
	s_wait_alu 0xfffe
	s_xor_b32 s8, s7, -1
	s_wait_alu 0xfffe
	s_and_saveexec_b32 s9, s8
	s_wait_alu 0xfffe
	s_xor_b32 s8, exec_lo, s9
; %bb.91:                               ;   in Loop: Header=BB65_2 Depth=1
	ds_load_u8 v61, v57 offset:1
                                        ; implicit-def: $vgpr63
; %bb.92:                               ;   in Loop: Header=BB65_2 Depth=1
	s_wait_alu 0xfffe
	s_or_saveexec_b32 s8, s8
	v_mov_b32_e32 v62, v60
	s_wait_alu 0xfffe
	s_xor_b32 exec_lo, exec_lo, s8
	s_cbranch_execz .LBB65_94
; %bb.93:                               ;   in Loop: Header=BB65_2 Depth=1
	ds_load_u8 v62, v63 offset:385
	s_wait_dscnt 0x1
	v_mov_b32_e32 v61, v59
.LBB65_94:                              ;   in Loop: Header=BB65_2 Depth=1
	s_or_b32 exec_lo, exec_lo, s8
	v_add_nc_u32_e32 v63, 1, v57
	v_add_nc_u32_e32 v64, 1, v58
	s_wait_dscnt 0x0
	v_bfe_i32 v65, v61, 0, 8
	v_bfe_i32 v66, v62, 0, 8
	v_cndmask_b32_e64 v68, v63, v57, s7
	v_cndmask_b32_e64 v63, v58, v64, s7
                                        ; implicit-def: $vgpr64
	s_delay_alu instid0(VALU_DEP_3) | instskip(NEXT) | instid1(VALU_DEP_3)
	v_cmp_lt_i16_e64 s9, v66, v65
                                        ; implicit-def: $vgpr66
	v_cmp_le_i32_e64 s8, 0x180, v68
	s_delay_alu instid0(VALU_DEP_3)
	v_cmp_gt_i32_e64 s10, 0x300, v63
	s_or_b32 s8, s8, s9
	s_wait_alu 0xfffe
	s_and_b32 s8, s10, s8
	s_wait_alu 0xfffe
	s_xor_b32 s9, s8, -1
	s_wait_alu 0xfffe
	s_and_saveexec_b32 s10, s9
	s_wait_alu 0xfffe
	s_xor_b32 s9, exec_lo, s10
; %bb.95:                               ;   in Loop: Header=BB65_2 Depth=1
	ds_load_u8 v66, v68 offset:1
	v_add_nc_u32_e32 v64, 1, v68
; %bb.96:                               ;   in Loop: Header=BB65_2 Depth=1
	s_wait_alu 0xfffe
	s_or_saveexec_b32 s9, s9
	v_mov_b32_e32 v65, v68
	v_mov_b32_e32 v67, v62
	s_wait_alu 0xfffe
	s_xor_b32 exec_lo, exec_lo, s9
	s_cbranch_execz .LBB65_1
; %bb.97:                               ;   in Loop: Header=BB65_2 Depth=1
	ds_load_u8 v67, v63 offset:1
	s_wait_dscnt 0x1
	v_dual_mov_b32 v65, v63 :: v_dual_add_nc_u32 v66, 1, v63
	s_delay_alu instid0(VALU_DEP_1)
	v_dual_mov_b32 v64, v68 :: v_dual_mov_b32 v63, v66
	v_mov_b32_e32 v66, v61
	s_branch .LBB65_1
.LBB65_98:
	s_add_nc_u64 s[0:1], s[14:15], s[16:17]
	s_wait_dscnt 0x2
	v_add_nc_u16 v2, v60, v56
	s_wait_alu 0xfffe
	v_add_co_u32 v0, s0, s0, v0
	s_wait_alu 0xf1ff
	v_add_co_ci_u32_e64 v1, null, s1, 0, s0
	s_wait_dscnt 0x1
	v_add_nc_u16 v3, v59, v55
	s_wait_dscnt 0x0
	v_add_nc_u16 v4, v57, v54
	s_clause 0x2
	global_store_b8 v[0:1], v2, off
	global_store_b8 v[0:1], v3, off offset:256
	global_store_b8 v[0:1], v4, off offset:512
	s_endpgm
	.section	.rodata,"a",@progbits
	.p2align	6, 0x0
	.amdhsa_kernel _Z17sort_pairs_kernelIaLj256ELj3EN10test_utils4lessELj10EEvPKT_PS2_T2_
		.amdhsa_group_segment_fixed_size 769
		.amdhsa_private_segment_fixed_size 0
		.amdhsa_kernarg_size 20
		.amdhsa_user_sgpr_count 2
		.amdhsa_user_sgpr_dispatch_ptr 0
		.amdhsa_user_sgpr_queue_ptr 0
		.amdhsa_user_sgpr_kernarg_segment_ptr 1
		.amdhsa_user_sgpr_dispatch_id 0
		.amdhsa_user_sgpr_private_segment_size 0
		.amdhsa_wavefront_size32 1
		.amdhsa_uses_dynamic_stack 0
		.amdhsa_enable_private_segment 0
		.amdhsa_system_sgpr_workgroup_id_x 1
		.amdhsa_system_sgpr_workgroup_id_y 0
		.amdhsa_system_sgpr_workgroup_id_z 0
		.amdhsa_system_sgpr_workgroup_info 0
		.amdhsa_system_vgpr_workitem_id 0
		.amdhsa_next_free_vgpr 72
		.amdhsa_next_free_sgpr 19
		.amdhsa_reserve_vcc 1
		.amdhsa_float_round_mode_32 0
		.amdhsa_float_round_mode_16_64 0
		.amdhsa_float_denorm_mode_32 3
		.amdhsa_float_denorm_mode_16_64 3
		.amdhsa_fp16_overflow 0
		.amdhsa_workgroup_processor_mode 1
		.amdhsa_memory_ordered 1
		.amdhsa_forward_progress 1
		.amdhsa_inst_pref_size 61
		.amdhsa_round_robin_scheduling 0
		.amdhsa_exception_fp_ieee_invalid_op 0
		.amdhsa_exception_fp_denorm_src 0
		.amdhsa_exception_fp_ieee_div_zero 0
		.amdhsa_exception_fp_ieee_overflow 0
		.amdhsa_exception_fp_ieee_underflow 0
		.amdhsa_exception_fp_ieee_inexact 0
		.amdhsa_exception_int_div_zero 0
	.end_amdhsa_kernel
	.section	.text._Z17sort_pairs_kernelIaLj256ELj3EN10test_utils4lessELj10EEvPKT_PS2_T2_,"axG",@progbits,_Z17sort_pairs_kernelIaLj256ELj3EN10test_utils4lessELj10EEvPKT_PS2_T2_,comdat
.Lfunc_end65:
	.size	_Z17sort_pairs_kernelIaLj256ELj3EN10test_utils4lessELj10EEvPKT_PS2_T2_, .Lfunc_end65-_Z17sort_pairs_kernelIaLj256ELj3EN10test_utils4lessELj10EEvPKT_PS2_T2_
                                        ; -- End function
	.set _Z17sort_pairs_kernelIaLj256ELj3EN10test_utils4lessELj10EEvPKT_PS2_T2_.num_vgpr, 72
	.set _Z17sort_pairs_kernelIaLj256ELj3EN10test_utils4lessELj10EEvPKT_PS2_T2_.num_agpr, 0
	.set _Z17sort_pairs_kernelIaLj256ELj3EN10test_utils4lessELj10EEvPKT_PS2_T2_.numbered_sgpr, 19
	.set _Z17sort_pairs_kernelIaLj256ELj3EN10test_utils4lessELj10EEvPKT_PS2_T2_.num_named_barrier, 0
	.set _Z17sort_pairs_kernelIaLj256ELj3EN10test_utils4lessELj10EEvPKT_PS2_T2_.private_seg_size, 0
	.set _Z17sort_pairs_kernelIaLj256ELj3EN10test_utils4lessELj10EEvPKT_PS2_T2_.uses_vcc, 1
	.set _Z17sort_pairs_kernelIaLj256ELj3EN10test_utils4lessELj10EEvPKT_PS2_T2_.uses_flat_scratch, 0
	.set _Z17sort_pairs_kernelIaLj256ELj3EN10test_utils4lessELj10EEvPKT_PS2_T2_.has_dyn_sized_stack, 0
	.set _Z17sort_pairs_kernelIaLj256ELj3EN10test_utils4lessELj10EEvPKT_PS2_T2_.has_recursion, 0
	.set _Z17sort_pairs_kernelIaLj256ELj3EN10test_utils4lessELj10EEvPKT_PS2_T2_.has_indirect_call, 0
	.section	.AMDGPU.csdata,"",@progbits
; Kernel info:
; codeLenInByte = 7784
; TotalNumSgprs: 21
; NumVgprs: 72
; ScratchSize: 0
; MemoryBound: 0
; FloatMode: 240
; IeeeMode: 1
; LDSByteSize: 769 bytes/workgroup (compile time only)
; SGPRBlocks: 0
; VGPRBlocks: 8
; NumSGPRsForWavesPerEU: 21
; NumVGPRsForWavesPerEU: 72
; Occupancy: 16
; WaveLimiterHint : 1
; COMPUTE_PGM_RSRC2:SCRATCH_EN: 0
; COMPUTE_PGM_RSRC2:USER_SGPR: 2
; COMPUTE_PGM_RSRC2:TRAP_HANDLER: 0
; COMPUTE_PGM_RSRC2:TGID_X_EN: 1
; COMPUTE_PGM_RSRC2:TGID_Y_EN: 0
; COMPUTE_PGM_RSRC2:TGID_Z_EN: 0
; COMPUTE_PGM_RSRC2:TIDIG_COMP_CNT: 0
	.section	.text._Z16sort_keys_kernelIaLj256ELj4EN10test_utils4lessELj10EEvPKT_PS2_T2_,"axG",@progbits,_Z16sort_keys_kernelIaLj256ELj4EN10test_utils4lessELj10EEvPKT_PS2_T2_,comdat
	.protected	_Z16sort_keys_kernelIaLj256ELj4EN10test_utils4lessELj10EEvPKT_PS2_T2_ ; -- Begin function _Z16sort_keys_kernelIaLj256ELj4EN10test_utils4lessELj10EEvPKT_PS2_T2_
	.globl	_Z16sort_keys_kernelIaLj256ELj4EN10test_utils4lessELj10EEvPKT_PS2_T2_
	.p2align	8
	.type	_Z16sort_keys_kernelIaLj256ELj4EN10test_utils4lessELj10EEvPKT_PS2_T2_,@function
_Z16sort_keys_kernelIaLj256ELj4EN10test_utils4lessELj10EEvPKT_PS2_T2_: ; @_Z16sort_keys_kernelIaLj256ELj4EN10test_utils4lessELj10EEvPKT_PS2_T2_
; %bb.0:
	s_load_b128 s[12:15], s[0:1], 0x0
	s_lshl_b32 s16, ttmp9, 10
	s_mov_b32 s17, 0
	v_lshlrev_b32_e32 v1, 2, v0
	s_delay_alu instid0(VALU_DEP_1)
	v_and_b32_e32 v2, 0x3f8, v1
	v_and_b32_e32 v3, 0x3f0, v1
	;; [unrolled: 1-line block ×5, first 2 shown]
	v_or_b32_e32 v11, 4, v2
	v_add_nc_u32_e32 v12, 8, v2
	v_or_b32_e32 v13, 8, v3
	v_add_nc_u32_e32 v14, 16, v3
	v_and_b32_e32 v5, 0x3c0, v1
	v_or_b32_e32 v15, 16, v4
	v_sub_nc_u32_e32 v50, v12, v11
	s_wait_kmcnt 0x0
	s_add_nc_u64 s[0:1], s[12:13], s[16:17]
	v_add_nc_u32_e32 v16, 32, v4
	s_clause 0x3
	global_load_u8 v46, v0, s[0:1] offset:256
	global_load_u8 v47, v0, s[0:1] offset:512
	global_load_u8 v48, v0, s[0:1]
	global_load_u8 v49, v0, s[0:1] offset:768
	v_sub_nc_u32_e32 v32, v11, v2
	v_sub_nc_u32_e32 v51, v14, v13
	v_sub_nc_u32_e32 v57, v39, v50
	v_cmp_ge_i32_e64 s0, v39, v50
	v_and_b32_e32 v41, 28, v1
	v_and_b32_e32 v6, 0x380, v1
	v_or_b32_e32 v17, 32, v5
	v_add_nc_u32_e32 v18, 64, v5
	v_add_nc_u32_e32 v25, v11, v39
	v_sub_nc_u32_e32 v33, v13, v3
	v_sub_nc_u32_e32 v52, v16, v15
	v_min_i32_e32 v32, v39, v32
	v_sub_nc_u32_e32 v58, v40, v51
	v_cndmask_b32_e64 v39, 0, v57, s0
	v_cmp_ge_i32_e64 s0, v40, v51
	v_and_b32_e32 v42, 60, v1
	v_and_b32_e32 v7, 0x300, v1
	v_or_b32_e32 v19, 64, v6
	v_add_nc_u32_e32 v20, 0x80, v6
	v_add_nc_u32_e32 v26, v13, v40
	v_sub_nc_u32_e32 v34, v15, v4
	v_sub_nc_u32_e32 v53, v18, v17
	v_min_i32_e32 v33, v40, v33
	v_sub_nc_u32_e32 v59, v41, v52
	s_wait_alu 0xf1ff
	v_cndmask_b32_e64 v40, 0, v58, s0
	v_cmp_ge_i32_e64 s0, v41, v52
	v_and_b32_e32 v43, 0x7c, v1
	v_and_b32_e32 v8, 0x200, v1
	v_or_b32_e32 v21, 0x80, v7
	v_add_nc_u32_e32 v22, 0x100, v7
	v_add_nc_u32_e32 v27, v15, v41
	v_sub_nc_u32_e32 v35, v17, v5
	v_sub_nc_u32_e32 v54, v20, v19
	v_min_i32_e32 v34, v41, v34
	v_sub_nc_u32_e32 v60, v42, v53
	s_wait_alu 0xf1ff
	v_cndmask_b32_e64 v41, 0, v59, s0
	v_cmp_ge_i32_e64 s0, v42, v53
	v_and_b32_e32 v44, 0xfc, v1
	v_or_b32_e32 v23, 0x100, v8
	v_add_nc_u32_e32 v24, 0x200, v8
	v_add_nc_u32_e32 v28, v17, v42
	v_sub_nc_u32_e32 v36, v19, v6
	v_sub_nc_u32_e32 v55, v22, v21
	v_min_i32_e32 v35, v42, v35
	v_sub_nc_u32_e32 v61, v43, v54
	s_wait_alu 0xf1ff
	v_cndmask_b32_e64 v42, 0, v60, s0
	v_cmp_ge_i32_e64 s0, v43, v54
	v_and_b32_e32 v45, 0x1fc, v1
	v_add_nc_u32_e32 v29, v19, v43
	v_sub_nc_u32_e32 v37, v21, v7
	v_sub_nc_u32_e32 v56, v24, v23
	v_min_i32_e32 v36, v43, v36
	v_sub_nc_u32_e32 v62, v44, v55
	s_wait_alu 0xf1ff
	v_cndmask_b32_e64 v43, 0, v61, s0
	v_cmp_ge_i32_e64 s0, v44, v55
	v_add_nc_u32_e32 v30, v21, v44
	v_sub_nc_u32_e32 v38, v23, v8
	v_min_i32_e32 v37, v44, v37
	v_sub_nc_u32_e32 v63, v45, v56
	s_wait_alu 0xf1ff
	v_cndmask_b32_e64 v44, 0, v62, s0
	v_cmp_ge_i32_e64 s0, v45, v56
	v_add_nc_u32_e32 v31, v23, v45
	v_min_i32_e32 v38, v45, v38
	v_subrev_nc_u32_e64 v9, 0x200, v1 clamp
	v_min_i32_e32 v10, 0x200, v1
	s_wait_alu 0xf1ff
	v_cndmask_b32_e64 v45, 0, v63, s0
	v_cmp_lt_i32_e64 s0, v39, v32
	v_cmp_lt_i32_e64 s1, v40, v33
	;; [unrolled: 1-line block ×7, first 2 shown]
	s_mov_b32 s13, s17
	v_cmp_lt_i32_e32 vcc_lo, v9, v10
	s_wait_loadcnt 0x1
	v_perm_b32 v46, v48, v46, 0xc0c0004
	s_wait_loadcnt 0x0
	v_perm_b32 v47, v47, v49, 0xc0c0004
	s_delay_alu instid0(VALU_DEP_1)
	v_lshl_or_b32 v51, v47, 16, v46
	v_add_nc_u32_e32 v46, 0x200, v1
	s_branch .LBB66_2
.LBB66_1:                               ;   in Loop: Header=BB66_2 Depth=1
	s_or_b32 exec_lo, exec_lo, s10
	s_wait_dscnt 0x0
	v_bfe_i32 v56, v54, 0, 8
	v_bfe_i32 v58, v57, 0, 8
	v_cmp_le_i32_e64 s10, 0x200, v55
	v_cmp_gt_i32_e64 s12, 0x400, v53
	v_cndmask_b32_e64 v47, v47, v48, s7
	v_cndmask_b32_e64 v48, v49, v50, s8
	v_cmp_lt_i16_e64 s11, v58, v56
	v_cndmask_b32_e64 v49, v51, v52, s9
	s_add_co_i32 s13, s13, 1
	v_and_b32_e32 v52, 0xff, v47
	v_lshlrev_b16 v51, 8, v48
	s_or_b32 s7, s10, s11
	v_and_b32_e32 v53, 0xff, v49
	s_wait_alu 0xfffe
	s_and_b32 s7, s12, s7
	s_cmp_eq_u32 s13, 10
	s_wait_alu 0xfffe
	v_cndmask_b32_e64 v50, v54, v57, s7
	v_or_b32_e32 v51, v52, v51
	s_delay_alu instid0(VALU_DEP_2) | instskip(NEXT) | instid1(VALU_DEP_2)
	v_lshlrev_b16 v54, 8, v50
	v_and_b32_e32 v51, 0xffff, v51
	s_delay_alu instid0(VALU_DEP_2) | instskip(NEXT) | instid1(VALU_DEP_1)
	v_or_b32_e32 v52, v53, v54
	v_lshlrev_b32_e32 v52, 16, v52
	s_delay_alu instid0(VALU_DEP_1)
	v_or_b32_e32 v51, v51, v52
	s_cbranch_scc1 .LBB66_130
.LBB66_2:                               ; =>This Loop Header: Depth=1
                                        ;     Child Loop BB66_4 Depth 2
                                        ;     Child Loop BB66_20 Depth 2
                                        ;     Child Loop BB66_36 Depth 2
                                        ;     Child Loop BB66_52 Depth 2
                                        ;     Child Loop BB66_68 Depth 2
                                        ;     Child Loop BB66_84 Depth 2
                                        ;     Child Loop BB66_100 Depth 2
                                        ;     Child Loop BB66_116 Depth 2
	s_delay_alu instid0(VALU_DEP_1) | instskip(SKIP_3) | instid1(VALU_DEP_3)
	v_lshrrev_b32_e32 v47, 8, v51
	v_bfe_i32 v48, v51, 0, 8
	v_perm_b32 v49, v51, v51, 0x7060405
	s_barrier_signal -1
	v_bfe_i32 v47, v47, 0, 8
	s_barrier_wait -1
	global_inv scope:SCOPE_SE
	v_cmp_lt_i16_e64 s7, v47, v48
	s_wait_alu 0xf1ff
	s_delay_alu instid0(VALU_DEP_1) | instskip(NEXT) | instid1(VALU_DEP_1)
	v_cndmask_b32_e64 v49, v51, v49, s7
	v_lshrrev_b32_e32 v50, 16, v49
	v_lshrrev_b32_e32 v52, 24, v49
	s_delay_alu instid0(VALU_DEP_2) | instskip(NEXT) | instid1(VALU_DEP_2)
	v_perm_b32 v51, 0, v50, 0xc0c0001
	v_bfe_i32 v52, v52, 0, 8
	v_bfe_i32 v50, v50, 0, 8
	s_delay_alu instid0(VALU_DEP_3) | instskip(NEXT) | instid1(VALU_DEP_2)
	v_lshlrev_b32_e32 v51, 16, v51
	v_cmp_lt_i16_e64 s7, v52, v50
	v_min_i16 v53, v52, v50
	v_max_i16 v50, v52, v50
	s_delay_alu instid0(VALU_DEP_4) | instskip(NEXT) | instid1(VALU_DEP_3)
	v_and_or_b32 v51, 0xffff, v49, v51
	v_lshlrev_b16 v54, 8, v53
	s_wait_alu 0xf1ff
	s_delay_alu instid0(VALU_DEP_2) | instskip(SKIP_2) | instid1(VALU_DEP_3)
	v_cndmask_b32_e64 v49, v49, v51, s7
	v_max_i16 v51, v47, v48
	v_min_i16 v47, v47, v48
	v_and_b32_e32 v55, 0xff, v49
	s_delay_alu instid0(VALU_DEP_3)
	v_min_i16 v48, v53, v51
	v_perm_b32 v57, v51, v49, 0xc0c0304
	v_max_i16 v52, v53, v51
	v_cmp_lt_i16_e64 s7, v53, v51
	v_or_b32_e32 v54, v55, v54
	v_lshlrev_b16 v55, 8, v47
	v_and_b32_e32 v56, 0xff, v48
	v_cmp_gt_i16_e64 s8, v51, v50
	s_delay_alu instid0(VALU_DEP_4) | instskip(NEXT) | instid1(VALU_DEP_3)
	v_and_b32_e32 v54, 0xffff, v54
	v_or_b32_e32 v55, v56, v55
	v_and_b32_e32 v56, 0xff, v50
	s_wait_alu 0xf1ff
	v_cndmask_b32_e64 v50, v52, v50, s8
	v_lshl_or_b32 v54, v57, 16, v54
	v_lshlrev_b16 v57, 8, v52
	v_and_b32_e32 v55, 0xffff, v55
	s_delay_alu instid0(VALU_DEP_4) | instskip(NEXT) | instid1(VALU_DEP_4)
	v_lshlrev_b16 v52, 8, v50
	v_cndmask_b32_e64 v49, v49, v54, s7
	s_delay_alu instid0(VALU_DEP_4) | instskip(SKIP_1) | instid1(VALU_DEP_3)
	v_or_b32_e32 v54, v56, v57
	v_cmp_lt_i16_e64 s7, v53, v47
	v_and_or_b32 v55, 0xffff0000, v49, v55
	s_delay_alu instid0(VALU_DEP_3) | instskip(SKIP_1) | instid1(VALU_DEP_3)
	v_lshlrev_b32_e32 v54, 16, v54
	s_wait_alu 0xf1ff
	v_cndmask_b32_e64 v47, v48, v47, s7
	s_delay_alu instid0(VALU_DEP_3) | instskip(NEXT) | instid1(VALU_DEP_2)
	v_cndmask_b32_e64 v49, v49, v55, s7
	v_cmp_lt_i16_e64 s7, v50, v47
	s_delay_alu instid0(VALU_DEP_2) | instskip(NEXT) | instid1(VALU_DEP_1)
	v_and_or_b32 v53, 0xffff, v49, v54
	v_cndmask_b32_e64 v49, v49, v53, s8
	s_delay_alu instid0(VALU_DEP_1) | instskip(NEXT) | instid1(VALU_DEP_1)
	v_and_b32_e32 v51, 0xff, v49
	v_or_b32_e32 v48, v51, v52
	v_perm_b32 v51, v47, v49, 0xc0c0304
	s_delay_alu instid0(VALU_DEP_2) | instskip(NEXT) | instid1(VALU_DEP_1)
	v_dual_mov_b32 v47, v39 :: v_dual_and_b32 v48, 0xffff, v48
	v_lshl_or_b32 v48, v51, 16, v48
	s_wait_alu 0xf1ff
	s_delay_alu instid0(VALU_DEP_1)
	v_cndmask_b32_e64 v48, v49, v48, s7
	ds_store_b32 v1, v48
	s_wait_loadcnt_dscnt 0x0
	s_barrier_signal -1
	s_barrier_wait -1
	global_inv scope:SCOPE_SE
	s_and_saveexec_b32 s8, s0
	s_cbranch_execz .LBB66_6
; %bb.3:                                ;   in Loop: Header=BB66_2 Depth=1
	v_dual_mov_b32 v47, v39 :: v_dual_mov_b32 v48, v32
	s_mov_b32 s9, 0
.LBB66_4:                               ;   Parent Loop BB66_2 Depth=1
                                        ; =>  This Inner Loop Header: Depth=2
	s_delay_alu instid0(VALU_DEP_1) | instskip(NEXT) | instid1(VALU_DEP_1)
	v_sub_nc_u32_e32 v49, v48, v47
	v_lshrrev_b32_e32 v49, 1, v49
	s_delay_alu instid0(VALU_DEP_1) | instskip(NEXT) | instid1(VALU_DEP_1)
	v_add_nc_u32_e32 v49, v49, v47
	v_add_nc_u32_e32 v50, v2, v49
	v_xad_u32 v51, v49, -1, v25
	v_add_nc_u32_e32 v52, 1, v49
	ds_load_i8 v50, v50
	ds_load_i8 v51, v51
	s_wait_dscnt 0x0
	v_cmp_lt_i16_e64 s7, v51, v50
	s_wait_alu 0xf1ff
	s_delay_alu instid0(VALU_DEP_1) | instskip(SKIP_1) | instid1(VALU_DEP_1)
	v_cndmask_b32_e64 v48, v48, v49, s7
	v_cndmask_b32_e64 v47, v52, v47, s7
	v_cmp_ge_i32_e64 s7, v47, v48
	s_wait_alu 0xfffe
	s_or_b32 s9, s7, s9
	s_wait_alu 0xfffe
	s_and_not1_b32 exec_lo, exec_lo, s9
	s_cbranch_execnz .LBB66_4
; %bb.5:                                ;   in Loop: Header=BB66_2 Depth=1
	s_or_b32 exec_lo, exec_lo, s9
.LBB66_6:                               ;   in Loop: Header=BB66_2 Depth=1
	s_wait_alu 0xfffe
	s_or_b32 exec_lo, exec_lo, s8
	v_add_nc_u32_e32 v52, v47, v2
	v_sub_nc_u32_e32 v51, v25, v47
                                        ; implicit-def: $vgpr49
	ds_load_u8 v47, v52
	ds_load_u8 v48, v51
	v_cmp_le_i32_e64 s7, v11, v52
	v_cmp_gt_i32_e64 s9, v12, v51
	s_wait_dscnt 0x1
	v_bfe_i32 v47, v47, 0, 8
	s_wait_dscnt 0x0
	v_bfe_i32 v48, v48, 0, 8
	s_delay_alu instid0(VALU_DEP_1)
	v_cmp_lt_i16_e64 s8, v48, v47
	s_or_b32 s7, s7, s8
	s_wait_alu 0xfffe
	s_and_b32 s7, s9, s7
	s_wait_alu 0xfffe
	s_xor_b32 s8, s7, -1
	s_wait_alu 0xfffe
	s_and_saveexec_b32 s9, s8
	s_wait_alu 0xfffe
	s_xor_b32 s8, exec_lo, s9
; %bb.7:                                ;   in Loop: Header=BB66_2 Depth=1
	ds_load_u8 v49, v52 offset:1
; %bb.8:                                ;   in Loop: Header=BB66_2 Depth=1
	s_wait_alu 0xfffe
	s_or_saveexec_b32 s8, s8
	v_mov_b32_e32 v50, v48
	s_wait_alu 0xfffe
	s_xor_b32 exec_lo, exec_lo, s8
	s_cbranch_execz .LBB66_10
; %bb.9:                                ;   in Loop: Header=BB66_2 Depth=1
	ds_load_u8 v50, v51 offset:1
	s_wait_dscnt 0x1
	v_mov_b32_e32 v49, v47
.LBB66_10:                              ;   in Loop: Header=BB66_2 Depth=1
	s_or_b32 exec_lo, exec_lo, s8
	v_add_nc_u32_e32 v53, 1, v52
	v_add_nc_u32_e32 v55, 1, v51
	s_wait_dscnt 0x0
	v_bfe_i32 v56, v49, 0, 8
	s_delay_alu instid0(VALU_DEP_3) | instskip(SKIP_2) | instid1(VALU_DEP_3)
	v_cndmask_b32_e64 v54, v53, v52, s7
	v_bfe_i32 v52, v50, 0, 8
	v_cndmask_b32_e64 v53, v51, v55, s7
                                        ; implicit-def: $vgpr51
	v_cmp_ge_i32_e64 s8, v54, v11
	s_delay_alu instid0(VALU_DEP_3) | instskip(NEXT) | instid1(VALU_DEP_3)
	v_cmp_lt_i16_e64 s9, v52, v56
	v_cmp_lt_i32_e64 s10, v53, v12
	s_or_b32 s8, s8, s9
	s_wait_alu 0xfffe
	s_and_b32 s8, s10, s8
	s_wait_alu 0xfffe
	s_xor_b32 s9, s8, -1
	s_wait_alu 0xfffe
	s_and_saveexec_b32 s10, s9
	s_delay_alu instid0(SALU_CYCLE_1)
	s_xor_b32 s9, exec_lo, s10
; %bb.11:                               ;   in Loop: Header=BB66_2 Depth=1
	ds_load_u8 v51, v54 offset:1
; %bb.12:                               ;   in Loop: Header=BB66_2 Depth=1
	s_wait_alu 0xfffe
	s_or_saveexec_b32 s9, s9
	v_mov_b32_e32 v52, v50
	s_wait_alu 0xfffe
	s_xor_b32 exec_lo, exec_lo, s9
	s_cbranch_execz .LBB66_14
; %bb.13:                               ;   in Loop: Header=BB66_2 Depth=1
	ds_load_u8 v52, v53 offset:1
	s_wait_dscnt 0x1
	v_mov_b32_e32 v51, v49
.LBB66_14:                              ;   in Loop: Header=BB66_2 Depth=1
	s_or_b32 exec_lo, exec_lo, s9
	v_add_nc_u32_e32 v55, 1, v54
	v_add_nc_u32_e32 v56, 1, v53
	s_wait_dscnt 0x0
	v_bfe_i32 v57, v51, 0, 8
	v_bfe_i32 v58, v52, 0, 8
	v_cndmask_b32_e64 v55, v55, v54, s8
	v_cndmask_b32_e64 v54, v53, v56, s8
                                        ; implicit-def: $vgpr53
	s_delay_alu instid0(VALU_DEP_3) | instskip(NEXT) | instid1(VALU_DEP_3)
	v_cmp_lt_i16_e64 s10, v58, v57
	v_cmp_ge_i32_e64 s9, v55, v11
	s_delay_alu instid0(VALU_DEP_3)
	v_cmp_lt_i32_e64 s11, v54, v12
	s_or_b32 s9, s9, s10
	s_wait_alu 0xfffe
	s_and_b32 s9, s11, s9
	s_wait_alu 0xfffe
	s_xor_b32 s10, s9, -1
	s_delay_alu instid0(SALU_CYCLE_1) | instskip(NEXT) | instid1(SALU_CYCLE_1)
	s_and_saveexec_b32 s11, s10
	s_xor_b32 s10, exec_lo, s11
; %bb.15:                               ;   in Loop: Header=BB66_2 Depth=1
	ds_load_u8 v53, v55 offset:1
; %bb.16:                               ;   in Loop: Header=BB66_2 Depth=1
	s_or_saveexec_b32 s10, s10
	v_mov_b32_e32 v56, v52
	s_xor_b32 exec_lo, exec_lo, s10
	s_cbranch_execz .LBB66_18
; %bb.17:                               ;   in Loop: Header=BB66_2 Depth=1
	ds_load_u8 v56, v54 offset:1
	s_wait_dscnt 0x1
	v_mov_b32_e32 v53, v51
.LBB66_18:                              ;   in Loop: Header=BB66_2 Depth=1
	s_or_b32 exec_lo, exec_lo, s10
	v_add_nc_u32_e32 v57, 1, v55
	v_add_nc_u32_e32 v58, 1, v54
	s_wait_dscnt 0x0
	v_bfe_i32 v59, v53, 0, 8
	v_bfe_i32 v60, v56, 0, 8
	v_cndmask_b32_e64 v51, v51, v52, s9
	v_cndmask_b32_e64 v55, v57, v55, s9
	;; [unrolled: 1-line block ×4, first 2 shown]
	v_cmp_lt_i16_e64 s8, v60, v59
	v_cndmask_b32_e64 v47, v47, v48, s7
	v_cmp_ge_i32_e64 s9, v55, v11
	v_cmp_lt_i32_e64 s7, v52, v12
	s_wait_loadcnt 0x0
	s_barrier_signal -1
	s_barrier_wait -1
	s_or_b32 s8, s9, s8
	global_inv scope:SCOPE_SE
	s_wait_alu 0xfffe
	s_and_b32 s7, s7, s8
	s_wait_alu 0xfffe
	v_cndmask_b32_e64 v48, v53, v56, s7
	ds_store_b8 v1, v47
	ds_store_b8 v1, v49 offset:1
	ds_store_b8 v1, v51 offset:2
	;; [unrolled: 1-line block ×3, first 2 shown]
	v_mov_b32_e32 v47, v40
	s_wait_loadcnt_dscnt 0x0
	s_barrier_signal -1
	s_barrier_wait -1
	global_inv scope:SCOPE_SE
	s_and_saveexec_b32 s8, s1
	s_cbranch_execz .LBB66_22
; %bb.19:                               ;   in Loop: Header=BB66_2 Depth=1
	v_dual_mov_b32 v47, v40 :: v_dual_mov_b32 v48, v33
	s_mov_b32 s9, 0
.LBB66_20:                              ;   Parent Loop BB66_2 Depth=1
                                        ; =>  This Inner Loop Header: Depth=2
	s_delay_alu instid0(VALU_DEP_1) | instskip(NEXT) | instid1(VALU_DEP_1)
	v_sub_nc_u32_e32 v49, v48, v47
	v_lshrrev_b32_e32 v49, 1, v49
	s_delay_alu instid0(VALU_DEP_1) | instskip(NEXT) | instid1(VALU_DEP_1)
	v_add_nc_u32_e32 v49, v49, v47
	v_add_nc_u32_e32 v50, v3, v49
	v_xad_u32 v51, v49, -1, v26
	v_add_nc_u32_e32 v52, 1, v49
	ds_load_i8 v50, v50
	ds_load_i8 v51, v51
	s_wait_dscnt 0x0
	v_cmp_lt_i16_e64 s7, v51, v50
	s_wait_alu 0xf1ff
	s_delay_alu instid0(VALU_DEP_1) | instskip(SKIP_1) | instid1(VALU_DEP_1)
	v_cndmask_b32_e64 v48, v48, v49, s7
	v_cndmask_b32_e64 v47, v52, v47, s7
	v_cmp_ge_i32_e64 s7, v47, v48
	s_wait_alu 0xfffe
	s_or_b32 s9, s7, s9
	s_wait_alu 0xfffe
	s_and_not1_b32 exec_lo, exec_lo, s9
	s_cbranch_execnz .LBB66_20
; %bb.21:                               ;   in Loop: Header=BB66_2 Depth=1
	s_or_b32 exec_lo, exec_lo, s9
.LBB66_22:                              ;   in Loop: Header=BB66_2 Depth=1
	s_wait_alu 0xfffe
	s_or_b32 exec_lo, exec_lo, s8
	v_add_nc_u32_e32 v52, v47, v3
	v_sub_nc_u32_e32 v51, v26, v47
                                        ; implicit-def: $vgpr49
	ds_load_u8 v47, v52
	ds_load_u8 v48, v51
	v_cmp_le_i32_e64 s7, v13, v52
	v_cmp_gt_i32_e64 s9, v14, v51
	s_wait_dscnt 0x1
	v_bfe_i32 v47, v47, 0, 8
	s_wait_dscnt 0x0
	v_bfe_i32 v48, v48, 0, 8
	s_delay_alu instid0(VALU_DEP_1)
	v_cmp_lt_i16_e64 s8, v48, v47
	s_or_b32 s7, s7, s8
	s_wait_alu 0xfffe
	s_and_b32 s7, s9, s7
	s_wait_alu 0xfffe
	s_xor_b32 s8, s7, -1
	s_wait_alu 0xfffe
	s_and_saveexec_b32 s9, s8
	s_wait_alu 0xfffe
	s_xor_b32 s8, exec_lo, s9
; %bb.23:                               ;   in Loop: Header=BB66_2 Depth=1
	ds_load_u8 v49, v52 offset:1
; %bb.24:                               ;   in Loop: Header=BB66_2 Depth=1
	s_wait_alu 0xfffe
	s_or_saveexec_b32 s8, s8
	v_mov_b32_e32 v50, v48
	s_wait_alu 0xfffe
	s_xor_b32 exec_lo, exec_lo, s8
	s_cbranch_execz .LBB66_26
; %bb.25:                               ;   in Loop: Header=BB66_2 Depth=1
	ds_load_u8 v50, v51 offset:1
	s_wait_dscnt 0x1
	v_mov_b32_e32 v49, v47
.LBB66_26:                              ;   in Loop: Header=BB66_2 Depth=1
	s_or_b32 exec_lo, exec_lo, s8
	v_add_nc_u32_e32 v53, 1, v52
	v_add_nc_u32_e32 v55, 1, v51
	s_wait_dscnt 0x0
	v_bfe_i32 v56, v49, 0, 8
	s_delay_alu instid0(VALU_DEP_3) | instskip(SKIP_2) | instid1(VALU_DEP_3)
	v_cndmask_b32_e64 v54, v53, v52, s7
	v_bfe_i32 v52, v50, 0, 8
	v_cndmask_b32_e64 v53, v51, v55, s7
                                        ; implicit-def: $vgpr51
	v_cmp_ge_i32_e64 s8, v54, v13
	s_delay_alu instid0(VALU_DEP_3) | instskip(NEXT) | instid1(VALU_DEP_3)
	v_cmp_lt_i16_e64 s9, v52, v56
	v_cmp_lt_i32_e64 s10, v53, v14
	s_or_b32 s8, s8, s9
	s_wait_alu 0xfffe
	s_and_b32 s8, s10, s8
	s_wait_alu 0xfffe
	s_xor_b32 s9, s8, -1
	s_wait_alu 0xfffe
	s_and_saveexec_b32 s10, s9
	s_delay_alu instid0(SALU_CYCLE_1)
	s_xor_b32 s9, exec_lo, s10
; %bb.27:                               ;   in Loop: Header=BB66_2 Depth=1
	ds_load_u8 v51, v54 offset:1
; %bb.28:                               ;   in Loop: Header=BB66_2 Depth=1
	s_wait_alu 0xfffe
	s_or_saveexec_b32 s9, s9
	v_mov_b32_e32 v52, v50
	s_wait_alu 0xfffe
	s_xor_b32 exec_lo, exec_lo, s9
	s_cbranch_execz .LBB66_30
; %bb.29:                               ;   in Loop: Header=BB66_2 Depth=1
	ds_load_u8 v52, v53 offset:1
	s_wait_dscnt 0x1
	v_mov_b32_e32 v51, v49
.LBB66_30:                              ;   in Loop: Header=BB66_2 Depth=1
	s_or_b32 exec_lo, exec_lo, s9
	v_add_nc_u32_e32 v55, 1, v54
	v_add_nc_u32_e32 v56, 1, v53
	s_wait_dscnt 0x0
	v_bfe_i32 v57, v51, 0, 8
	v_bfe_i32 v58, v52, 0, 8
	v_cndmask_b32_e64 v55, v55, v54, s8
	v_cndmask_b32_e64 v54, v53, v56, s8
                                        ; implicit-def: $vgpr53
	s_delay_alu instid0(VALU_DEP_3) | instskip(NEXT) | instid1(VALU_DEP_3)
	v_cmp_lt_i16_e64 s10, v58, v57
	v_cmp_ge_i32_e64 s9, v55, v13
	s_delay_alu instid0(VALU_DEP_3)
	v_cmp_lt_i32_e64 s11, v54, v14
	s_or_b32 s9, s9, s10
	s_wait_alu 0xfffe
	s_and_b32 s9, s11, s9
	s_wait_alu 0xfffe
	s_xor_b32 s10, s9, -1
	s_delay_alu instid0(SALU_CYCLE_1) | instskip(NEXT) | instid1(SALU_CYCLE_1)
	s_and_saveexec_b32 s11, s10
	s_xor_b32 s10, exec_lo, s11
; %bb.31:                               ;   in Loop: Header=BB66_2 Depth=1
	ds_load_u8 v53, v55 offset:1
; %bb.32:                               ;   in Loop: Header=BB66_2 Depth=1
	s_or_saveexec_b32 s10, s10
	v_mov_b32_e32 v56, v52
	s_xor_b32 exec_lo, exec_lo, s10
	s_cbranch_execz .LBB66_34
; %bb.33:                               ;   in Loop: Header=BB66_2 Depth=1
	ds_load_u8 v56, v54 offset:1
	s_wait_dscnt 0x1
	v_mov_b32_e32 v53, v51
.LBB66_34:                              ;   in Loop: Header=BB66_2 Depth=1
	s_or_b32 exec_lo, exec_lo, s10
	v_add_nc_u32_e32 v57, 1, v55
	v_add_nc_u32_e32 v58, 1, v54
	s_wait_dscnt 0x0
	v_bfe_i32 v59, v53, 0, 8
	v_bfe_i32 v60, v56, 0, 8
	v_cndmask_b32_e64 v51, v51, v52, s9
	v_cndmask_b32_e64 v55, v57, v55, s9
	;; [unrolled: 1-line block ×4, first 2 shown]
	v_cmp_lt_i16_e64 s8, v60, v59
	v_cndmask_b32_e64 v47, v47, v48, s7
	v_cmp_ge_i32_e64 s9, v55, v13
	v_cmp_lt_i32_e64 s7, v52, v14
	s_wait_loadcnt 0x0
	s_barrier_signal -1
	s_barrier_wait -1
	s_or_b32 s8, s9, s8
	global_inv scope:SCOPE_SE
	s_wait_alu 0xfffe
	s_and_b32 s7, s7, s8
	s_wait_alu 0xfffe
	v_cndmask_b32_e64 v48, v53, v56, s7
	ds_store_b8 v1, v47
	ds_store_b8 v1, v49 offset:1
	ds_store_b8 v1, v51 offset:2
	;; [unrolled: 1-line block ×3, first 2 shown]
	v_mov_b32_e32 v47, v41
	s_wait_loadcnt_dscnt 0x0
	s_barrier_signal -1
	s_barrier_wait -1
	global_inv scope:SCOPE_SE
	s_and_saveexec_b32 s8, s2
	s_cbranch_execz .LBB66_38
; %bb.35:                               ;   in Loop: Header=BB66_2 Depth=1
	v_dual_mov_b32 v47, v41 :: v_dual_mov_b32 v48, v34
	s_mov_b32 s9, 0
.LBB66_36:                              ;   Parent Loop BB66_2 Depth=1
                                        ; =>  This Inner Loop Header: Depth=2
	s_delay_alu instid0(VALU_DEP_1) | instskip(NEXT) | instid1(VALU_DEP_1)
	v_sub_nc_u32_e32 v49, v48, v47
	v_lshrrev_b32_e32 v49, 1, v49
	s_delay_alu instid0(VALU_DEP_1) | instskip(NEXT) | instid1(VALU_DEP_1)
	v_add_nc_u32_e32 v49, v49, v47
	v_add_nc_u32_e32 v50, v4, v49
	v_xad_u32 v51, v49, -1, v27
	v_add_nc_u32_e32 v52, 1, v49
	ds_load_i8 v50, v50
	ds_load_i8 v51, v51
	s_wait_dscnt 0x0
	v_cmp_lt_i16_e64 s7, v51, v50
	s_wait_alu 0xf1ff
	s_delay_alu instid0(VALU_DEP_1) | instskip(SKIP_1) | instid1(VALU_DEP_1)
	v_cndmask_b32_e64 v48, v48, v49, s7
	v_cndmask_b32_e64 v47, v52, v47, s7
	v_cmp_ge_i32_e64 s7, v47, v48
	s_wait_alu 0xfffe
	s_or_b32 s9, s7, s9
	s_wait_alu 0xfffe
	s_and_not1_b32 exec_lo, exec_lo, s9
	s_cbranch_execnz .LBB66_36
; %bb.37:                               ;   in Loop: Header=BB66_2 Depth=1
	s_or_b32 exec_lo, exec_lo, s9
.LBB66_38:                              ;   in Loop: Header=BB66_2 Depth=1
	s_wait_alu 0xfffe
	s_or_b32 exec_lo, exec_lo, s8
	v_add_nc_u32_e32 v52, v47, v4
	v_sub_nc_u32_e32 v51, v27, v47
                                        ; implicit-def: $vgpr49
	ds_load_u8 v47, v52
	ds_load_u8 v48, v51
	v_cmp_le_i32_e64 s7, v15, v52
	v_cmp_gt_i32_e64 s9, v16, v51
	s_wait_dscnt 0x1
	v_bfe_i32 v47, v47, 0, 8
	s_wait_dscnt 0x0
	v_bfe_i32 v48, v48, 0, 8
	s_delay_alu instid0(VALU_DEP_1)
	v_cmp_lt_i16_e64 s8, v48, v47
	s_or_b32 s7, s7, s8
	s_wait_alu 0xfffe
	s_and_b32 s7, s9, s7
	s_wait_alu 0xfffe
	s_xor_b32 s8, s7, -1
	s_wait_alu 0xfffe
	s_and_saveexec_b32 s9, s8
	s_wait_alu 0xfffe
	s_xor_b32 s8, exec_lo, s9
; %bb.39:                               ;   in Loop: Header=BB66_2 Depth=1
	ds_load_u8 v49, v52 offset:1
; %bb.40:                               ;   in Loop: Header=BB66_2 Depth=1
	s_wait_alu 0xfffe
	s_or_saveexec_b32 s8, s8
	v_mov_b32_e32 v50, v48
	s_wait_alu 0xfffe
	s_xor_b32 exec_lo, exec_lo, s8
	s_cbranch_execz .LBB66_42
; %bb.41:                               ;   in Loop: Header=BB66_2 Depth=1
	ds_load_u8 v50, v51 offset:1
	s_wait_dscnt 0x1
	v_mov_b32_e32 v49, v47
.LBB66_42:                              ;   in Loop: Header=BB66_2 Depth=1
	s_or_b32 exec_lo, exec_lo, s8
	v_add_nc_u32_e32 v53, 1, v52
	v_add_nc_u32_e32 v55, 1, v51
	s_wait_dscnt 0x0
	v_bfe_i32 v56, v49, 0, 8
	s_delay_alu instid0(VALU_DEP_3) | instskip(SKIP_2) | instid1(VALU_DEP_3)
	v_cndmask_b32_e64 v54, v53, v52, s7
	v_bfe_i32 v52, v50, 0, 8
	v_cndmask_b32_e64 v53, v51, v55, s7
                                        ; implicit-def: $vgpr51
	v_cmp_ge_i32_e64 s8, v54, v15
	s_delay_alu instid0(VALU_DEP_3) | instskip(NEXT) | instid1(VALU_DEP_3)
	v_cmp_lt_i16_e64 s9, v52, v56
	v_cmp_lt_i32_e64 s10, v53, v16
	s_or_b32 s8, s8, s9
	s_wait_alu 0xfffe
	s_and_b32 s8, s10, s8
	s_wait_alu 0xfffe
	s_xor_b32 s9, s8, -1
	s_wait_alu 0xfffe
	s_and_saveexec_b32 s10, s9
	s_delay_alu instid0(SALU_CYCLE_1)
	s_xor_b32 s9, exec_lo, s10
; %bb.43:                               ;   in Loop: Header=BB66_2 Depth=1
	ds_load_u8 v51, v54 offset:1
; %bb.44:                               ;   in Loop: Header=BB66_2 Depth=1
	s_wait_alu 0xfffe
	s_or_saveexec_b32 s9, s9
	v_mov_b32_e32 v52, v50
	s_wait_alu 0xfffe
	s_xor_b32 exec_lo, exec_lo, s9
	s_cbranch_execz .LBB66_46
; %bb.45:                               ;   in Loop: Header=BB66_2 Depth=1
	ds_load_u8 v52, v53 offset:1
	s_wait_dscnt 0x1
	v_mov_b32_e32 v51, v49
.LBB66_46:                              ;   in Loop: Header=BB66_2 Depth=1
	s_or_b32 exec_lo, exec_lo, s9
	v_add_nc_u32_e32 v55, 1, v54
	v_add_nc_u32_e32 v56, 1, v53
	s_wait_dscnt 0x0
	v_bfe_i32 v57, v51, 0, 8
	v_bfe_i32 v58, v52, 0, 8
	v_cndmask_b32_e64 v55, v55, v54, s8
	v_cndmask_b32_e64 v54, v53, v56, s8
                                        ; implicit-def: $vgpr53
	s_delay_alu instid0(VALU_DEP_3) | instskip(NEXT) | instid1(VALU_DEP_3)
	v_cmp_lt_i16_e64 s10, v58, v57
	v_cmp_ge_i32_e64 s9, v55, v15
	s_delay_alu instid0(VALU_DEP_3)
	v_cmp_lt_i32_e64 s11, v54, v16
	s_or_b32 s9, s9, s10
	s_wait_alu 0xfffe
	s_and_b32 s9, s11, s9
	s_wait_alu 0xfffe
	s_xor_b32 s10, s9, -1
	s_delay_alu instid0(SALU_CYCLE_1) | instskip(NEXT) | instid1(SALU_CYCLE_1)
	s_and_saveexec_b32 s11, s10
	s_xor_b32 s10, exec_lo, s11
; %bb.47:                               ;   in Loop: Header=BB66_2 Depth=1
	ds_load_u8 v53, v55 offset:1
; %bb.48:                               ;   in Loop: Header=BB66_2 Depth=1
	s_or_saveexec_b32 s10, s10
	v_mov_b32_e32 v56, v52
	s_xor_b32 exec_lo, exec_lo, s10
	s_cbranch_execz .LBB66_50
; %bb.49:                               ;   in Loop: Header=BB66_2 Depth=1
	ds_load_u8 v56, v54 offset:1
	s_wait_dscnt 0x1
	v_mov_b32_e32 v53, v51
.LBB66_50:                              ;   in Loop: Header=BB66_2 Depth=1
	s_or_b32 exec_lo, exec_lo, s10
	v_add_nc_u32_e32 v57, 1, v55
	v_add_nc_u32_e32 v58, 1, v54
	s_wait_dscnt 0x0
	v_bfe_i32 v59, v53, 0, 8
	v_bfe_i32 v60, v56, 0, 8
	v_cndmask_b32_e64 v51, v51, v52, s9
	v_cndmask_b32_e64 v55, v57, v55, s9
	;; [unrolled: 1-line block ×4, first 2 shown]
	v_cmp_lt_i16_e64 s8, v60, v59
	v_cndmask_b32_e64 v47, v47, v48, s7
	v_cmp_ge_i32_e64 s9, v55, v15
	v_cmp_lt_i32_e64 s7, v52, v16
	s_wait_loadcnt 0x0
	s_barrier_signal -1
	s_barrier_wait -1
	s_or_b32 s8, s9, s8
	global_inv scope:SCOPE_SE
	s_wait_alu 0xfffe
	s_and_b32 s7, s7, s8
	s_wait_alu 0xfffe
	v_cndmask_b32_e64 v48, v53, v56, s7
	ds_store_b8 v1, v47
	ds_store_b8 v1, v49 offset:1
	ds_store_b8 v1, v51 offset:2
	;; [unrolled: 1-line block ×3, first 2 shown]
	v_mov_b32_e32 v47, v42
	s_wait_loadcnt_dscnt 0x0
	s_barrier_signal -1
	s_barrier_wait -1
	global_inv scope:SCOPE_SE
	s_and_saveexec_b32 s8, s3
	s_cbranch_execz .LBB66_54
; %bb.51:                               ;   in Loop: Header=BB66_2 Depth=1
	v_dual_mov_b32 v47, v42 :: v_dual_mov_b32 v48, v35
	s_mov_b32 s9, 0
.LBB66_52:                              ;   Parent Loop BB66_2 Depth=1
                                        ; =>  This Inner Loop Header: Depth=2
	s_delay_alu instid0(VALU_DEP_1) | instskip(NEXT) | instid1(VALU_DEP_1)
	v_sub_nc_u32_e32 v49, v48, v47
	v_lshrrev_b32_e32 v49, 1, v49
	s_delay_alu instid0(VALU_DEP_1) | instskip(NEXT) | instid1(VALU_DEP_1)
	v_add_nc_u32_e32 v49, v49, v47
	v_add_nc_u32_e32 v50, v5, v49
	v_xad_u32 v51, v49, -1, v28
	v_add_nc_u32_e32 v52, 1, v49
	ds_load_i8 v50, v50
	ds_load_i8 v51, v51
	s_wait_dscnt 0x0
	v_cmp_lt_i16_e64 s7, v51, v50
	s_wait_alu 0xf1ff
	s_delay_alu instid0(VALU_DEP_1) | instskip(SKIP_1) | instid1(VALU_DEP_1)
	v_cndmask_b32_e64 v48, v48, v49, s7
	v_cndmask_b32_e64 v47, v52, v47, s7
	v_cmp_ge_i32_e64 s7, v47, v48
	s_wait_alu 0xfffe
	s_or_b32 s9, s7, s9
	s_wait_alu 0xfffe
	s_and_not1_b32 exec_lo, exec_lo, s9
	s_cbranch_execnz .LBB66_52
; %bb.53:                               ;   in Loop: Header=BB66_2 Depth=1
	s_or_b32 exec_lo, exec_lo, s9
.LBB66_54:                              ;   in Loop: Header=BB66_2 Depth=1
	s_wait_alu 0xfffe
	s_or_b32 exec_lo, exec_lo, s8
	v_add_nc_u32_e32 v52, v47, v5
	v_sub_nc_u32_e32 v51, v28, v47
                                        ; implicit-def: $vgpr49
	ds_load_u8 v47, v52
	ds_load_u8 v48, v51
	v_cmp_le_i32_e64 s7, v17, v52
	v_cmp_gt_i32_e64 s9, v18, v51
	s_wait_dscnt 0x1
	v_bfe_i32 v47, v47, 0, 8
	s_wait_dscnt 0x0
	v_bfe_i32 v48, v48, 0, 8
	s_delay_alu instid0(VALU_DEP_1)
	v_cmp_lt_i16_e64 s8, v48, v47
	s_or_b32 s7, s7, s8
	s_wait_alu 0xfffe
	s_and_b32 s7, s9, s7
	s_wait_alu 0xfffe
	s_xor_b32 s8, s7, -1
	s_wait_alu 0xfffe
	s_and_saveexec_b32 s9, s8
	s_wait_alu 0xfffe
	s_xor_b32 s8, exec_lo, s9
; %bb.55:                               ;   in Loop: Header=BB66_2 Depth=1
	ds_load_u8 v49, v52 offset:1
; %bb.56:                               ;   in Loop: Header=BB66_2 Depth=1
	s_wait_alu 0xfffe
	s_or_saveexec_b32 s8, s8
	v_mov_b32_e32 v50, v48
	s_wait_alu 0xfffe
	s_xor_b32 exec_lo, exec_lo, s8
	s_cbranch_execz .LBB66_58
; %bb.57:                               ;   in Loop: Header=BB66_2 Depth=1
	ds_load_u8 v50, v51 offset:1
	s_wait_dscnt 0x1
	v_mov_b32_e32 v49, v47
.LBB66_58:                              ;   in Loop: Header=BB66_2 Depth=1
	s_or_b32 exec_lo, exec_lo, s8
	v_add_nc_u32_e32 v53, 1, v52
	v_add_nc_u32_e32 v55, 1, v51
	s_wait_dscnt 0x0
	v_bfe_i32 v56, v49, 0, 8
	s_delay_alu instid0(VALU_DEP_3) | instskip(SKIP_2) | instid1(VALU_DEP_3)
	v_cndmask_b32_e64 v54, v53, v52, s7
	v_bfe_i32 v52, v50, 0, 8
	v_cndmask_b32_e64 v53, v51, v55, s7
                                        ; implicit-def: $vgpr51
	v_cmp_ge_i32_e64 s8, v54, v17
	s_delay_alu instid0(VALU_DEP_3) | instskip(NEXT) | instid1(VALU_DEP_3)
	v_cmp_lt_i16_e64 s9, v52, v56
	v_cmp_lt_i32_e64 s10, v53, v18
	s_or_b32 s8, s8, s9
	s_wait_alu 0xfffe
	s_and_b32 s8, s10, s8
	s_wait_alu 0xfffe
	s_xor_b32 s9, s8, -1
	s_wait_alu 0xfffe
	s_and_saveexec_b32 s10, s9
	s_delay_alu instid0(SALU_CYCLE_1)
	s_xor_b32 s9, exec_lo, s10
; %bb.59:                               ;   in Loop: Header=BB66_2 Depth=1
	ds_load_u8 v51, v54 offset:1
; %bb.60:                               ;   in Loop: Header=BB66_2 Depth=1
	s_wait_alu 0xfffe
	s_or_saveexec_b32 s9, s9
	v_mov_b32_e32 v52, v50
	s_wait_alu 0xfffe
	s_xor_b32 exec_lo, exec_lo, s9
	s_cbranch_execz .LBB66_62
; %bb.61:                               ;   in Loop: Header=BB66_2 Depth=1
	ds_load_u8 v52, v53 offset:1
	s_wait_dscnt 0x1
	v_mov_b32_e32 v51, v49
.LBB66_62:                              ;   in Loop: Header=BB66_2 Depth=1
	s_or_b32 exec_lo, exec_lo, s9
	v_add_nc_u32_e32 v55, 1, v54
	v_add_nc_u32_e32 v56, 1, v53
	s_wait_dscnt 0x0
	v_bfe_i32 v57, v51, 0, 8
	v_bfe_i32 v58, v52, 0, 8
	v_cndmask_b32_e64 v55, v55, v54, s8
	v_cndmask_b32_e64 v54, v53, v56, s8
                                        ; implicit-def: $vgpr53
	s_delay_alu instid0(VALU_DEP_3) | instskip(NEXT) | instid1(VALU_DEP_3)
	v_cmp_lt_i16_e64 s10, v58, v57
	v_cmp_ge_i32_e64 s9, v55, v17
	s_delay_alu instid0(VALU_DEP_3)
	v_cmp_lt_i32_e64 s11, v54, v18
	s_or_b32 s9, s9, s10
	s_wait_alu 0xfffe
	s_and_b32 s9, s11, s9
	s_wait_alu 0xfffe
	s_xor_b32 s10, s9, -1
	s_delay_alu instid0(SALU_CYCLE_1) | instskip(NEXT) | instid1(SALU_CYCLE_1)
	s_and_saveexec_b32 s11, s10
	s_xor_b32 s10, exec_lo, s11
; %bb.63:                               ;   in Loop: Header=BB66_2 Depth=1
	ds_load_u8 v53, v55 offset:1
; %bb.64:                               ;   in Loop: Header=BB66_2 Depth=1
	s_or_saveexec_b32 s10, s10
	v_mov_b32_e32 v56, v52
	s_xor_b32 exec_lo, exec_lo, s10
	s_cbranch_execz .LBB66_66
; %bb.65:                               ;   in Loop: Header=BB66_2 Depth=1
	ds_load_u8 v56, v54 offset:1
	s_wait_dscnt 0x1
	v_mov_b32_e32 v53, v51
.LBB66_66:                              ;   in Loop: Header=BB66_2 Depth=1
	s_or_b32 exec_lo, exec_lo, s10
	v_add_nc_u32_e32 v57, 1, v55
	v_add_nc_u32_e32 v58, 1, v54
	s_wait_dscnt 0x0
	v_bfe_i32 v59, v53, 0, 8
	v_bfe_i32 v60, v56, 0, 8
	v_cndmask_b32_e64 v51, v51, v52, s9
	v_cndmask_b32_e64 v55, v57, v55, s9
	;; [unrolled: 1-line block ×4, first 2 shown]
	v_cmp_lt_i16_e64 s8, v60, v59
	v_cndmask_b32_e64 v47, v47, v48, s7
	v_cmp_ge_i32_e64 s9, v55, v17
	v_cmp_lt_i32_e64 s7, v52, v18
	s_wait_loadcnt 0x0
	s_barrier_signal -1
	s_barrier_wait -1
	s_or_b32 s8, s9, s8
	global_inv scope:SCOPE_SE
	s_wait_alu 0xfffe
	s_and_b32 s7, s7, s8
	s_wait_alu 0xfffe
	v_cndmask_b32_e64 v48, v53, v56, s7
	ds_store_b8 v1, v47
	ds_store_b8 v1, v49 offset:1
	ds_store_b8 v1, v51 offset:2
	;; [unrolled: 1-line block ×3, first 2 shown]
	v_mov_b32_e32 v47, v43
	s_wait_loadcnt_dscnt 0x0
	s_barrier_signal -1
	s_barrier_wait -1
	global_inv scope:SCOPE_SE
	s_and_saveexec_b32 s8, s4
	s_cbranch_execz .LBB66_70
; %bb.67:                               ;   in Loop: Header=BB66_2 Depth=1
	v_dual_mov_b32 v47, v43 :: v_dual_mov_b32 v48, v36
	s_mov_b32 s9, 0
.LBB66_68:                              ;   Parent Loop BB66_2 Depth=1
                                        ; =>  This Inner Loop Header: Depth=2
	s_delay_alu instid0(VALU_DEP_1) | instskip(NEXT) | instid1(VALU_DEP_1)
	v_sub_nc_u32_e32 v49, v48, v47
	v_lshrrev_b32_e32 v49, 1, v49
	s_delay_alu instid0(VALU_DEP_1) | instskip(NEXT) | instid1(VALU_DEP_1)
	v_add_nc_u32_e32 v49, v49, v47
	v_add_nc_u32_e32 v50, v6, v49
	v_xad_u32 v51, v49, -1, v29
	v_add_nc_u32_e32 v52, 1, v49
	ds_load_i8 v50, v50
	ds_load_i8 v51, v51
	s_wait_dscnt 0x0
	v_cmp_lt_i16_e64 s7, v51, v50
	s_wait_alu 0xf1ff
	s_delay_alu instid0(VALU_DEP_1) | instskip(SKIP_1) | instid1(VALU_DEP_1)
	v_cndmask_b32_e64 v48, v48, v49, s7
	v_cndmask_b32_e64 v47, v52, v47, s7
	v_cmp_ge_i32_e64 s7, v47, v48
	s_wait_alu 0xfffe
	s_or_b32 s9, s7, s9
	s_wait_alu 0xfffe
	s_and_not1_b32 exec_lo, exec_lo, s9
	s_cbranch_execnz .LBB66_68
; %bb.69:                               ;   in Loop: Header=BB66_2 Depth=1
	s_or_b32 exec_lo, exec_lo, s9
.LBB66_70:                              ;   in Loop: Header=BB66_2 Depth=1
	s_wait_alu 0xfffe
	s_or_b32 exec_lo, exec_lo, s8
	v_add_nc_u32_e32 v52, v47, v6
	v_sub_nc_u32_e32 v51, v29, v47
                                        ; implicit-def: $vgpr49
	ds_load_u8 v47, v52
	ds_load_u8 v48, v51
	v_cmp_le_i32_e64 s7, v19, v52
	v_cmp_gt_i32_e64 s9, v20, v51
	s_wait_dscnt 0x1
	v_bfe_i32 v47, v47, 0, 8
	s_wait_dscnt 0x0
	v_bfe_i32 v48, v48, 0, 8
	s_delay_alu instid0(VALU_DEP_1)
	v_cmp_lt_i16_e64 s8, v48, v47
	s_or_b32 s7, s7, s8
	s_wait_alu 0xfffe
	s_and_b32 s7, s9, s7
	s_wait_alu 0xfffe
	s_xor_b32 s8, s7, -1
	s_wait_alu 0xfffe
	s_and_saveexec_b32 s9, s8
	s_wait_alu 0xfffe
	s_xor_b32 s8, exec_lo, s9
; %bb.71:                               ;   in Loop: Header=BB66_2 Depth=1
	ds_load_u8 v49, v52 offset:1
; %bb.72:                               ;   in Loop: Header=BB66_2 Depth=1
	s_wait_alu 0xfffe
	s_or_saveexec_b32 s8, s8
	v_mov_b32_e32 v50, v48
	s_wait_alu 0xfffe
	s_xor_b32 exec_lo, exec_lo, s8
	s_cbranch_execz .LBB66_74
; %bb.73:                               ;   in Loop: Header=BB66_2 Depth=1
	ds_load_u8 v50, v51 offset:1
	s_wait_dscnt 0x1
	v_mov_b32_e32 v49, v47
.LBB66_74:                              ;   in Loop: Header=BB66_2 Depth=1
	s_or_b32 exec_lo, exec_lo, s8
	v_add_nc_u32_e32 v53, 1, v52
	v_add_nc_u32_e32 v55, 1, v51
	s_wait_dscnt 0x0
	v_bfe_i32 v56, v49, 0, 8
	s_delay_alu instid0(VALU_DEP_3) | instskip(SKIP_2) | instid1(VALU_DEP_3)
	v_cndmask_b32_e64 v54, v53, v52, s7
	v_bfe_i32 v52, v50, 0, 8
	v_cndmask_b32_e64 v53, v51, v55, s7
                                        ; implicit-def: $vgpr51
	v_cmp_ge_i32_e64 s8, v54, v19
	s_delay_alu instid0(VALU_DEP_3) | instskip(NEXT) | instid1(VALU_DEP_3)
	v_cmp_lt_i16_e64 s9, v52, v56
	v_cmp_lt_i32_e64 s10, v53, v20
	s_or_b32 s8, s8, s9
	s_wait_alu 0xfffe
	s_and_b32 s8, s10, s8
	s_wait_alu 0xfffe
	s_xor_b32 s9, s8, -1
	s_wait_alu 0xfffe
	s_and_saveexec_b32 s10, s9
	s_delay_alu instid0(SALU_CYCLE_1)
	s_xor_b32 s9, exec_lo, s10
; %bb.75:                               ;   in Loop: Header=BB66_2 Depth=1
	ds_load_u8 v51, v54 offset:1
; %bb.76:                               ;   in Loop: Header=BB66_2 Depth=1
	s_wait_alu 0xfffe
	s_or_saveexec_b32 s9, s9
	v_mov_b32_e32 v52, v50
	s_wait_alu 0xfffe
	s_xor_b32 exec_lo, exec_lo, s9
	s_cbranch_execz .LBB66_78
; %bb.77:                               ;   in Loop: Header=BB66_2 Depth=1
	ds_load_u8 v52, v53 offset:1
	s_wait_dscnt 0x1
	v_mov_b32_e32 v51, v49
.LBB66_78:                              ;   in Loop: Header=BB66_2 Depth=1
	s_or_b32 exec_lo, exec_lo, s9
	v_add_nc_u32_e32 v55, 1, v54
	v_add_nc_u32_e32 v56, 1, v53
	s_wait_dscnt 0x0
	v_bfe_i32 v57, v51, 0, 8
	v_bfe_i32 v58, v52, 0, 8
	v_cndmask_b32_e64 v55, v55, v54, s8
	v_cndmask_b32_e64 v54, v53, v56, s8
                                        ; implicit-def: $vgpr53
	s_delay_alu instid0(VALU_DEP_3) | instskip(NEXT) | instid1(VALU_DEP_3)
	v_cmp_lt_i16_e64 s10, v58, v57
	v_cmp_ge_i32_e64 s9, v55, v19
	s_delay_alu instid0(VALU_DEP_3)
	v_cmp_lt_i32_e64 s11, v54, v20
	s_or_b32 s9, s9, s10
	s_wait_alu 0xfffe
	s_and_b32 s9, s11, s9
	s_wait_alu 0xfffe
	s_xor_b32 s10, s9, -1
	s_delay_alu instid0(SALU_CYCLE_1) | instskip(NEXT) | instid1(SALU_CYCLE_1)
	s_and_saveexec_b32 s11, s10
	s_xor_b32 s10, exec_lo, s11
; %bb.79:                               ;   in Loop: Header=BB66_2 Depth=1
	ds_load_u8 v53, v55 offset:1
; %bb.80:                               ;   in Loop: Header=BB66_2 Depth=1
	s_or_saveexec_b32 s10, s10
	v_mov_b32_e32 v56, v52
	s_xor_b32 exec_lo, exec_lo, s10
	s_cbranch_execz .LBB66_82
; %bb.81:                               ;   in Loop: Header=BB66_2 Depth=1
	ds_load_u8 v56, v54 offset:1
	s_wait_dscnt 0x1
	v_mov_b32_e32 v53, v51
.LBB66_82:                              ;   in Loop: Header=BB66_2 Depth=1
	s_or_b32 exec_lo, exec_lo, s10
	v_add_nc_u32_e32 v57, 1, v55
	v_add_nc_u32_e32 v58, 1, v54
	s_wait_dscnt 0x0
	v_bfe_i32 v59, v53, 0, 8
	v_bfe_i32 v60, v56, 0, 8
	v_cndmask_b32_e64 v51, v51, v52, s9
	v_cndmask_b32_e64 v55, v57, v55, s9
	;; [unrolled: 1-line block ×4, first 2 shown]
	v_cmp_lt_i16_e64 s8, v60, v59
	v_cndmask_b32_e64 v47, v47, v48, s7
	v_cmp_ge_i32_e64 s9, v55, v19
	v_cmp_lt_i32_e64 s7, v52, v20
	s_wait_loadcnt 0x0
	s_barrier_signal -1
	s_barrier_wait -1
	s_or_b32 s8, s9, s8
	global_inv scope:SCOPE_SE
	s_wait_alu 0xfffe
	s_and_b32 s7, s7, s8
	s_wait_alu 0xfffe
	v_cndmask_b32_e64 v48, v53, v56, s7
	ds_store_b8 v1, v47
	ds_store_b8 v1, v49 offset:1
	ds_store_b8 v1, v51 offset:2
	;; [unrolled: 1-line block ×3, first 2 shown]
	v_mov_b32_e32 v47, v44
	s_wait_loadcnt_dscnt 0x0
	s_barrier_signal -1
	s_barrier_wait -1
	global_inv scope:SCOPE_SE
	s_and_saveexec_b32 s8, s5
	s_cbranch_execz .LBB66_86
; %bb.83:                               ;   in Loop: Header=BB66_2 Depth=1
	v_dual_mov_b32 v47, v44 :: v_dual_mov_b32 v48, v37
	s_mov_b32 s9, 0
.LBB66_84:                              ;   Parent Loop BB66_2 Depth=1
                                        ; =>  This Inner Loop Header: Depth=2
	s_delay_alu instid0(VALU_DEP_1) | instskip(NEXT) | instid1(VALU_DEP_1)
	v_sub_nc_u32_e32 v49, v48, v47
	v_lshrrev_b32_e32 v49, 1, v49
	s_delay_alu instid0(VALU_DEP_1) | instskip(NEXT) | instid1(VALU_DEP_1)
	v_add_nc_u32_e32 v49, v49, v47
	v_add_nc_u32_e32 v50, v7, v49
	v_xad_u32 v51, v49, -1, v30
	v_add_nc_u32_e32 v52, 1, v49
	ds_load_i8 v50, v50
	ds_load_i8 v51, v51
	s_wait_dscnt 0x0
	v_cmp_lt_i16_e64 s7, v51, v50
	s_wait_alu 0xf1ff
	s_delay_alu instid0(VALU_DEP_1) | instskip(SKIP_1) | instid1(VALU_DEP_1)
	v_cndmask_b32_e64 v48, v48, v49, s7
	v_cndmask_b32_e64 v47, v52, v47, s7
	v_cmp_ge_i32_e64 s7, v47, v48
	s_wait_alu 0xfffe
	s_or_b32 s9, s7, s9
	s_wait_alu 0xfffe
	s_and_not1_b32 exec_lo, exec_lo, s9
	s_cbranch_execnz .LBB66_84
; %bb.85:                               ;   in Loop: Header=BB66_2 Depth=1
	s_or_b32 exec_lo, exec_lo, s9
.LBB66_86:                              ;   in Loop: Header=BB66_2 Depth=1
	s_wait_alu 0xfffe
	s_or_b32 exec_lo, exec_lo, s8
	v_add_nc_u32_e32 v52, v47, v7
	v_sub_nc_u32_e32 v51, v30, v47
                                        ; implicit-def: $vgpr49
	ds_load_u8 v47, v52
	ds_load_u8 v48, v51
	v_cmp_le_i32_e64 s7, v21, v52
	v_cmp_gt_i32_e64 s9, v22, v51
	s_wait_dscnt 0x1
	v_bfe_i32 v47, v47, 0, 8
	s_wait_dscnt 0x0
	v_bfe_i32 v48, v48, 0, 8
	s_delay_alu instid0(VALU_DEP_1)
	v_cmp_lt_i16_e64 s8, v48, v47
	s_or_b32 s7, s7, s8
	s_wait_alu 0xfffe
	s_and_b32 s7, s9, s7
	s_wait_alu 0xfffe
	s_xor_b32 s8, s7, -1
	s_wait_alu 0xfffe
	s_and_saveexec_b32 s9, s8
	s_wait_alu 0xfffe
	s_xor_b32 s8, exec_lo, s9
; %bb.87:                               ;   in Loop: Header=BB66_2 Depth=1
	ds_load_u8 v49, v52 offset:1
; %bb.88:                               ;   in Loop: Header=BB66_2 Depth=1
	s_wait_alu 0xfffe
	s_or_saveexec_b32 s8, s8
	v_mov_b32_e32 v50, v48
	s_wait_alu 0xfffe
	s_xor_b32 exec_lo, exec_lo, s8
	s_cbranch_execz .LBB66_90
; %bb.89:                               ;   in Loop: Header=BB66_2 Depth=1
	ds_load_u8 v50, v51 offset:1
	s_wait_dscnt 0x1
	v_mov_b32_e32 v49, v47
.LBB66_90:                              ;   in Loop: Header=BB66_2 Depth=1
	s_or_b32 exec_lo, exec_lo, s8
	v_add_nc_u32_e32 v53, 1, v52
	v_add_nc_u32_e32 v55, 1, v51
	s_wait_dscnt 0x0
	v_bfe_i32 v56, v49, 0, 8
	s_delay_alu instid0(VALU_DEP_3) | instskip(SKIP_2) | instid1(VALU_DEP_3)
	v_cndmask_b32_e64 v54, v53, v52, s7
	v_bfe_i32 v52, v50, 0, 8
	v_cndmask_b32_e64 v53, v51, v55, s7
                                        ; implicit-def: $vgpr51
	v_cmp_ge_i32_e64 s8, v54, v21
	s_delay_alu instid0(VALU_DEP_3) | instskip(NEXT) | instid1(VALU_DEP_3)
	v_cmp_lt_i16_e64 s9, v52, v56
	v_cmp_lt_i32_e64 s10, v53, v22
	s_or_b32 s8, s8, s9
	s_wait_alu 0xfffe
	s_and_b32 s8, s10, s8
	s_wait_alu 0xfffe
	s_xor_b32 s9, s8, -1
	s_wait_alu 0xfffe
	s_and_saveexec_b32 s10, s9
	s_delay_alu instid0(SALU_CYCLE_1)
	s_xor_b32 s9, exec_lo, s10
; %bb.91:                               ;   in Loop: Header=BB66_2 Depth=1
	ds_load_u8 v51, v54 offset:1
; %bb.92:                               ;   in Loop: Header=BB66_2 Depth=1
	s_wait_alu 0xfffe
	s_or_saveexec_b32 s9, s9
	v_mov_b32_e32 v52, v50
	s_wait_alu 0xfffe
	s_xor_b32 exec_lo, exec_lo, s9
	s_cbranch_execz .LBB66_94
; %bb.93:                               ;   in Loop: Header=BB66_2 Depth=1
	ds_load_u8 v52, v53 offset:1
	s_wait_dscnt 0x1
	v_mov_b32_e32 v51, v49
.LBB66_94:                              ;   in Loop: Header=BB66_2 Depth=1
	s_or_b32 exec_lo, exec_lo, s9
	v_add_nc_u32_e32 v55, 1, v54
	v_add_nc_u32_e32 v56, 1, v53
	s_wait_dscnt 0x0
	v_bfe_i32 v57, v51, 0, 8
	v_bfe_i32 v58, v52, 0, 8
	v_cndmask_b32_e64 v55, v55, v54, s8
	v_cndmask_b32_e64 v54, v53, v56, s8
                                        ; implicit-def: $vgpr53
	s_delay_alu instid0(VALU_DEP_3) | instskip(NEXT) | instid1(VALU_DEP_3)
	v_cmp_lt_i16_e64 s10, v58, v57
	v_cmp_ge_i32_e64 s9, v55, v21
	s_delay_alu instid0(VALU_DEP_3)
	v_cmp_lt_i32_e64 s11, v54, v22
	s_or_b32 s9, s9, s10
	s_wait_alu 0xfffe
	s_and_b32 s9, s11, s9
	s_wait_alu 0xfffe
	s_xor_b32 s10, s9, -1
	s_delay_alu instid0(SALU_CYCLE_1) | instskip(NEXT) | instid1(SALU_CYCLE_1)
	s_and_saveexec_b32 s11, s10
	s_xor_b32 s10, exec_lo, s11
; %bb.95:                               ;   in Loop: Header=BB66_2 Depth=1
	ds_load_u8 v53, v55 offset:1
; %bb.96:                               ;   in Loop: Header=BB66_2 Depth=1
	s_or_saveexec_b32 s10, s10
	v_mov_b32_e32 v56, v52
	s_xor_b32 exec_lo, exec_lo, s10
	s_cbranch_execz .LBB66_98
; %bb.97:                               ;   in Loop: Header=BB66_2 Depth=1
	ds_load_u8 v56, v54 offset:1
	s_wait_dscnt 0x1
	v_mov_b32_e32 v53, v51
.LBB66_98:                              ;   in Loop: Header=BB66_2 Depth=1
	s_or_b32 exec_lo, exec_lo, s10
	v_add_nc_u32_e32 v57, 1, v55
	v_add_nc_u32_e32 v58, 1, v54
	s_wait_dscnt 0x0
	v_bfe_i32 v59, v53, 0, 8
	v_bfe_i32 v60, v56, 0, 8
	v_cndmask_b32_e64 v51, v51, v52, s9
	v_cndmask_b32_e64 v55, v57, v55, s9
	;; [unrolled: 1-line block ×4, first 2 shown]
	v_cmp_lt_i16_e64 s8, v60, v59
	v_cndmask_b32_e64 v47, v47, v48, s7
	v_cmp_ge_i32_e64 s9, v55, v21
	v_cmp_lt_i32_e64 s7, v52, v22
	s_wait_loadcnt 0x0
	s_barrier_signal -1
	s_barrier_wait -1
	s_or_b32 s8, s9, s8
	global_inv scope:SCOPE_SE
	s_wait_alu 0xfffe
	s_and_b32 s7, s7, s8
	s_wait_alu 0xfffe
	v_cndmask_b32_e64 v48, v53, v56, s7
	ds_store_b8 v1, v47
	ds_store_b8 v1, v49 offset:1
	ds_store_b8 v1, v51 offset:2
	;; [unrolled: 1-line block ×3, first 2 shown]
	v_mov_b32_e32 v47, v45
	s_wait_loadcnt_dscnt 0x0
	s_barrier_signal -1
	s_barrier_wait -1
	global_inv scope:SCOPE_SE
	s_and_saveexec_b32 s8, s6
	s_cbranch_execz .LBB66_102
; %bb.99:                               ;   in Loop: Header=BB66_2 Depth=1
	v_dual_mov_b32 v47, v45 :: v_dual_mov_b32 v48, v38
	s_mov_b32 s9, 0
.LBB66_100:                             ;   Parent Loop BB66_2 Depth=1
                                        ; =>  This Inner Loop Header: Depth=2
	s_delay_alu instid0(VALU_DEP_1) | instskip(NEXT) | instid1(VALU_DEP_1)
	v_sub_nc_u32_e32 v49, v48, v47
	v_lshrrev_b32_e32 v49, 1, v49
	s_delay_alu instid0(VALU_DEP_1) | instskip(NEXT) | instid1(VALU_DEP_1)
	v_add_nc_u32_e32 v49, v49, v47
	v_add_nc_u32_e32 v50, v8, v49
	v_xad_u32 v51, v49, -1, v31
	v_add_nc_u32_e32 v52, 1, v49
	ds_load_i8 v50, v50
	ds_load_i8 v51, v51
	s_wait_dscnt 0x0
	v_cmp_lt_i16_e64 s7, v51, v50
	s_wait_alu 0xf1ff
	s_delay_alu instid0(VALU_DEP_1) | instskip(SKIP_1) | instid1(VALU_DEP_1)
	v_cndmask_b32_e64 v48, v48, v49, s7
	v_cndmask_b32_e64 v47, v52, v47, s7
	v_cmp_ge_i32_e64 s7, v47, v48
	s_wait_alu 0xfffe
	s_or_b32 s9, s7, s9
	s_wait_alu 0xfffe
	s_and_not1_b32 exec_lo, exec_lo, s9
	s_cbranch_execnz .LBB66_100
; %bb.101:                              ;   in Loop: Header=BB66_2 Depth=1
	s_or_b32 exec_lo, exec_lo, s9
.LBB66_102:                             ;   in Loop: Header=BB66_2 Depth=1
	s_wait_alu 0xfffe
	s_or_b32 exec_lo, exec_lo, s8
	v_add_nc_u32_e32 v52, v47, v8
	v_sub_nc_u32_e32 v51, v31, v47
                                        ; implicit-def: $vgpr49
	ds_load_u8 v47, v52
	ds_load_u8 v48, v51
	v_cmp_le_i32_e64 s7, v23, v52
	v_cmp_gt_i32_e64 s9, v24, v51
	s_wait_dscnt 0x1
	v_bfe_i32 v47, v47, 0, 8
	s_wait_dscnt 0x0
	v_bfe_i32 v48, v48, 0, 8
	s_delay_alu instid0(VALU_DEP_1)
	v_cmp_lt_i16_e64 s8, v48, v47
	s_or_b32 s7, s7, s8
	s_wait_alu 0xfffe
	s_and_b32 s7, s9, s7
	s_wait_alu 0xfffe
	s_xor_b32 s8, s7, -1
	s_wait_alu 0xfffe
	s_and_saveexec_b32 s9, s8
	s_wait_alu 0xfffe
	s_xor_b32 s8, exec_lo, s9
; %bb.103:                              ;   in Loop: Header=BB66_2 Depth=1
	ds_load_u8 v49, v52 offset:1
; %bb.104:                              ;   in Loop: Header=BB66_2 Depth=1
	s_wait_alu 0xfffe
	s_or_saveexec_b32 s8, s8
	v_mov_b32_e32 v50, v48
	s_wait_alu 0xfffe
	s_xor_b32 exec_lo, exec_lo, s8
	s_cbranch_execz .LBB66_106
; %bb.105:                              ;   in Loop: Header=BB66_2 Depth=1
	ds_load_u8 v50, v51 offset:1
	s_wait_dscnt 0x1
	v_mov_b32_e32 v49, v47
.LBB66_106:                             ;   in Loop: Header=BB66_2 Depth=1
	s_or_b32 exec_lo, exec_lo, s8
	v_add_nc_u32_e32 v53, 1, v52
	v_add_nc_u32_e32 v55, 1, v51
	s_wait_dscnt 0x0
	v_bfe_i32 v56, v49, 0, 8
	s_delay_alu instid0(VALU_DEP_3) | instskip(SKIP_2) | instid1(VALU_DEP_3)
	v_cndmask_b32_e64 v54, v53, v52, s7
	v_bfe_i32 v52, v50, 0, 8
	v_cndmask_b32_e64 v53, v51, v55, s7
                                        ; implicit-def: $vgpr51
	v_cmp_ge_i32_e64 s8, v54, v23
	s_delay_alu instid0(VALU_DEP_3) | instskip(NEXT) | instid1(VALU_DEP_3)
	v_cmp_lt_i16_e64 s9, v52, v56
	v_cmp_lt_i32_e64 s10, v53, v24
	s_or_b32 s8, s8, s9
	s_wait_alu 0xfffe
	s_and_b32 s8, s10, s8
	s_wait_alu 0xfffe
	s_xor_b32 s9, s8, -1
	s_wait_alu 0xfffe
	s_and_saveexec_b32 s10, s9
	s_delay_alu instid0(SALU_CYCLE_1)
	s_xor_b32 s9, exec_lo, s10
; %bb.107:                              ;   in Loop: Header=BB66_2 Depth=1
	ds_load_u8 v51, v54 offset:1
; %bb.108:                              ;   in Loop: Header=BB66_2 Depth=1
	s_wait_alu 0xfffe
	s_or_saveexec_b32 s9, s9
	v_mov_b32_e32 v52, v50
	s_wait_alu 0xfffe
	s_xor_b32 exec_lo, exec_lo, s9
	s_cbranch_execz .LBB66_110
; %bb.109:                              ;   in Loop: Header=BB66_2 Depth=1
	ds_load_u8 v52, v53 offset:1
	s_wait_dscnt 0x1
	v_mov_b32_e32 v51, v49
.LBB66_110:                             ;   in Loop: Header=BB66_2 Depth=1
	s_or_b32 exec_lo, exec_lo, s9
	v_add_nc_u32_e32 v55, 1, v54
	v_add_nc_u32_e32 v56, 1, v53
	s_wait_dscnt 0x0
	v_bfe_i32 v57, v51, 0, 8
	v_bfe_i32 v58, v52, 0, 8
	v_cndmask_b32_e64 v55, v55, v54, s8
	v_cndmask_b32_e64 v54, v53, v56, s8
                                        ; implicit-def: $vgpr53
	s_delay_alu instid0(VALU_DEP_3) | instskip(NEXT) | instid1(VALU_DEP_3)
	v_cmp_lt_i16_e64 s10, v58, v57
	v_cmp_ge_i32_e64 s9, v55, v23
	s_delay_alu instid0(VALU_DEP_3)
	v_cmp_lt_i32_e64 s11, v54, v24
	s_or_b32 s9, s9, s10
	s_wait_alu 0xfffe
	s_and_b32 s9, s11, s9
	s_wait_alu 0xfffe
	s_xor_b32 s10, s9, -1
	s_delay_alu instid0(SALU_CYCLE_1) | instskip(NEXT) | instid1(SALU_CYCLE_1)
	s_and_saveexec_b32 s11, s10
	s_xor_b32 s10, exec_lo, s11
; %bb.111:                              ;   in Loop: Header=BB66_2 Depth=1
	ds_load_u8 v53, v55 offset:1
; %bb.112:                              ;   in Loop: Header=BB66_2 Depth=1
	s_or_saveexec_b32 s10, s10
	v_mov_b32_e32 v56, v52
	s_xor_b32 exec_lo, exec_lo, s10
	s_cbranch_execz .LBB66_114
; %bb.113:                              ;   in Loop: Header=BB66_2 Depth=1
	ds_load_u8 v56, v54 offset:1
	s_wait_dscnt 0x1
	v_mov_b32_e32 v53, v51
.LBB66_114:                             ;   in Loop: Header=BB66_2 Depth=1
	s_or_b32 exec_lo, exec_lo, s10
	v_add_nc_u32_e32 v57, 1, v55
	v_add_nc_u32_e32 v58, 1, v54
	s_wait_dscnt 0x0
	v_bfe_i32 v59, v53, 0, 8
	v_bfe_i32 v60, v56, 0, 8
	v_cndmask_b32_e64 v51, v51, v52, s9
	v_cndmask_b32_e64 v55, v57, v55, s9
	;; [unrolled: 1-line block ×4, first 2 shown]
	v_cmp_lt_i16_e64 s8, v60, v59
	v_cndmask_b32_e64 v47, v47, v48, s7
	v_cmp_ge_i32_e64 s9, v55, v23
	v_cmp_lt_i32_e64 s7, v52, v24
	s_wait_loadcnt 0x0
	s_barrier_signal -1
	s_barrier_wait -1
	s_or_b32 s8, s9, s8
	global_inv scope:SCOPE_SE
	s_wait_alu 0xfffe
	s_and_b32 s7, s7, s8
	s_wait_alu 0xfffe
	v_cndmask_b32_e64 v48, v53, v56, s7
	ds_store_b8 v1, v47
	ds_store_b8 v1, v49 offset:1
	ds_store_b8 v1, v51 offset:2
	;; [unrolled: 1-line block ×3, first 2 shown]
	v_mov_b32_e32 v51, v9
	s_wait_loadcnt_dscnt 0x0
	s_barrier_signal -1
	s_barrier_wait -1
	global_inv scope:SCOPE_SE
	s_and_saveexec_b32 s8, vcc_lo
	s_cbranch_execz .LBB66_118
; %bb.115:                              ;   in Loop: Header=BB66_2 Depth=1
	v_mov_b32_e32 v51, v9
	v_mov_b32_e32 v47, v10
	s_mov_b32 s9, 0
.LBB66_116:                             ;   Parent Loop BB66_2 Depth=1
                                        ; =>  This Inner Loop Header: Depth=2
	s_delay_alu instid0(VALU_DEP_1) | instskip(NEXT) | instid1(VALU_DEP_1)
	v_sub_nc_u32_e32 v48, v47, v51
	v_lshrrev_b32_e32 v48, 1, v48
	s_delay_alu instid0(VALU_DEP_1) | instskip(NEXT) | instid1(VALU_DEP_1)
	v_add_nc_u32_e32 v48, v48, v51
	v_xad_u32 v49, v48, -1, v46
	v_add_nc_u32_e32 v52, 1, v48
	ds_load_i8 v50, v48
	ds_load_i8 v49, v49
	s_wait_dscnt 0x0
	v_cmp_lt_i16_e64 s7, v49, v50
	s_wait_alu 0xf1ff
	s_delay_alu instid0(VALU_DEP_1) | instskip(SKIP_1) | instid1(VALU_DEP_1)
	v_cndmask_b32_e64 v47, v47, v48, s7
	v_cndmask_b32_e64 v51, v52, v51, s7
	v_cmp_ge_i32_e64 s7, v51, v47
	s_wait_alu 0xfffe
	s_or_b32 s9, s7, s9
	s_wait_alu 0xfffe
	s_and_not1_b32 exec_lo, exec_lo, s9
	s_cbranch_execnz .LBB66_116
; %bb.117:                              ;   in Loop: Header=BB66_2 Depth=1
	s_or_b32 exec_lo, exec_lo, s9
.LBB66_118:                             ;   in Loop: Header=BB66_2 Depth=1
	s_wait_alu 0xfffe
	s_or_b32 exec_lo, exec_lo, s8
	v_sub_nc_u32_e32 v52, v46, v51
	v_cmp_le_i32_e64 s7, 0x200, v51
                                        ; implicit-def: $vgpr49
	ds_load_u8 v47, v51
	ds_load_u8 v48, v52
	v_cmp_gt_i32_e64 s9, 0x400, v52
	s_wait_dscnt 0x1
	v_bfe_i32 v47, v47, 0, 8
	s_wait_dscnt 0x0
	v_bfe_i32 v48, v48, 0, 8
	s_delay_alu instid0(VALU_DEP_1)
	v_cmp_lt_i16_e64 s8, v48, v47
	s_or_b32 s7, s7, s8
	s_wait_alu 0xfffe
	s_and_b32 s7, s9, s7
	s_wait_alu 0xfffe
	s_xor_b32 s8, s7, -1
	s_wait_alu 0xfffe
	s_and_saveexec_b32 s9, s8
	s_wait_alu 0xfffe
	s_xor_b32 s8, exec_lo, s9
; %bb.119:                              ;   in Loop: Header=BB66_2 Depth=1
	ds_load_u8 v49, v51 offset:1
; %bb.120:                              ;   in Loop: Header=BB66_2 Depth=1
	s_wait_alu 0xfffe
	s_or_saveexec_b32 s8, s8
	v_mov_b32_e32 v50, v48
	s_wait_alu 0xfffe
	s_xor_b32 exec_lo, exec_lo, s8
	s_cbranch_execz .LBB66_122
; %bb.121:                              ;   in Loop: Header=BB66_2 Depth=1
	ds_load_u8 v50, v52 offset:1
	s_wait_dscnt 0x1
	v_mov_b32_e32 v49, v47
.LBB66_122:                             ;   in Loop: Header=BB66_2 Depth=1
	s_or_b32 exec_lo, exec_lo, s8
	v_add_nc_u32_e32 v53, 1, v51
	v_add_nc_u32_e32 v55, 1, v52
	s_wait_dscnt 0x0
	v_bfe_i32 v56, v49, 0, 8
	s_delay_alu instid0(VALU_DEP_3) | instskip(SKIP_2) | instid1(VALU_DEP_3)
	v_cndmask_b32_e64 v54, v53, v51, s7
	v_bfe_i32 v51, v50, 0, 8
	v_cndmask_b32_e64 v53, v52, v55, s7
	v_cmp_le_i32_e64 s8, 0x200, v54
	s_delay_alu instid0(VALU_DEP_3) | instskip(NEXT) | instid1(VALU_DEP_3)
	v_cmp_lt_i16_e64 s9, v51, v56
	v_cmp_gt_i32_e64 s10, 0x400, v53
                                        ; implicit-def: $vgpr51
	s_or_b32 s8, s8, s9
	s_wait_alu 0xfffe
	s_and_b32 s8, s10, s8
	s_wait_alu 0xfffe
	s_xor_b32 s9, s8, -1
	s_wait_alu 0xfffe
	s_and_saveexec_b32 s10, s9
	s_delay_alu instid0(SALU_CYCLE_1)
	s_xor_b32 s9, exec_lo, s10
; %bb.123:                              ;   in Loop: Header=BB66_2 Depth=1
	ds_load_u8 v51, v54 offset:1
; %bb.124:                              ;   in Loop: Header=BB66_2 Depth=1
	s_wait_alu 0xfffe
	s_or_saveexec_b32 s9, s9
	v_mov_b32_e32 v52, v50
	s_wait_alu 0xfffe
	s_xor_b32 exec_lo, exec_lo, s9
	s_cbranch_execz .LBB66_126
; %bb.125:                              ;   in Loop: Header=BB66_2 Depth=1
	ds_load_u8 v52, v53 offset:1
	s_wait_dscnt 0x1
	v_mov_b32_e32 v51, v49
.LBB66_126:                             ;   in Loop: Header=BB66_2 Depth=1
	s_or_b32 exec_lo, exec_lo, s9
	v_add_nc_u32_e32 v55, 1, v54
	v_add_nc_u32_e32 v57, 1, v53
	s_wait_dscnt 0x0
	v_bfe_i32 v58, v51, 0, 8
	s_delay_alu instid0(VALU_DEP_3) | instskip(SKIP_2) | instid1(VALU_DEP_3)
	v_cndmask_b32_e64 v56, v55, v54, s8
	v_bfe_i32 v54, v52, 0, 8
	v_cndmask_b32_e64 v53, v53, v57, s8
                                        ; implicit-def: $vgpr55
	v_cmp_le_i32_e64 s9, 0x200, v56
	s_delay_alu instid0(VALU_DEP_3) | instskip(NEXT) | instid1(VALU_DEP_3)
	v_cmp_lt_i16_e64 s10, v54, v58
	v_cmp_gt_i32_e64 s11, 0x400, v53
                                        ; implicit-def: $vgpr54
	s_or_b32 s9, s9, s10
	s_wait_alu 0xfffe
	s_and_b32 s9, s11, s9
	s_wait_alu 0xfffe
	s_xor_b32 s10, s9, -1
	s_delay_alu instid0(SALU_CYCLE_1) | instskip(NEXT) | instid1(SALU_CYCLE_1)
	s_and_saveexec_b32 s11, s10
	s_xor_b32 s10, exec_lo, s11
; %bb.127:                              ;   in Loop: Header=BB66_2 Depth=1
	ds_load_u8 v54, v56 offset:1
	v_add_nc_u32_e32 v55, 1, v56
                                        ; implicit-def: $vgpr56
; %bb.128:                              ;   in Loop: Header=BB66_2 Depth=1
	s_or_saveexec_b32 s10, s10
	v_mov_b32_e32 v57, v52
	s_xor_b32 exec_lo, exec_lo, s10
	s_cbranch_execz .LBB66_1
; %bb.129:                              ;   in Loop: Header=BB66_2 Depth=1
	ds_load_u8 v57, v53 offset:1
	s_wait_dscnt 0x1
	v_dual_mov_b32 v54, v51 :: v_dual_add_nc_u32 v53, 1, v53
	v_mov_b32_e32 v55, v56
	s_branch .LBB66_1
.LBB66_130:
	s_add_nc_u64 s[0:1], s[14:15], s[16:17]
	s_wait_alu 0xfffe
	v_add_co_u32 v0, s0, s0, v0
	s_wait_alu 0xf1ff
	v_add_co_ci_u32_e64 v1, null, s1, 0, s0
	s_clause 0x3
	global_store_b8 v[0:1], v47, off
	global_store_b8 v[0:1], v48, off offset:256
	global_store_b8 v[0:1], v49, off offset:512
	;; [unrolled: 1-line block ×3, first 2 shown]
	s_endpgm
	.section	.rodata,"a",@progbits
	.p2align	6, 0x0
	.amdhsa_kernel _Z16sort_keys_kernelIaLj256ELj4EN10test_utils4lessELj10EEvPKT_PS2_T2_
		.amdhsa_group_segment_fixed_size 1025
		.amdhsa_private_segment_fixed_size 0
		.amdhsa_kernarg_size 20
		.amdhsa_user_sgpr_count 2
		.amdhsa_user_sgpr_dispatch_ptr 0
		.amdhsa_user_sgpr_queue_ptr 0
		.amdhsa_user_sgpr_kernarg_segment_ptr 1
		.amdhsa_user_sgpr_dispatch_id 0
		.amdhsa_user_sgpr_private_segment_size 0
		.amdhsa_wavefront_size32 1
		.amdhsa_uses_dynamic_stack 0
		.amdhsa_enable_private_segment 0
		.amdhsa_system_sgpr_workgroup_id_x 1
		.amdhsa_system_sgpr_workgroup_id_y 0
		.amdhsa_system_sgpr_workgroup_id_z 0
		.amdhsa_system_sgpr_workgroup_info 0
		.amdhsa_system_vgpr_workitem_id 0
		.amdhsa_next_free_vgpr 64
		.amdhsa_next_free_sgpr 18
		.amdhsa_reserve_vcc 1
		.amdhsa_float_round_mode_32 0
		.amdhsa_float_round_mode_16_64 0
		.amdhsa_float_denorm_mode_32 3
		.amdhsa_float_denorm_mode_16_64 3
		.amdhsa_fp16_overflow 0
		.amdhsa_workgroup_processor_mode 1
		.amdhsa_memory_ordered 1
		.amdhsa_forward_progress 1
		.amdhsa_inst_pref_size 63
		.amdhsa_round_robin_scheduling 0
		.amdhsa_exception_fp_ieee_invalid_op 0
		.amdhsa_exception_fp_denorm_src 0
		.amdhsa_exception_fp_ieee_div_zero 0
		.amdhsa_exception_fp_ieee_overflow 0
		.amdhsa_exception_fp_ieee_underflow 0
		.amdhsa_exception_fp_ieee_inexact 0
		.amdhsa_exception_int_div_zero 0
	.end_amdhsa_kernel
	.section	.text._Z16sort_keys_kernelIaLj256ELj4EN10test_utils4lessELj10EEvPKT_PS2_T2_,"axG",@progbits,_Z16sort_keys_kernelIaLj256ELj4EN10test_utils4lessELj10EEvPKT_PS2_T2_,comdat
.Lfunc_end66:
	.size	_Z16sort_keys_kernelIaLj256ELj4EN10test_utils4lessELj10EEvPKT_PS2_T2_, .Lfunc_end66-_Z16sort_keys_kernelIaLj256ELj4EN10test_utils4lessELj10EEvPKT_PS2_T2_
                                        ; -- End function
	.set _Z16sort_keys_kernelIaLj256ELj4EN10test_utils4lessELj10EEvPKT_PS2_T2_.num_vgpr, 64
	.set _Z16sort_keys_kernelIaLj256ELj4EN10test_utils4lessELj10EEvPKT_PS2_T2_.num_agpr, 0
	.set _Z16sort_keys_kernelIaLj256ELj4EN10test_utils4lessELj10EEvPKT_PS2_T2_.numbered_sgpr, 18
	.set _Z16sort_keys_kernelIaLj256ELj4EN10test_utils4lessELj10EEvPKT_PS2_T2_.num_named_barrier, 0
	.set _Z16sort_keys_kernelIaLj256ELj4EN10test_utils4lessELj10EEvPKT_PS2_T2_.private_seg_size, 0
	.set _Z16sort_keys_kernelIaLj256ELj4EN10test_utils4lessELj10EEvPKT_PS2_T2_.uses_vcc, 1
	.set _Z16sort_keys_kernelIaLj256ELj4EN10test_utils4lessELj10EEvPKT_PS2_T2_.uses_flat_scratch, 0
	.set _Z16sort_keys_kernelIaLj256ELj4EN10test_utils4lessELj10EEvPKT_PS2_T2_.has_dyn_sized_stack, 0
	.set _Z16sort_keys_kernelIaLj256ELj4EN10test_utils4lessELj10EEvPKT_PS2_T2_.has_recursion, 0
	.set _Z16sort_keys_kernelIaLj256ELj4EN10test_utils4lessELj10EEvPKT_PS2_T2_.has_indirect_call, 0
	.section	.AMDGPU.csdata,"",@progbits
; Kernel info:
; codeLenInByte = 7948
; TotalNumSgprs: 20
; NumVgprs: 64
; ScratchSize: 0
; MemoryBound: 0
; FloatMode: 240
; IeeeMode: 1
; LDSByteSize: 1025 bytes/workgroup (compile time only)
; SGPRBlocks: 0
; VGPRBlocks: 7
; NumSGPRsForWavesPerEU: 20
; NumVGPRsForWavesPerEU: 64
; Occupancy: 16
; WaveLimiterHint : 1
; COMPUTE_PGM_RSRC2:SCRATCH_EN: 0
; COMPUTE_PGM_RSRC2:USER_SGPR: 2
; COMPUTE_PGM_RSRC2:TRAP_HANDLER: 0
; COMPUTE_PGM_RSRC2:TGID_X_EN: 1
; COMPUTE_PGM_RSRC2:TGID_Y_EN: 0
; COMPUTE_PGM_RSRC2:TGID_Z_EN: 0
; COMPUTE_PGM_RSRC2:TIDIG_COMP_CNT: 0
	.section	.text._Z17sort_pairs_kernelIaLj256ELj4EN10test_utils4lessELj10EEvPKT_PS2_T2_,"axG",@progbits,_Z17sort_pairs_kernelIaLj256ELj4EN10test_utils4lessELj10EEvPKT_PS2_T2_,comdat
	.protected	_Z17sort_pairs_kernelIaLj256ELj4EN10test_utils4lessELj10EEvPKT_PS2_T2_ ; -- Begin function _Z17sort_pairs_kernelIaLj256ELj4EN10test_utils4lessELj10EEvPKT_PS2_T2_
	.globl	_Z17sort_pairs_kernelIaLj256ELj4EN10test_utils4lessELj10EEvPKT_PS2_T2_
	.p2align	8
	.type	_Z17sort_pairs_kernelIaLj256ELj4EN10test_utils4lessELj10EEvPKT_PS2_T2_,@function
_Z17sort_pairs_kernelIaLj256ELj4EN10test_utils4lessELj10EEvPKT_PS2_T2_: ; @_Z17sort_pairs_kernelIaLj256ELj4EN10test_utils4lessELj10EEvPKT_PS2_T2_
; %bb.0:
	s_load_b128 s[16:19], s[0:1], 0x0
	s_lshl_b32 s20, ttmp9, 10
	s_mov_b32 s21, 0
	v_lshlrev_b32_e32 v1, 2, v0
	s_mov_b32 s22, s21
	s_delay_alu instid0(VALU_DEP_1)
	v_and_b32_e32 v2, 0x3f8, v1
	v_and_b32_e32 v3, 0x3f0, v1
	;; [unrolled: 1-line block ×5, first 2 shown]
	v_or_b32_e32 v11, 4, v2
	v_add_nc_u32_e32 v12, 8, v2
	v_or_b32_e32 v13, 8, v3
	v_add_nc_u32_e32 v14, 16, v3
	v_and_b32_e32 v5, 0x3c0, v1
	v_or_b32_e32 v15, 16, v4
	v_sub_nc_u32_e32 v46, v12, v11
	s_wait_kmcnt 0x0
	s_add_nc_u64 s[0:1], s[16:17], s[20:21]
	v_add_nc_u32_e32 v16, 32, v4
	s_clause 0x3
	global_load_u8 v53, v0, s[0:1]
	global_load_u8 v52, v0, s[0:1] offset:256
	global_load_u8 v54, v0, s[0:1] offset:512
	;; [unrolled: 1-line block ×3, first 2 shown]
	v_sub_nc_u32_e32 v32, v11, v2
	v_sub_nc_u32_e32 v47, v14, v13
	;; [unrolled: 1-line block ×3, first 2 shown]
	v_cmp_ge_i32_e64 s0, v39, v46
	v_and_b32_e32 v41, 28, v1
	v_and_b32_e32 v6, 0x380, v1
	v_or_b32_e32 v17, 32, v5
	v_add_nc_u32_e32 v18, 64, v5
	v_add_nc_u32_e32 v25, v11, v39
	v_sub_nc_u32_e32 v33, v13, v3
	v_sub_nc_u32_e32 v48, v16, v15
	v_min_i32_e32 v32, v39, v32
	v_sub_nc_u32_e32 v58, v40, v47
	v_cndmask_b32_e64 v39, 0, v57, s0
	v_cmp_ge_i32_e64 s0, v40, v47
	v_and_b32_e32 v42, 60, v1
	v_and_b32_e32 v7, 0x300, v1
	v_or_b32_e32 v19, 64, v6
	v_add_nc_u32_e32 v20, 0x80, v6
	v_add_nc_u32_e32 v26, v13, v40
	v_sub_nc_u32_e32 v34, v15, v4
	v_sub_nc_u32_e32 v49, v18, v17
	v_min_i32_e32 v33, v40, v33
	v_sub_nc_u32_e32 v59, v41, v48
	s_wait_alu 0xf1ff
	v_cndmask_b32_e64 v40, 0, v58, s0
	v_cmp_ge_i32_e64 s0, v41, v48
	v_and_b32_e32 v43, 0x7c, v1
	v_and_b32_e32 v8, 0x200, v1
	v_or_b32_e32 v21, 0x80, v7
	v_add_nc_u32_e32 v22, 0x100, v7
	v_add_nc_u32_e32 v27, v15, v41
	v_sub_nc_u32_e32 v35, v17, v5
	v_sub_nc_u32_e32 v50, v20, v19
	v_min_i32_e32 v34, v41, v34
	v_sub_nc_u32_e32 v60, v42, v49
	s_wait_alu 0xf1ff
	v_cndmask_b32_e64 v41, 0, v59, s0
	v_cmp_ge_i32_e64 s0, v42, v49
	v_and_b32_e32 v44, 0xfc, v1
	v_or_b32_e32 v23, 0x100, v8
	v_add_nc_u32_e32 v24, 0x200, v8
	v_add_nc_u32_e32 v28, v17, v42
	v_sub_nc_u32_e32 v36, v19, v6
	v_sub_nc_u32_e32 v55, v22, v21
	v_min_i32_e32 v35, v42, v35
	v_sub_nc_u32_e32 v61, v43, v50
	s_wait_alu 0xf1ff
	v_cndmask_b32_e64 v42, 0, v60, s0
	v_cmp_ge_i32_e64 s0, v43, v50
	v_and_b32_e32 v45, 0x1fc, v1
	v_add_nc_u32_e32 v29, v19, v43
	v_sub_nc_u32_e32 v37, v21, v7
	v_sub_nc_u32_e32 v56, v24, v23
	v_min_i32_e32 v36, v43, v36
	v_sub_nc_u32_e32 v62, v44, v55
	s_wait_alu 0xf1ff
	v_cndmask_b32_e64 v43, 0, v61, s0
	v_cmp_ge_i32_e64 s0, v44, v55
	v_add_nc_u32_e32 v30, v21, v44
	v_sub_nc_u32_e32 v38, v23, v8
	v_min_i32_e32 v37, v44, v37
	v_sub_nc_u32_e32 v63, v45, v56
	s_wait_alu 0xf1ff
	v_cndmask_b32_e64 v44, 0, v62, s0
	v_cmp_ge_i32_e64 s0, v45, v56
	v_add_nc_u32_e32 v31, v23, v45
	v_min_i32_e32 v38, v45, v38
	v_subrev_nc_u32_e64 v9, 0x200, v1 clamp
	v_min_i32_e32 v10, 0x200, v1
	s_wait_alu 0xf1ff
	v_cndmask_b32_e64 v45, 0, v63, s0
	v_cmp_lt_i32_e64 s0, v39, v32
	v_cmp_lt_i32_e64 s1, v40, v33
	;; [unrolled: 1-line block ×7, first 2 shown]
	v_add_nc_u32_e32 v46, 0x200, v1
	v_cmp_lt_i32_e32 vcc_lo, v9, v10
	s_wait_loadcnt 0x3
	v_add_nc_u16 v50, v53, 1
	s_wait_loadcnt 0x2
	v_add_nc_u16 v49, v52, 1
	;; [unrolled: 2-line block ×4, first 2 shown]
	s_branch .LBB67_2
.LBB67_1:                               ;   in Loop: Header=BB67_2 Depth=1
	s_or_b32 exec_lo, exec_lo, s10
	s_wait_dscnt 0x0
	s_delay_alu instid0(VALU_DEP_1)
	v_bfe_i32 v66, v63, 0, 8
	v_bfe_i32 v67, v65, 0, 8
	v_cmp_le_i32_e64 s10, 0x200, v62
	v_cmp_gt_i32_e64 s12, 0x400, v61
	v_cndmask_b32_e64 v56, v51, v56, s7
	v_cndmask_b32_e64 v59, v59, v60, s8
	v_cmp_lt_i16_e64 s11, v67, v66
	s_wait_loadcnt 0x0
	s_barrier_signal -1
	s_barrier_wait -1
	global_inv scope:SCOPE_SE
	s_or_b32 s10, s10, s11
	ds_store_b8 v1, v47
	ds_store_b8 v1, v49 offset:1
	ds_store_b8 v1, v50 offset:2
	;; [unrolled: 1-line block ×3, first 2 shown]
	s_wait_alu 0xfffe
	s_and_b32 s10, s12, s10
	s_wait_loadcnt_dscnt 0x0
	s_wait_alu 0xfffe
	v_cndmask_b32_e64 v60, v62, v61, s10
	s_barrier_signal -1
	s_barrier_wait -1
	global_inv scope:SCOPE_SE
	ds_load_u8 v50, v56
	ds_load_u8 v47, v64
	;; [unrolled: 1-line block ×4, first 2 shown]
	v_cndmask_b32_e64 v51, v63, v65, s10
	v_cndmask_b32_e64 v53, v52, v53, s7
	v_cndmask_b32_e64 v52, v54, v55, s8
	v_cndmask_b32_e64 v54, v57, v58, s9
	s_add_co_i32 s22, s22, 1
	s_delay_alu instid0(SALU_CYCLE_1)
	s_cmp_eq_u32 s22, 10
	s_cbranch_scc1 .LBB67_130
.LBB67_2:                               ; =>This Loop Header: Depth=1
                                        ;     Child Loop BB67_4 Depth 2
                                        ;     Child Loop BB67_20 Depth 2
                                        ;     Child Loop BB67_36 Depth 2
                                        ;     Child Loop BB67_52 Depth 2
                                        ;     Child Loop BB67_68 Depth 2
                                        ;     Child Loop BB67_84 Depth 2
                                        ;     Child Loop BB67_100 Depth 2
                                        ;     Child Loop BB67_116 Depth 2
	s_delay_alu instid0(VALU_DEP_1)
	v_perm_b32 v51, v54, v51, 0xc0c0004
	v_perm_b32 v54, v52, v53, 0xc0c0004
	;; [unrolled: 1-line block ×3, first 2 shown]
	v_bfe_i32 v53, v53, 0, 8
	v_bfe_i32 v52, v52, 0, 8
	v_lshlrev_b32_e32 v51, 16, v51
	s_barrier_signal -1
	s_barrier_wait -1
	s_delay_alu instid0(VALU_DEP_2) | instskip(NEXT) | instid1(VALU_DEP_2)
	v_cmp_lt_i16_e64 s7, v52, v53
	v_or_b32_e32 v54, v54, v51
	v_or_b32_e32 v51, v55, v51
	global_inv scope:SCOPE_SE
	s_wait_alu 0xf1ff
	v_cndmask_b32_e64 v51, v51, v54, s7
	s_delay_alu instid0(VALU_DEP_1) | instskip(SKIP_1) | instid1(VALU_DEP_2)
	v_lshrrev_b32_e32 v52, 16, v51
	v_lshrrev_b32_e32 v54, 24, v51
	v_perm_b32 v53, 0, v52, 0xc0c0001
	s_delay_alu instid0(VALU_DEP_2) | instskip(SKIP_1) | instid1(VALU_DEP_3)
	v_bfe_i32 v54, v54, 0, 8
	v_bfe_i32 v52, v52, 0, 8
	v_lshlrev_b32_e32 v53, 16, v53
	s_delay_alu instid0(VALU_DEP_2) | instskip(SKIP_1) | instid1(VALU_DEP_3)
	v_cmp_lt_i16_e64 s8, v54, v52
	v_min_i16 v52, v54, v52
	v_and_or_b32 v53, 0xffff, v51, v53
	s_delay_alu instid0(VALU_DEP_2) | instskip(SKIP_1) | instid1(VALU_DEP_2)
	v_lshlrev_b16 v54, 8, v52
	s_wait_alu 0xf1ff
	v_cndmask_b32_e64 v51, v51, v53, s8
	s_delay_alu instid0(VALU_DEP_1) | instskip(SKIP_2) | instid1(VALU_DEP_3)
	v_lshrrev_b32_e32 v53, 16, v51
	v_lshrrev_b16 v55, 8, v51
	v_and_b32_e32 v56, 0xff, v51
	v_and_b32_e32 v53, 0xffffff00, v53
	s_delay_alu instid0(VALU_DEP_2) | instskip(NEXT) | instid1(VALU_DEP_2)
	v_or_b32_e32 v54, v56, v54
	v_or_b32_e32 v53, v55, v53
	v_lshrrev_b32_e32 v55, 8, v51
	s_delay_alu instid0(VALU_DEP_3) | instskip(NEXT) | instid1(VALU_DEP_3)
	v_and_b32_e32 v54, 0xffff, v54
	v_lshlrev_b32_e32 v53, 16, v53
	s_delay_alu instid0(VALU_DEP_3) | instskip(NEXT) | instid1(VALU_DEP_2)
	v_bfe_i32 v55, v55, 0, 8
	v_or_b32_e32 v53, v54, v53
	s_delay_alu instid0(VALU_DEP_2) | instskip(SKIP_2) | instid1(VALU_DEP_2)
	v_cmp_lt_i16_e64 s9, v52, v55
	v_min_i16 v54, v52, v55
	s_wait_alu 0xf1ff
	v_cndmask_b32_e64 v51, v51, v53, s9
	s_delay_alu instid0(VALU_DEP_2) | instskip(NEXT) | instid1(VALU_DEP_2)
	v_and_b32_e32 v52, 0xff, v54
	v_lshlrev_b16 v53, 8, v51
	s_delay_alu instid0(VALU_DEP_1) | instskip(SKIP_1) | instid1(VALU_DEP_2)
	v_or_b32_e32 v52, v52, v53
	v_bfe_i32 v53, v51, 0, 8
	v_and_b32_e32 v52, 0xffff, v52
	s_delay_alu instid0(VALU_DEP_2) | instskip(NEXT) | instid1(VALU_DEP_2)
	v_cmp_lt_i16_e64 s11, v54, v53
	v_and_or_b32 v52, 0xffff0000, v51, v52
	s_wait_alu 0xf1ff
	s_delay_alu instid0(VALU_DEP_1) | instskip(NEXT) | instid1(VALU_DEP_1)
	v_cndmask_b32_e64 v51, v51, v52, s11
	v_lshrrev_b32_e32 v52, 16, v51
	v_lshrrev_b32_e32 v54, 24, v51
	s_delay_alu instid0(VALU_DEP_2) | instskip(NEXT) | instid1(VALU_DEP_2)
	v_perm_b32 v53, 0, v52, 0xc0c0001
	v_bfe_i32 v54, v54, 0, 8
	v_bfe_i32 v52, v52, 0, 8
	s_delay_alu instid0(VALU_DEP_3) | instskip(NEXT) | instid1(VALU_DEP_2)
	v_lshlrev_b32_e32 v53, 16, v53
	v_cmp_lt_i16_e64 s10, v54, v52
	v_min_i16 v52, v54, v52
	s_delay_alu instid0(VALU_DEP_3) | instskip(NEXT) | instid1(VALU_DEP_2)
	v_and_or_b32 v53, 0xffff, v51, v53
	v_lshlrev_b16 v54, 8, v52
	s_wait_alu 0xf1ff
	s_delay_alu instid0(VALU_DEP_2) | instskip(NEXT) | instid1(VALU_DEP_1)
	v_cndmask_b32_e64 v51, v51, v53, s10
	v_lshrrev_b32_e32 v53, 16, v51
	v_lshrrev_b16 v55, 8, v51
	v_and_b32_e32 v56, 0xff, v51
	s_delay_alu instid0(VALU_DEP_3) | instskip(NEXT) | instid1(VALU_DEP_2)
	v_and_b32_e32 v53, 0xffffff00, v53
	v_or_b32_e32 v54, v56, v54
	s_delay_alu instid0(VALU_DEP_2) | instskip(SKIP_1) | instid1(VALU_DEP_3)
	v_or_b32_e32 v53, v55, v53
	v_lshrrev_b32_e32 v55, 8, v51
	v_and_b32_e32 v54, 0xffff, v54
	s_delay_alu instid0(VALU_DEP_3) | instskip(NEXT) | instid1(VALU_DEP_3)
	v_lshlrev_b32_e32 v53, 16, v53
	v_bfe_i32 v55, v55, 0, 8
	s_delay_alu instid0(VALU_DEP_2) | instskip(NEXT) | instid1(VALU_DEP_2)
	v_or_b32_e32 v53, v54, v53
	v_cmp_lt_i16_e64 s12, v52, v55
	s_wait_alu 0xf1ff
	s_delay_alu instid0(VALU_DEP_1)
	v_cndmask_b32_e64 v52, v51, v53, s12
	v_mov_b32_e32 v51, v39
	ds_store_b32 v1, v52
	s_wait_loadcnt_dscnt 0x0
	s_barrier_signal -1
	s_barrier_wait -1
	global_inv scope:SCOPE_SE
	s_and_saveexec_b32 s14, s0
	s_cbranch_execz .LBB67_6
; %bb.3:                                ;   in Loop: Header=BB67_2 Depth=1
	v_dual_mov_b32 v51, v39 :: v_dual_mov_b32 v52, v32
	s_mov_b32 s15, 0
.LBB67_4:                               ;   Parent Loop BB67_2 Depth=1
                                        ; =>  This Inner Loop Header: Depth=2
	s_delay_alu instid0(VALU_DEP_1) | instskip(NEXT) | instid1(VALU_DEP_1)
	v_sub_nc_u32_e32 v53, v52, v51
	v_lshrrev_b32_e32 v53, 1, v53
	s_delay_alu instid0(VALU_DEP_1) | instskip(NEXT) | instid1(VALU_DEP_1)
	v_add_nc_u32_e32 v53, v53, v51
	v_add_nc_u32_e32 v54, v2, v53
	v_xad_u32 v55, v53, -1, v25
	v_add_nc_u32_e32 v56, 1, v53
	ds_load_i8 v54, v54
	ds_load_i8 v55, v55
	s_wait_dscnt 0x0
	v_cmp_lt_i16_e64 s13, v55, v54
	s_wait_alu 0xf1ff
	s_delay_alu instid0(VALU_DEP_1) | instskip(SKIP_1) | instid1(VALU_DEP_1)
	v_cndmask_b32_e64 v52, v52, v53, s13
	v_cndmask_b32_e64 v51, v56, v51, s13
	v_cmp_ge_i32_e64 s13, v51, v52
	s_wait_alu 0xfffe
	s_or_b32 s15, s13, s15
	s_wait_alu 0xfffe
	s_and_not1_b32 exec_lo, exec_lo, s15
	s_cbranch_execnz .LBB67_4
; %bb.5:                                ;   in Loop: Header=BB67_2 Depth=1
	s_or_b32 exec_lo, exec_lo, s15
.LBB67_6:                               ;   in Loop: Header=BB67_2 Depth=1
	s_wait_alu 0xfffe
	s_or_b32 exec_lo, exec_lo, s14
	v_add_nc_u32_e32 v55, v51, v2
	v_sub_nc_u32_e32 v56, v25, v51
                                        ; implicit-def: $vgpr53
	ds_load_u8 v51, v55
	ds_load_u8 v52, v56
	v_cmp_le_i32_e64 s13, v11, v55
	v_cmp_gt_i32_e64 s15, v12, v56
	s_wait_dscnt 0x1
	v_bfe_i32 v51, v51, 0, 8
	s_wait_dscnt 0x0
	v_bfe_i32 v52, v52, 0, 8
	s_delay_alu instid0(VALU_DEP_1)
	v_cmp_lt_i16_e64 s14, v52, v51
	s_or_b32 s13, s13, s14
	s_wait_alu 0xfffe
	s_and_b32 s13, s15, s13
	s_wait_alu 0xfffe
	s_xor_b32 s14, s13, -1
	s_wait_alu 0xfffe
	s_and_saveexec_b32 s15, s14
	s_wait_alu 0xfffe
	s_xor_b32 s14, exec_lo, s15
; %bb.7:                                ;   in Loop: Header=BB67_2 Depth=1
	ds_load_u8 v53, v55 offset:1
; %bb.8:                                ;   in Loop: Header=BB67_2 Depth=1
	s_wait_alu 0xfffe
	s_or_saveexec_b32 s14, s14
	v_mov_b32_e32 v54, v52
	s_wait_alu 0xfffe
	s_xor_b32 exec_lo, exec_lo, s14
	s_cbranch_execz .LBB67_10
; %bb.9:                                ;   in Loop: Header=BB67_2 Depth=1
	ds_load_u8 v54, v56 offset:1
	s_wait_dscnt 0x1
	v_mov_b32_e32 v53, v51
.LBB67_10:                              ;   in Loop: Header=BB67_2 Depth=1
	s_or_b32 exec_lo, exec_lo, s14
	v_add_nc_u32_e32 v57, 1, v55
	v_add_nc_u32_e32 v58, 1, v56
	s_wait_dscnt 0x0
	v_bfe_i32 v61, v53, 0, 8
	s_delay_alu instid0(VALU_DEP_3) | instskip(SKIP_2) | instid1(VALU_DEP_3)
	v_cndmask_b32_e64 v59, v57, v55, s13
	v_bfe_i32 v57, v54, 0, 8
	v_cndmask_b32_e64 v60, v56, v58, s13
	v_cmp_ge_i32_e64 s14, v59, v11
	s_delay_alu instid0(VALU_DEP_3) | instskip(NEXT) | instid1(VALU_DEP_3)
	v_cmp_lt_i16_e64 s15, v57, v61
	v_cmp_lt_i32_e64 s16, v60, v12
                                        ; implicit-def: $vgpr57
	s_or_b32 s14, s14, s15
	s_wait_alu 0xfffe
	s_and_b32 s14, s16, s14
	s_wait_alu 0xfffe
	s_xor_b32 s15, s14, -1
	s_wait_alu 0xfffe
	s_and_saveexec_b32 s16, s15
	s_delay_alu instid0(SALU_CYCLE_1)
	s_xor_b32 s15, exec_lo, s16
; %bb.11:                               ;   in Loop: Header=BB67_2 Depth=1
	ds_load_u8 v57, v59 offset:1
; %bb.12:                               ;   in Loop: Header=BB67_2 Depth=1
	s_wait_alu 0xfffe
	s_or_saveexec_b32 s15, s15
	v_mov_b32_e32 v58, v54
	s_wait_alu 0xfffe
	s_xor_b32 exec_lo, exec_lo, s15
	s_cbranch_execz .LBB67_14
; %bb.13:                               ;   in Loop: Header=BB67_2 Depth=1
	ds_load_u8 v58, v60 offset:1
	s_wait_dscnt 0x1
	v_mov_b32_e32 v57, v53
.LBB67_14:                              ;   in Loop: Header=BB67_2 Depth=1
	s_or_b32 exec_lo, exec_lo, s15
	v_add_nc_u32_e32 v61, 1, v59
	v_add_nc_u32_e32 v62, 1, v60
	s_wait_dscnt 0x0
	v_bfe_i32 v64, v57, 0, 8
	s_delay_alu instid0(VALU_DEP_3) | instskip(SKIP_2) | instid1(VALU_DEP_3)
	v_cndmask_b32_e64 v63, v61, v59, s14
	v_bfe_i32 v61, v58, 0, 8
	v_cndmask_b32_e64 v62, v60, v62, s14
	v_cmp_ge_i32_e64 s15, v63, v11
	s_delay_alu instid0(VALU_DEP_3) | instskip(NEXT) | instid1(VALU_DEP_3)
	v_cmp_lt_i16_e64 s16, v61, v64
	v_cmp_lt_i32_e64 s17, v62, v12
                                        ; implicit-def: $vgpr61
	s_or_b32 s15, s15, s16
	s_wait_alu 0xfffe
	s_and_b32 s15, s17, s15
	s_wait_alu 0xfffe
	s_xor_b32 s16, s15, -1
	s_delay_alu instid0(SALU_CYCLE_1) | instskip(NEXT) | instid1(SALU_CYCLE_1)
	s_and_saveexec_b32 s17, s16
	s_xor_b32 s16, exec_lo, s17
; %bb.15:                               ;   in Loop: Header=BB67_2 Depth=1
	ds_load_u8 v61, v63 offset:1
; %bb.16:                               ;   in Loop: Header=BB67_2 Depth=1
	s_or_saveexec_b32 s16, s16
	v_mov_b32_e32 v64, v58
	s_xor_b32 exec_lo, exec_lo, s16
	s_cbranch_execz .LBB67_18
; %bb.17:                               ;   in Loop: Header=BB67_2 Depth=1
	ds_load_u8 v64, v62 offset:1
	s_wait_dscnt 0x1
	v_mov_b32_e32 v61, v57
.LBB67_18:                              ;   in Loop: Header=BB67_2 Depth=1
	s_or_b32 exec_lo, exec_lo, s16
	v_perm_b32 v65, v49, v50, 0xc0c0004
	v_perm_b32 v49, v50, v49, 0xc0c0004
	;; [unrolled: 1-line block ×3, first 2 shown]
	v_add_nc_u32_e32 v50, 1, v63
	v_cndmask_b32_e64 v59, v59, v60, s14
	v_cndmask_b32_e64 v55, v55, v56, s13
	;; [unrolled: 1-line block ×3, first 2 shown]
	v_perm_b32 v49, 0, v47, 0xc0c0001
	s_wait_dscnt 0x0
	v_bfe_i32 v56, v61, 0, 8
	v_bfe_i32 v60, v64, 0, 8
	v_cndmask_b32_e64 v50, v50, v63, s15
	v_lshl_or_b32 v47, v47, 16, v48
	v_lshlrev_b32_e32 v48, 16, v49
	v_add_nc_u32_e32 v49, 1, v62
	v_cmp_lt_i16_e64 s7, v60, v56
	v_cndmask_b32_e64 v65, v63, v62, s15
	s_wait_loadcnt 0x0
	v_and_or_b32 v48, 0xffff, v47, v48
	s_barrier_signal -1
	s_barrier_wait -1
	global_inv scope:SCOPE_SE
	v_cndmask_b32_e64 v51, v51, v52, s13
	v_cndmask_b32_e64 v47, v47, v48, s8
	v_cmp_ge_i32_e64 s8, v50, v11
	v_cndmask_b32_e64 v53, v53, v54, s14
	s_delay_alu instid0(VALU_DEP_3) | instskip(SKIP_1) | instid1(VALU_DEP_1)
	v_perm_b32 v48, v47, v47, 0x7050604
	s_or_b32 s7, s8, s7
	v_cndmask_b32_e64 v47, v47, v48, s9
	s_delay_alu instid0(VALU_DEP_1) | instskip(NEXT) | instid1(VALU_DEP_1)
	v_perm_b32 v48, 0, v47, 0xc0c0001
	v_and_or_b32 v48, 0xffff0000, v47, v48
	s_delay_alu instid0(VALU_DEP_1) | instskip(NEXT) | instid1(VALU_DEP_1)
	v_cndmask_b32_e64 v47, v47, v48, s11
	v_lshrrev_b32_e32 v48, 16, v47
	s_delay_alu instid0(VALU_DEP_1) | instskip(NEXT) | instid1(VALU_DEP_1)
	v_perm_b32 v48, 0, v48, 0xc0c0001
	v_lshlrev_b32_e32 v48, 16, v48
	s_delay_alu instid0(VALU_DEP_1) | instskip(NEXT) | instid1(VALU_DEP_1)
	v_and_or_b32 v48, 0xffff, v47, v48
	v_cndmask_b32_e64 v47, v47, v48, s10
	v_cndmask_b32_e64 v48, v62, v49, s15
	s_delay_alu instid0(VALU_DEP_2) | instskip(NEXT) | instid1(VALU_DEP_2)
	v_perm_b32 v49, v47, v47, 0x7050604
	v_cmp_lt_i32_e64 s9, v48, v12
	s_delay_alu instid0(VALU_DEP_2)
	v_cndmask_b32_e64 v47, v47, v49, s12
	s_wait_alu 0xfffe
	s_and_b32 s7, s9, s7
	s_wait_alu 0xfffe
	v_cndmask_b32_e64 v48, v50, v48, s7
	v_cndmask_b32_e64 v56, v61, v64, s7
	ds_store_b32 v1, v47
	s_wait_loadcnt_dscnt 0x0
	s_barrier_signal -1
	s_barrier_wait -1
	global_inv scope:SCOPE_SE
	ds_load_u8 v47, v55
	ds_load_u8 v48, v48
	;; [unrolled: 1-line block ×4, first 2 shown]
	v_cndmask_b32_e64 v55, v57, v58, s15
	s_wait_loadcnt_dscnt 0x0
	s_barrier_signal -1
	s_barrier_wait -1
	global_inv scope:SCOPE_SE
	ds_store_b8 v1, v51
	ds_store_b8 v1, v53 offset:1
	ds_store_b8 v1, v55 offset:2
	;; [unrolled: 1-line block ×3, first 2 shown]
	v_mov_b32_e32 v51, v40
	s_wait_loadcnt_dscnt 0x0
	s_barrier_signal -1
	s_barrier_wait -1
	global_inv scope:SCOPE_SE
	s_and_saveexec_b32 s8, s1
	s_cbranch_execz .LBB67_22
; %bb.19:                               ;   in Loop: Header=BB67_2 Depth=1
	v_dual_mov_b32 v51, v40 :: v_dual_mov_b32 v52, v33
	s_mov_b32 s9, 0
.LBB67_20:                              ;   Parent Loop BB67_2 Depth=1
                                        ; =>  This Inner Loop Header: Depth=2
	s_delay_alu instid0(VALU_DEP_1) | instskip(NEXT) | instid1(VALU_DEP_1)
	v_sub_nc_u32_e32 v53, v52, v51
	v_lshrrev_b32_e32 v53, 1, v53
	s_delay_alu instid0(VALU_DEP_1) | instskip(NEXT) | instid1(VALU_DEP_1)
	v_add_nc_u32_e32 v53, v53, v51
	v_add_nc_u32_e32 v54, v3, v53
	v_xad_u32 v55, v53, -1, v26
	v_add_nc_u32_e32 v56, 1, v53
	ds_load_i8 v54, v54
	ds_load_i8 v55, v55
	s_wait_dscnt 0x0
	v_cmp_lt_i16_e64 s7, v55, v54
	s_wait_alu 0xf1ff
	s_delay_alu instid0(VALU_DEP_1) | instskip(SKIP_1) | instid1(VALU_DEP_1)
	v_cndmask_b32_e64 v52, v52, v53, s7
	v_cndmask_b32_e64 v51, v56, v51, s7
	v_cmp_ge_i32_e64 s7, v51, v52
	s_wait_alu 0xfffe
	s_or_b32 s9, s7, s9
	s_wait_alu 0xfffe
	s_and_not1_b32 exec_lo, exec_lo, s9
	s_cbranch_execnz .LBB67_20
; %bb.21:                               ;   in Loop: Header=BB67_2 Depth=1
	s_or_b32 exec_lo, exec_lo, s9
.LBB67_22:                              ;   in Loop: Header=BB67_2 Depth=1
	s_wait_alu 0xfffe
	s_or_b32 exec_lo, exec_lo, s8
	v_add_nc_u32_e32 v55, v51, v3
	v_sub_nc_u32_e32 v56, v26, v51
                                        ; implicit-def: $vgpr53
	ds_load_u8 v51, v55
	ds_load_u8 v52, v56
	v_cmp_le_i32_e64 s7, v13, v55
	v_cmp_gt_i32_e64 s9, v14, v56
	s_wait_dscnt 0x1
	v_bfe_i32 v51, v51, 0, 8
	s_wait_dscnt 0x0
	v_bfe_i32 v52, v52, 0, 8
	s_delay_alu instid0(VALU_DEP_1)
	v_cmp_lt_i16_e64 s8, v52, v51
	s_or_b32 s7, s7, s8
	s_wait_alu 0xfffe
	s_and_b32 s7, s9, s7
	s_wait_alu 0xfffe
	s_xor_b32 s8, s7, -1
	s_wait_alu 0xfffe
	s_and_saveexec_b32 s9, s8
	s_wait_alu 0xfffe
	s_xor_b32 s8, exec_lo, s9
; %bb.23:                               ;   in Loop: Header=BB67_2 Depth=1
	ds_load_u8 v53, v55 offset:1
; %bb.24:                               ;   in Loop: Header=BB67_2 Depth=1
	s_wait_alu 0xfffe
	s_or_saveexec_b32 s8, s8
	v_mov_b32_e32 v54, v52
	s_wait_alu 0xfffe
	s_xor_b32 exec_lo, exec_lo, s8
	s_cbranch_execz .LBB67_26
; %bb.25:                               ;   in Loop: Header=BB67_2 Depth=1
	ds_load_u8 v54, v56 offset:1
	s_wait_dscnt 0x1
	v_mov_b32_e32 v53, v51
.LBB67_26:                              ;   in Loop: Header=BB67_2 Depth=1
	s_or_b32 exec_lo, exec_lo, s8
	v_add_nc_u32_e32 v57, 1, v55
	v_add_nc_u32_e32 v58, 1, v56
	s_wait_dscnt 0x0
	v_bfe_i32 v61, v53, 0, 8
	s_delay_alu instid0(VALU_DEP_3) | instskip(SKIP_2) | instid1(VALU_DEP_3)
	v_cndmask_b32_e64 v59, v57, v55, s7
	v_bfe_i32 v57, v54, 0, 8
	v_cndmask_b32_e64 v60, v56, v58, s7
	v_cmp_ge_i32_e64 s8, v59, v13
	s_delay_alu instid0(VALU_DEP_3) | instskip(NEXT) | instid1(VALU_DEP_3)
	v_cmp_lt_i16_e64 s9, v57, v61
	v_cmp_lt_i32_e64 s10, v60, v14
                                        ; implicit-def: $vgpr57
	s_or_b32 s8, s8, s9
	s_wait_alu 0xfffe
	s_and_b32 s8, s10, s8
	s_wait_alu 0xfffe
	s_xor_b32 s9, s8, -1
	s_wait_alu 0xfffe
	s_and_saveexec_b32 s10, s9
	s_wait_alu 0xfffe
	s_xor_b32 s9, exec_lo, s10
; %bb.27:                               ;   in Loop: Header=BB67_2 Depth=1
	ds_load_u8 v57, v59 offset:1
; %bb.28:                               ;   in Loop: Header=BB67_2 Depth=1
	s_wait_alu 0xfffe
	s_or_saveexec_b32 s9, s9
	v_mov_b32_e32 v58, v54
	s_wait_alu 0xfffe
	s_xor_b32 exec_lo, exec_lo, s9
	s_cbranch_execz .LBB67_30
; %bb.29:                               ;   in Loop: Header=BB67_2 Depth=1
	ds_load_u8 v58, v60 offset:1
	s_wait_dscnt 0x1
	v_mov_b32_e32 v57, v53
.LBB67_30:                              ;   in Loop: Header=BB67_2 Depth=1
	s_or_b32 exec_lo, exec_lo, s9
	v_add_nc_u32_e32 v61, 1, v59
	v_add_nc_u32_e32 v62, 1, v60
	s_wait_dscnt 0x0
	v_bfe_i32 v64, v57, 0, 8
	s_delay_alu instid0(VALU_DEP_3) | instskip(SKIP_2) | instid1(VALU_DEP_3)
	v_cndmask_b32_e64 v63, v61, v59, s8
	v_bfe_i32 v61, v58, 0, 8
	v_cndmask_b32_e64 v62, v60, v62, s8
	v_cmp_ge_i32_e64 s9, v63, v13
	s_delay_alu instid0(VALU_DEP_3) | instskip(NEXT) | instid1(VALU_DEP_3)
	v_cmp_lt_i16_e64 s10, v61, v64
	v_cmp_lt_i32_e64 s11, v62, v14
                                        ; implicit-def: $vgpr61
	s_or_b32 s9, s9, s10
	s_wait_alu 0xfffe
	s_and_b32 s9, s11, s9
	s_wait_alu 0xfffe
	s_xor_b32 s10, s9, -1
	s_wait_alu 0xfffe
	s_and_saveexec_b32 s11, s10
	s_wait_alu 0xfffe
	s_xor_b32 s10, exec_lo, s11
; %bb.31:                               ;   in Loop: Header=BB67_2 Depth=1
	ds_load_u8 v61, v63 offset:1
; %bb.32:                               ;   in Loop: Header=BB67_2 Depth=1
	s_wait_alu 0xfffe
	s_or_saveexec_b32 s10, s10
	v_mov_b32_e32 v64, v58
	s_wait_alu 0xfffe
	s_xor_b32 exec_lo, exec_lo, s10
	s_cbranch_execz .LBB67_34
; %bb.33:                               ;   in Loop: Header=BB67_2 Depth=1
	ds_load_u8 v64, v62 offset:1
	s_wait_dscnt 0x1
	v_mov_b32_e32 v61, v57
.LBB67_34:                              ;   in Loop: Header=BB67_2 Depth=1
	s_or_b32 exec_lo, exec_lo, s10
	v_add_nc_u32_e32 v65, 1, v63
	v_add_nc_u32_e32 v66, 1, v62
	v_cndmask_b32_e64 v67, v63, v62, s9
	s_wait_dscnt 0x0
	v_bfe_i32 v68, v61, 0, 8
	v_bfe_i32 v69, v64, 0, 8
	v_cndmask_b32_e64 v63, v65, v63, s9
	v_cndmask_b32_e64 v59, v59, v60, s8
	;; [unrolled: 1-line block ×4, first 2 shown]
	v_cmp_lt_i16_e64 s10, v69, v68
	v_cmp_ge_i32_e64 s11, v63, v13
	s_wait_loadcnt 0x0
	v_cmp_lt_i32_e64 s12, v60, v14
	s_barrier_signal -1
	s_barrier_wait -1
	s_or_b32 s10, s11, s10
	global_inv scope:SCOPE_SE
	s_wait_alu 0xfffe
	s_and_b32 s10, s12, s10
	ds_store_b8 v1, v47
	ds_store_b8 v1, v49 offset:1
	ds_store_b8 v1, v50 offset:2
	;; [unrolled: 1-line block ×3, first 2 shown]
	s_wait_alu 0xfffe
	v_cndmask_b32_e64 v60, v63, v60, s10
	s_wait_loadcnt_dscnt 0x0
	s_barrier_signal -1
	s_barrier_wait -1
	global_inv scope:SCOPE_SE
	ds_load_u8 v47, v55
	ds_load_u8 v48, v60
	;; [unrolled: 1-line block ×4, first 2 shown]
	v_cndmask_b32_e64 v51, v51, v52, s7
	v_cndmask_b32_e64 v53, v53, v54, s8
	;; [unrolled: 1-line block ×4, first 2 shown]
	s_wait_loadcnt_dscnt 0x0
	s_barrier_signal -1
	s_barrier_wait -1
	global_inv scope:SCOPE_SE
	ds_store_b8 v1, v51
	ds_store_b8 v1, v53 offset:1
	ds_store_b8 v1, v55 offset:2
	;; [unrolled: 1-line block ×3, first 2 shown]
	v_mov_b32_e32 v51, v41
	s_wait_loadcnt_dscnt 0x0
	s_barrier_signal -1
	s_barrier_wait -1
	global_inv scope:SCOPE_SE
	s_and_saveexec_b32 s8, s2
	s_cbranch_execz .LBB67_38
; %bb.35:                               ;   in Loop: Header=BB67_2 Depth=1
	v_dual_mov_b32 v51, v41 :: v_dual_mov_b32 v52, v34
	s_mov_b32 s9, 0
.LBB67_36:                              ;   Parent Loop BB67_2 Depth=1
                                        ; =>  This Inner Loop Header: Depth=2
	s_delay_alu instid0(VALU_DEP_1) | instskip(NEXT) | instid1(VALU_DEP_1)
	v_sub_nc_u32_e32 v53, v52, v51
	v_lshrrev_b32_e32 v53, 1, v53
	s_delay_alu instid0(VALU_DEP_1) | instskip(NEXT) | instid1(VALU_DEP_1)
	v_add_nc_u32_e32 v53, v53, v51
	v_add_nc_u32_e32 v54, v4, v53
	v_xad_u32 v55, v53, -1, v27
	v_add_nc_u32_e32 v56, 1, v53
	ds_load_i8 v54, v54
	ds_load_i8 v55, v55
	s_wait_dscnt 0x0
	v_cmp_lt_i16_e64 s7, v55, v54
	s_wait_alu 0xf1ff
	s_delay_alu instid0(VALU_DEP_1) | instskip(SKIP_1) | instid1(VALU_DEP_1)
	v_cndmask_b32_e64 v52, v52, v53, s7
	v_cndmask_b32_e64 v51, v56, v51, s7
	v_cmp_ge_i32_e64 s7, v51, v52
	s_wait_alu 0xfffe
	s_or_b32 s9, s7, s9
	s_wait_alu 0xfffe
	s_and_not1_b32 exec_lo, exec_lo, s9
	s_cbranch_execnz .LBB67_36
; %bb.37:                               ;   in Loop: Header=BB67_2 Depth=1
	s_or_b32 exec_lo, exec_lo, s9
.LBB67_38:                              ;   in Loop: Header=BB67_2 Depth=1
	s_wait_alu 0xfffe
	s_or_b32 exec_lo, exec_lo, s8
	v_add_nc_u32_e32 v55, v51, v4
	v_sub_nc_u32_e32 v56, v27, v51
                                        ; implicit-def: $vgpr53
	ds_load_u8 v51, v55
	ds_load_u8 v52, v56
	v_cmp_le_i32_e64 s7, v15, v55
	v_cmp_gt_i32_e64 s9, v16, v56
	s_wait_dscnt 0x1
	v_bfe_i32 v51, v51, 0, 8
	s_wait_dscnt 0x0
	v_bfe_i32 v52, v52, 0, 8
	s_delay_alu instid0(VALU_DEP_1)
	v_cmp_lt_i16_e64 s8, v52, v51
	s_or_b32 s7, s7, s8
	s_wait_alu 0xfffe
	s_and_b32 s7, s9, s7
	s_wait_alu 0xfffe
	s_xor_b32 s8, s7, -1
	s_wait_alu 0xfffe
	s_and_saveexec_b32 s9, s8
	s_wait_alu 0xfffe
	s_xor_b32 s8, exec_lo, s9
; %bb.39:                               ;   in Loop: Header=BB67_2 Depth=1
	ds_load_u8 v53, v55 offset:1
; %bb.40:                               ;   in Loop: Header=BB67_2 Depth=1
	s_wait_alu 0xfffe
	s_or_saveexec_b32 s8, s8
	v_mov_b32_e32 v54, v52
	s_wait_alu 0xfffe
	s_xor_b32 exec_lo, exec_lo, s8
	s_cbranch_execz .LBB67_42
; %bb.41:                               ;   in Loop: Header=BB67_2 Depth=1
	ds_load_u8 v54, v56 offset:1
	s_wait_dscnt 0x1
	v_mov_b32_e32 v53, v51
.LBB67_42:                              ;   in Loop: Header=BB67_2 Depth=1
	s_or_b32 exec_lo, exec_lo, s8
	v_add_nc_u32_e32 v57, 1, v55
	v_add_nc_u32_e32 v58, 1, v56
	s_wait_dscnt 0x0
	v_bfe_i32 v61, v53, 0, 8
	s_delay_alu instid0(VALU_DEP_3) | instskip(SKIP_2) | instid1(VALU_DEP_3)
	v_cndmask_b32_e64 v59, v57, v55, s7
	v_bfe_i32 v57, v54, 0, 8
	v_cndmask_b32_e64 v60, v56, v58, s7
	v_cmp_ge_i32_e64 s8, v59, v15
	s_delay_alu instid0(VALU_DEP_3) | instskip(NEXT) | instid1(VALU_DEP_3)
	v_cmp_lt_i16_e64 s9, v57, v61
	v_cmp_lt_i32_e64 s10, v60, v16
                                        ; implicit-def: $vgpr57
	s_or_b32 s8, s8, s9
	s_wait_alu 0xfffe
	s_and_b32 s8, s10, s8
	s_wait_alu 0xfffe
	s_xor_b32 s9, s8, -1
	s_wait_alu 0xfffe
	s_and_saveexec_b32 s10, s9
	s_wait_alu 0xfffe
	s_xor_b32 s9, exec_lo, s10
; %bb.43:                               ;   in Loop: Header=BB67_2 Depth=1
	ds_load_u8 v57, v59 offset:1
; %bb.44:                               ;   in Loop: Header=BB67_2 Depth=1
	s_wait_alu 0xfffe
	s_or_saveexec_b32 s9, s9
	v_mov_b32_e32 v58, v54
	s_wait_alu 0xfffe
	s_xor_b32 exec_lo, exec_lo, s9
	s_cbranch_execz .LBB67_46
; %bb.45:                               ;   in Loop: Header=BB67_2 Depth=1
	ds_load_u8 v58, v60 offset:1
	s_wait_dscnt 0x1
	v_mov_b32_e32 v57, v53
.LBB67_46:                              ;   in Loop: Header=BB67_2 Depth=1
	s_or_b32 exec_lo, exec_lo, s9
	v_add_nc_u32_e32 v61, 1, v59
	v_add_nc_u32_e32 v62, 1, v60
	s_wait_dscnt 0x0
	v_bfe_i32 v64, v57, 0, 8
	s_delay_alu instid0(VALU_DEP_3) | instskip(SKIP_2) | instid1(VALU_DEP_3)
	v_cndmask_b32_e64 v63, v61, v59, s8
	v_bfe_i32 v61, v58, 0, 8
	v_cndmask_b32_e64 v62, v60, v62, s8
	v_cmp_ge_i32_e64 s9, v63, v15
	s_delay_alu instid0(VALU_DEP_3) | instskip(NEXT) | instid1(VALU_DEP_3)
	v_cmp_lt_i16_e64 s10, v61, v64
	v_cmp_lt_i32_e64 s11, v62, v16
                                        ; implicit-def: $vgpr61
	s_or_b32 s9, s9, s10
	s_wait_alu 0xfffe
	s_and_b32 s9, s11, s9
	s_wait_alu 0xfffe
	s_xor_b32 s10, s9, -1
	s_wait_alu 0xfffe
	s_and_saveexec_b32 s11, s10
	s_wait_alu 0xfffe
	s_xor_b32 s10, exec_lo, s11
; %bb.47:                               ;   in Loop: Header=BB67_2 Depth=1
	ds_load_u8 v61, v63 offset:1
; %bb.48:                               ;   in Loop: Header=BB67_2 Depth=1
	s_wait_alu 0xfffe
	s_or_saveexec_b32 s10, s10
	v_mov_b32_e32 v64, v58
	s_wait_alu 0xfffe
	s_xor_b32 exec_lo, exec_lo, s10
	s_cbranch_execz .LBB67_50
; %bb.49:                               ;   in Loop: Header=BB67_2 Depth=1
	ds_load_u8 v64, v62 offset:1
	s_wait_dscnt 0x1
	v_mov_b32_e32 v61, v57
.LBB67_50:                              ;   in Loop: Header=BB67_2 Depth=1
	s_or_b32 exec_lo, exec_lo, s10
	v_add_nc_u32_e32 v65, 1, v63
	v_add_nc_u32_e32 v66, 1, v62
	v_cndmask_b32_e64 v67, v63, v62, s9
	s_wait_dscnt 0x0
	v_bfe_i32 v68, v61, 0, 8
	v_bfe_i32 v69, v64, 0, 8
	v_cndmask_b32_e64 v63, v65, v63, s9
	v_cndmask_b32_e64 v59, v59, v60, s8
	v_cndmask_b32_e64 v60, v62, v66, s9
	v_cndmask_b32_e64 v55, v55, v56, s7
	v_cmp_lt_i16_e64 s10, v69, v68
	v_cmp_ge_i32_e64 s11, v63, v15
	s_wait_loadcnt 0x0
	v_cmp_lt_i32_e64 s12, v60, v16
	s_barrier_signal -1
	s_barrier_wait -1
	s_or_b32 s10, s11, s10
	global_inv scope:SCOPE_SE
	s_wait_alu 0xfffe
	s_and_b32 s10, s12, s10
	ds_store_b8 v1, v47
	ds_store_b8 v1, v49 offset:1
	ds_store_b8 v1, v50 offset:2
	;; [unrolled: 1-line block ×3, first 2 shown]
	s_wait_alu 0xfffe
	v_cndmask_b32_e64 v60, v63, v60, s10
	s_wait_loadcnt_dscnt 0x0
	s_barrier_signal -1
	s_barrier_wait -1
	global_inv scope:SCOPE_SE
	ds_load_u8 v47, v55
	ds_load_u8 v48, v60
	;; [unrolled: 1-line block ×4, first 2 shown]
	v_cndmask_b32_e64 v51, v51, v52, s7
	v_cndmask_b32_e64 v53, v53, v54, s8
	;; [unrolled: 1-line block ×4, first 2 shown]
	s_wait_loadcnt_dscnt 0x0
	s_barrier_signal -1
	s_barrier_wait -1
	global_inv scope:SCOPE_SE
	ds_store_b8 v1, v51
	ds_store_b8 v1, v53 offset:1
	ds_store_b8 v1, v55 offset:2
	;; [unrolled: 1-line block ×3, first 2 shown]
	v_mov_b32_e32 v51, v42
	s_wait_loadcnt_dscnt 0x0
	s_barrier_signal -1
	s_barrier_wait -1
	global_inv scope:SCOPE_SE
	s_and_saveexec_b32 s8, s3
	s_cbranch_execz .LBB67_54
; %bb.51:                               ;   in Loop: Header=BB67_2 Depth=1
	v_dual_mov_b32 v51, v42 :: v_dual_mov_b32 v52, v35
	s_mov_b32 s9, 0
.LBB67_52:                              ;   Parent Loop BB67_2 Depth=1
                                        ; =>  This Inner Loop Header: Depth=2
	s_delay_alu instid0(VALU_DEP_1) | instskip(NEXT) | instid1(VALU_DEP_1)
	v_sub_nc_u32_e32 v53, v52, v51
	v_lshrrev_b32_e32 v53, 1, v53
	s_delay_alu instid0(VALU_DEP_1) | instskip(NEXT) | instid1(VALU_DEP_1)
	v_add_nc_u32_e32 v53, v53, v51
	v_add_nc_u32_e32 v54, v5, v53
	v_xad_u32 v55, v53, -1, v28
	v_add_nc_u32_e32 v56, 1, v53
	ds_load_i8 v54, v54
	ds_load_i8 v55, v55
	s_wait_dscnt 0x0
	v_cmp_lt_i16_e64 s7, v55, v54
	s_wait_alu 0xf1ff
	s_delay_alu instid0(VALU_DEP_1) | instskip(SKIP_1) | instid1(VALU_DEP_1)
	v_cndmask_b32_e64 v52, v52, v53, s7
	v_cndmask_b32_e64 v51, v56, v51, s7
	v_cmp_ge_i32_e64 s7, v51, v52
	s_wait_alu 0xfffe
	s_or_b32 s9, s7, s9
	s_wait_alu 0xfffe
	s_and_not1_b32 exec_lo, exec_lo, s9
	s_cbranch_execnz .LBB67_52
; %bb.53:                               ;   in Loop: Header=BB67_2 Depth=1
	s_or_b32 exec_lo, exec_lo, s9
.LBB67_54:                              ;   in Loop: Header=BB67_2 Depth=1
	s_wait_alu 0xfffe
	s_or_b32 exec_lo, exec_lo, s8
	v_add_nc_u32_e32 v55, v51, v5
	v_sub_nc_u32_e32 v56, v28, v51
                                        ; implicit-def: $vgpr53
	ds_load_u8 v51, v55
	ds_load_u8 v52, v56
	v_cmp_le_i32_e64 s7, v17, v55
	v_cmp_gt_i32_e64 s9, v18, v56
	s_wait_dscnt 0x1
	v_bfe_i32 v51, v51, 0, 8
	s_wait_dscnt 0x0
	v_bfe_i32 v52, v52, 0, 8
	s_delay_alu instid0(VALU_DEP_1)
	v_cmp_lt_i16_e64 s8, v52, v51
	s_or_b32 s7, s7, s8
	s_wait_alu 0xfffe
	s_and_b32 s7, s9, s7
	s_wait_alu 0xfffe
	s_xor_b32 s8, s7, -1
	s_wait_alu 0xfffe
	s_and_saveexec_b32 s9, s8
	s_wait_alu 0xfffe
	s_xor_b32 s8, exec_lo, s9
; %bb.55:                               ;   in Loop: Header=BB67_2 Depth=1
	ds_load_u8 v53, v55 offset:1
; %bb.56:                               ;   in Loop: Header=BB67_2 Depth=1
	s_wait_alu 0xfffe
	s_or_saveexec_b32 s8, s8
	v_mov_b32_e32 v54, v52
	s_wait_alu 0xfffe
	s_xor_b32 exec_lo, exec_lo, s8
	s_cbranch_execz .LBB67_58
; %bb.57:                               ;   in Loop: Header=BB67_2 Depth=1
	ds_load_u8 v54, v56 offset:1
	s_wait_dscnt 0x1
	v_mov_b32_e32 v53, v51
.LBB67_58:                              ;   in Loop: Header=BB67_2 Depth=1
	s_or_b32 exec_lo, exec_lo, s8
	v_add_nc_u32_e32 v57, 1, v55
	v_add_nc_u32_e32 v58, 1, v56
	s_wait_dscnt 0x0
	v_bfe_i32 v61, v53, 0, 8
	s_delay_alu instid0(VALU_DEP_3) | instskip(SKIP_2) | instid1(VALU_DEP_3)
	v_cndmask_b32_e64 v59, v57, v55, s7
	v_bfe_i32 v57, v54, 0, 8
	v_cndmask_b32_e64 v60, v56, v58, s7
	v_cmp_ge_i32_e64 s8, v59, v17
	s_delay_alu instid0(VALU_DEP_3) | instskip(NEXT) | instid1(VALU_DEP_3)
	v_cmp_lt_i16_e64 s9, v57, v61
	v_cmp_lt_i32_e64 s10, v60, v18
                                        ; implicit-def: $vgpr57
	s_or_b32 s8, s8, s9
	s_wait_alu 0xfffe
	s_and_b32 s8, s10, s8
	s_wait_alu 0xfffe
	s_xor_b32 s9, s8, -1
	s_wait_alu 0xfffe
	s_and_saveexec_b32 s10, s9
	s_wait_alu 0xfffe
	s_xor_b32 s9, exec_lo, s10
; %bb.59:                               ;   in Loop: Header=BB67_2 Depth=1
	ds_load_u8 v57, v59 offset:1
; %bb.60:                               ;   in Loop: Header=BB67_2 Depth=1
	s_wait_alu 0xfffe
	s_or_saveexec_b32 s9, s9
	v_mov_b32_e32 v58, v54
	s_wait_alu 0xfffe
	s_xor_b32 exec_lo, exec_lo, s9
	s_cbranch_execz .LBB67_62
; %bb.61:                               ;   in Loop: Header=BB67_2 Depth=1
	ds_load_u8 v58, v60 offset:1
	s_wait_dscnt 0x1
	v_mov_b32_e32 v57, v53
.LBB67_62:                              ;   in Loop: Header=BB67_2 Depth=1
	s_or_b32 exec_lo, exec_lo, s9
	v_add_nc_u32_e32 v61, 1, v59
	v_add_nc_u32_e32 v62, 1, v60
	s_wait_dscnt 0x0
	v_bfe_i32 v64, v57, 0, 8
	s_delay_alu instid0(VALU_DEP_3) | instskip(SKIP_2) | instid1(VALU_DEP_3)
	v_cndmask_b32_e64 v63, v61, v59, s8
	v_bfe_i32 v61, v58, 0, 8
	v_cndmask_b32_e64 v62, v60, v62, s8
	v_cmp_ge_i32_e64 s9, v63, v17
	s_delay_alu instid0(VALU_DEP_3) | instskip(NEXT) | instid1(VALU_DEP_3)
	v_cmp_lt_i16_e64 s10, v61, v64
	v_cmp_lt_i32_e64 s11, v62, v18
                                        ; implicit-def: $vgpr61
	s_or_b32 s9, s9, s10
	s_wait_alu 0xfffe
	s_and_b32 s9, s11, s9
	s_wait_alu 0xfffe
	s_xor_b32 s10, s9, -1
	s_wait_alu 0xfffe
	s_and_saveexec_b32 s11, s10
	s_wait_alu 0xfffe
	s_xor_b32 s10, exec_lo, s11
; %bb.63:                               ;   in Loop: Header=BB67_2 Depth=1
	ds_load_u8 v61, v63 offset:1
; %bb.64:                               ;   in Loop: Header=BB67_2 Depth=1
	s_wait_alu 0xfffe
	s_or_saveexec_b32 s10, s10
	v_mov_b32_e32 v64, v58
	s_wait_alu 0xfffe
	s_xor_b32 exec_lo, exec_lo, s10
	s_cbranch_execz .LBB67_66
; %bb.65:                               ;   in Loop: Header=BB67_2 Depth=1
	ds_load_u8 v64, v62 offset:1
	s_wait_dscnt 0x1
	v_mov_b32_e32 v61, v57
.LBB67_66:                              ;   in Loop: Header=BB67_2 Depth=1
	s_or_b32 exec_lo, exec_lo, s10
	v_add_nc_u32_e32 v65, 1, v63
	v_add_nc_u32_e32 v66, 1, v62
	v_cndmask_b32_e64 v67, v63, v62, s9
	s_wait_dscnt 0x0
	v_bfe_i32 v68, v61, 0, 8
	v_bfe_i32 v69, v64, 0, 8
	v_cndmask_b32_e64 v63, v65, v63, s9
	v_cndmask_b32_e64 v59, v59, v60, s8
	;; [unrolled: 1-line block ×4, first 2 shown]
	v_cmp_lt_i16_e64 s10, v69, v68
	v_cmp_ge_i32_e64 s11, v63, v17
	s_wait_loadcnt 0x0
	v_cmp_lt_i32_e64 s12, v60, v18
	s_barrier_signal -1
	s_barrier_wait -1
	s_or_b32 s10, s11, s10
	global_inv scope:SCOPE_SE
	s_wait_alu 0xfffe
	s_and_b32 s10, s12, s10
	ds_store_b8 v1, v47
	ds_store_b8 v1, v49 offset:1
	ds_store_b8 v1, v50 offset:2
	ds_store_b8 v1, v48 offset:3
	s_wait_alu 0xfffe
	v_cndmask_b32_e64 v60, v63, v60, s10
	s_wait_loadcnt_dscnt 0x0
	s_barrier_signal -1
	s_barrier_wait -1
	global_inv scope:SCOPE_SE
	ds_load_u8 v47, v55
	ds_load_u8 v48, v60
	;; [unrolled: 1-line block ×4, first 2 shown]
	v_cndmask_b32_e64 v51, v51, v52, s7
	v_cndmask_b32_e64 v53, v53, v54, s8
	;; [unrolled: 1-line block ×4, first 2 shown]
	s_wait_loadcnt_dscnt 0x0
	s_barrier_signal -1
	s_barrier_wait -1
	global_inv scope:SCOPE_SE
	ds_store_b8 v1, v51
	ds_store_b8 v1, v53 offset:1
	ds_store_b8 v1, v55 offset:2
	;; [unrolled: 1-line block ×3, first 2 shown]
	v_mov_b32_e32 v51, v43
	s_wait_loadcnt_dscnt 0x0
	s_barrier_signal -1
	s_barrier_wait -1
	global_inv scope:SCOPE_SE
	s_and_saveexec_b32 s8, s4
	s_cbranch_execz .LBB67_70
; %bb.67:                               ;   in Loop: Header=BB67_2 Depth=1
	v_dual_mov_b32 v51, v43 :: v_dual_mov_b32 v52, v36
	s_mov_b32 s9, 0
.LBB67_68:                              ;   Parent Loop BB67_2 Depth=1
                                        ; =>  This Inner Loop Header: Depth=2
	s_delay_alu instid0(VALU_DEP_1) | instskip(NEXT) | instid1(VALU_DEP_1)
	v_sub_nc_u32_e32 v53, v52, v51
	v_lshrrev_b32_e32 v53, 1, v53
	s_delay_alu instid0(VALU_DEP_1) | instskip(NEXT) | instid1(VALU_DEP_1)
	v_add_nc_u32_e32 v53, v53, v51
	v_add_nc_u32_e32 v54, v6, v53
	v_xad_u32 v55, v53, -1, v29
	v_add_nc_u32_e32 v56, 1, v53
	ds_load_i8 v54, v54
	ds_load_i8 v55, v55
	s_wait_dscnt 0x0
	v_cmp_lt_i16_e64 s7, v55, v54
	s_wait_alu 0xf1ff
	s_delay_alu instid0(VALU_DEP_1) | instskip(SKIP_1) | instid1(VALU_DEP_1)
	v_cndmask_b32_e64 v52, v52, v53, s7
	v_cndmask_b32_e64 v51, v56, v51, s7
	v_cmp_ge_i32_e64 s7, v51, v52
	s_wait_alu 0xfffe
	s_or_b32 s9, s7, s9
	s_wait_alu 0xfffe
	s_and_not1_b32 exec_lo, exec_lo, s9
	s_cbranch_execnz .LBB67_68
; %bb.69:                               ;   in Loop: Header=BB67_2 Depth=1
	s_or_b32 exec_lo, exec_lo, s9
.LBB67_70:                              ;   in Loop: Header=BB67_2 Depth=1
	s_wait_alu 0xfffe
	s_or_b32 exec_lo, exec_lo, s8
	v_add_nc_u32_e32 v55, v51, v6
	v_sub_nc_u32_e32 v56, v29, v51
                                        ; implicit-def: $vgpr53
	ds_load_u8 v51, v55
	ds_load_u8 v52, v56
	v_cmp_le_i32_e64 s7, v19, v55
	v_cmp_gt_i32_e64 s9, v20, v56
	s_wait_dscnt 0x1
	v_bfe_i32 v51, v51, 0, 8
	s_wait_dscnt 0x0
	v_bfe_i32 v52, v52, 0, 8
	s_delay_alu instid0(VALU_DEP_1)
	v_cmp_lt_i16_e64 s8, v52, v51
	s_or_b32 s7, s7, s8
	s_wait_alu 0xfffe
	s_and_b32 s7, s9, s7
	s_wait_alu 0xfffe
	s_xor_b32 s8, s7, -1
	s_wait_alu 0xfffe
	s_and_saveexec_b32 s9, s8
	s_wait_alu 0xfffe
	s_xor_b32 s8, exec_lo, s9
; %bb.71:                               ;   in Loop: Header=BB67_2 Depth=1
	ds_load_u8 v53, v55 offset:1
; %bb.72:                               ;   in Loop: Header=BB67_2 Depth=1
	s_wait_alu 0xfffe
	s_or_saveexec_b32 s8, s8
	v_mov_b32_e32 v54, v52
	s_wait_alu 0xfffe
	s_xor_b32 exec_lo, exec_lo, s8
	s_cbranch_execz .LBB67_74
; %bb.73:                               ;   in Loop: Header=BB67_2 Depth=1
	ds_load_u8 v54, v56 offset:1
	s_wait_dscnt 0x1
	v_mov_b32_e32 v53, v51
.LBB67_74:                              ;   in Loop: Header=BB67_2 Depth=1
	s_or_b32 exec_lo, exec_lo, s8
	v_add_nc_u32_e32 v57, 1, v55
	v_add_nc_u32_e32 v58, 1, v56
	s_wait_dscnt 0x0
	v_bfe_i32 v61, v53, 0, 8
	s_delay_alu instid0(VALU_DEP_3) | instskip(SKIP_2) | instid1(VALU_DEP_3)
	v_cndmask_b32_e64 v59, v57, v55, s7
	v_bfe_i32 v57, v54, 0, 8
	v_cndmask_b32_e64 v60, v56, v58, s7
	v_cmp_ge_i32_e64 s8, v59, v19
	s_delay_alu instid0(VALU_DEP_3) | instskip(NEXT) | instid1(VALU_DEP_3)
	v_cmp_lt_i16_e64 s9, v57, v61
	v_cmp_lt_i32_e64 s10, v60, v20
                                        ; implicit-def: $vgpr57
	s_or_b32 s8, s8, s9
	s_wait_alu 0xfffe
	s_and_b32 s8, s10, s8
	s_wait_alu 0xfffe
	s_xor_b32 s9, s8, -1
	s_wait_alu 0xfffe
	s_and_saveexec_b32 s10, s9
	s_wait_alu 0xfffe
	s_xor_b32 s9, exec_lo, s10
; %bb.75:                               ;   in Loop: Header=BB67_2 Depth=1
	ds_load_u8 v57, v59 offset:1
; %bb.76:                               ;   in Loop: Header=BB67_2 Depth=1
	s_wait_alu 0xfffe
	s_or_saveexec_b32 s9, s9
	v_mov_b32_e32 v58, v54
	s_wait_alu 0xfffe
	s_xor_b32 exec_lo, exec_lo, s9
	s_cbranch_execz .LBB67_78
; %bb.77:                               ;   in Loop: Header=BB67_2 Depth=1
	ds_load_u8 v58, v60 offset:1
	s_wait_dscnt 0x1
	v_mov_b32_e32 v57, v53
.LBB67_78:                              ;   in Loop: Header=BB67_2 Depth=1
	s_or_b32 exec_lo, exec_lo, s9
	v_add_nc_u32_e32 v61, 1, v59
	v_add_nc_u32_e32 v62, 1, v60
	s_wait_dscnt 0x0
	v_bfe_i32 v64, v57, 0, 8
	s_delay_alu instid0(VALU_DEP_3) | instskip(SKIP_2) | instid1(VALU_DEP_3)
	v_cndmask_b32_e64 v63, v61, v59, s8
	v_bfe_i32 v61, v58, 0, 8
	v_cndmask_b32_e64 v62, v60, v62, s8
	v_cmp_ge_i32_e64 s9, v63, v19
	s_delay_alu instid0(VALU_DEP_3) | instskip(NEXT) | instid1(VALU_DEP_3)
	v_cmp_lt_i16_e64 s10, v61, v64
	v_cmp_lt_i32_e64 s11, v62, v20
                                        ; implicit-def: $vgpr61
	s_or_b32 s9, s9, s10
	s_wait_alu 0xfffe
	s_and_b32 s9, s11, s9
	s_wait_alu 0xfffe
	s_xor_b32 s10, s9, -1
	s_wait_alu 0xfffe
	s_and_saveexec_b32 s11, s10
	s_wait_alu 0xfffe
	s_xor_b32 s10, exec_lo, s11
; %bb.79:                               ;   in Loop: Header=BB67_2 Depth=1
	ds_load_u8 v61, v63 offset:1
; %bb.80:                               ;   in Loop: Header=BB67_2 Depth=1
	s_wait_alu 0xfffe
	s_or_saveexec_b32 s10, s10
	v_mov_b32_e32 v64, v58
	s_wait_alu 0xfffe
	s_xor_b32 exec_lo, exec_lo, s10
	s_cbranch_execz .LBB67_82
; %bb.81:                               ;   in Loop: Header=BB67_2 Depth=1
	ds_load_u8 v64, v62 offset:1
	s_wait_dscnt 0x1
	v_mov_b32_e32 v61, v57
.LBB67_82:                              ;   in Loop: Header=BB67_2 Depth=1
	s_or_b32 exec_lo, exec_lo, s10
	v_add_nc_u32_e32 v65, 1, v63
	v_add_nc_u32_e32 v66, 1, v62
	v_cndmask_b32_e64 v67, v63, v62, s9
	s_wait_dscnt 0x0
	v_bfe_i32 v68, v61, 0, 8
	v_bfe_i32 v69, v64, 0, 8
	v_cndmask_b32_e64 v63, v65, v63, s9
	v_cndmask_b32_e64 v59, v59, v60, s8
	;; [unrolled: 1-line block ×4, first 2 shown]
	v_cmp_lt_i16_e64 s10, v69, v68
	v_cmp_ge_i32_e64 s11, v63, v19
	s_wait_loadcnt 0x0
	v_cmp_lt_i32_e64 s12, v60, v20
	s_barrier_signal -1
	s_barrier_wait -1
	s_or_b32 s10, s11, s10
	global_inv scope:SCOPE_SE
	s_wait_alu 0xfffe
	s_and_b32 s10, s12, s10
	ds_store_b8 v1, v47
	ds_store_b8 v1, v49 offset:1
	ds_store_b8 v1, v50 offset:2
	;; [unrolled: 1-line block ×3, first 2 shown]
	s_wait_alu 0xfffe
	v_cndmask_b32_e64 v60, v63, v60, s10
	s_wait_loadcnt_dscnt 0x0
	s_barrier_signal -1
	s_barrier_wait -1
	global_inv scope:SCOPE_SE
	ds_load_u8 v47, v55
	ds_load_u8 v48, v60
	;; [unrolled: 1-line block ×4, first 2 shown]
	v_cndmask_b32_e64 v51, v51, v52, s7
	v_cndmask_b32_e64 v53, v53, v54, s8
	;; [unrolled: 1-line block ×4, first 2 shown]
	s_wait_loadcnt_dscnt 0x0
	s_barrier_signal -1
	s_barrier_wait -1
	global_inv scope:SCOPE_SE
	ds_store_b8 v1, v51
	ds_store_b8 v1, v53 offset:1
	ds_store_b8 v1, v55 offset:2
	;; [unrolled: 1-line block ×3, first 2 shown]
	v_mov_b32_e32 v51, v44
	s_wait_loadcnt_dscnt 0x0
	s_barrier_signal -1
	s_barrier_wait -1
	global_inv scope:SCOPE_SE
	s_and_saveexec_b32 s8, s5
	s_cbranch_execz .LBB67_86
; %bb.83:                               ;   in Loop: Header=BB67_2 Depth=1
	v_dual_mov_b32 v51, v44 :: v_dual_mov_b32 v52, v37
	s_mov_b32 s9, 0
.LBB67_84:                              ;   Parent Loop BB67_2 Depth=1
                                        ; =>  This Inner Loop Header: Depth=2
	s_delay_alu instid0(VALU_DEP_1) | instskip(NEXT) | instid1(VALU_DEP_1)
	v_sub_nc_u32_e32 v53, v52, v51
	v_lshrrev_b32_e32 v53, 1, v53
	s_delay_alu instid0(VALU_DEP_1) | instskip(NEXT) | instid1(VALU_DEP_1)
	v_add_nc_u32_e32 v53, v53, v51
	v_add_nc_u32_e32 v54, v7, v53
	v_xad_u32 v55, v53, -1, v30
	v_add_nc_u32_e32 v56, 1, v53
	ds_load_i8 v54, v54
	ds_load_i8 v55, v55
	s_wait_dscnt 0x0
	v_cmp_lt_i16_e64 s7, v55, v54
	s_wait_alu 0xf1ff
	s_delay_alu instid0(VALU_DEP_1) | instskip(SKIP_1) | instid1(VALU_DEP_1)
	v_cndmask_b32_e64 v52, v52, v53, s7
	v_cndmask_b32_e64 v51, v56, v51, s7
	v_cmp_ge_i32_e64 s7, v51, v52
	s_wait_alu 0xfffe
	s_or_b32 s9, s7, s9
	s_wait_alu 0xfffe
	s_and_not1_b32 exec_lo, exec_lo, s9
	s_cbranch_execnz .LBB67_84
; %bb.85:                               ;   in Loop: Header=BB67_2 Depth=1
	s_or_b32 exec_lo, exec_lo, s9
.LBB67_86:                              ;   in Loop: Header=BB67_2 Depth=1
	s_wait_alu 0xfffe
	s_or_b32 exec_lo, exec_lo, s8
	v_add_nc_u32_e32 v55, v51, v7
	v_sub_nc_u32_e32 v56, v30, v51
                                        ; implicit-def: $vgpr53
	ds_load_u8 v51, v55
	ds_load_u8 v52, v56
	v_cmp_le_i32_e64 s7, v21, v55
	v_cmp_gt_i32_e64 s9, v22, v56
	s_wait_dscnt 0x1
	v_bfe_i32 v51, v51, 0, 8
	s_wait_dscnt 0x0
	v_bfe_i32 v52, v52, 0, 8
	s_delay_alu instid0(VALU_DEP_1)
	v_cmp_lt_i16_e64 s8, v52, v51
	s_or_b32 s7, s7, s8
	s_wait_alu 0xfffe
	s_and_b32 s7, s9, s7
	s_wait_alu 0xfffe
	s_xor_b32 s8, s7, -1
	s_wait_alu 0xfffe
	s_and_saveexec_b32 s9, s8
	s_wait_alu 0xfffe
	s_xor_b32 s8, exec_lo, s9
; %bb.87:                               ;   in Loop: Header=BB67_2 Depth=1
	ds_load_u8 v53, v55 offset:1
; %bb.88:                               ;   in Loop: Header=BB67_2 Depth=1
	s_wait_alu 0xfffe
	s_or_saveexec_b32 s8, s8
	v_mov_b32_e32 v54, v52
	s_wait_alu 0xfffe
	s_xor_b32 exec_lo, exec_lo, s8
	s_cbranch_execz .LBB67_90
; %bb.89:                               ;   in Loop: Header=BB67_2 Depth=1
	ds_load_u8 v54, v56 offset:1
	s_wait_dscnt 0x1
	v_mov_b32_e32 v53, v51
.LBB67_90:                              ;   in Loop: Header=BB67_2 Depth=1
	s_or_b32 exec_lo, exec_lo, s8
	v_add_nc_u32_e32 v57, 1, v55
	v_add_nc_u32_e32 v58, 1, v56
	s_wait_dscnt 0x0
	v_bfe_i32 v61, v53, 0, 8
	s_delay_alu instid0(VALU_DEP_3) | instskip(SKIP_2) | instid1(VALU_DEP_3)
	v_cndmask_b32_e64 v59, v57, v55, s7
	v_bfe_i32 v57, v54, 0, 8
	v_cndmask_b32_e64 v60, v56, v58, s7
	v_cmp_ge_i32_e64 s8, v59, v21
	s_delay_alu instid0(VALU_DEP_3) | instskip(NEXT) | instid1(VALU_DEP_3)
	v_cmp_lt_i16_e64 s9, v57, v61
	v_cmp_lt_i32_e64 s10, v60, v22
                                        ; implicit-def: $vgpr57
	s_or_b32 s8, s8, s9
	s_wait_alu 0xfffe
	s_and_b32 s8, s10, s8
	s_wait_alu 0xfffe
	s_xor_b32 s9, s8, -1
	s_wait_alu 0xfffe
	s_and_saveexec_b32 s10, s9
	s_wait_alu 0xfffe
	s_xor_b32 s9, exec_lo, s10
; %bb.91:                               ;   in Loop: Header=BB67_2 Depth=1
	ds_load_u8 v57, v59 offset:1
; %bb.92:                               ;   in Loop: Header=BB67_2 Depth=1
	s_wait_alu 0xfffe
	s_or_saveexec_b32 s9, s9
	v_mov_b32_e32 v58, v54
	s_wait_alu 0xfffe
	s_xor_b32 exec_lo, exec_lo, s9
	s_cbranch_execz .LBB67_94
; %bb.93:                               ;   in Loop: Header=BB67_2 Depth=1
	ds_load_u8 v58, v60 offset:1
	s_wait_dscnt 0x1
	v_mov_b32_e32 v57, v53
.LBB67_94:                              ;   in Loop: Header=BB67_2 Depth=1
	s_or_b32 exec_lo, exec_lo, s9
	v_add_nc_u32_e32 v61, 1, v59
	v_add_nc_u32_e32 v62, 1, v60
	s_wait_dscnt 0x0
	v_bfe_i32 v64, v57, 0, 8
	s_delay_alu instid0(VALU_DEP_3) | instskip(SKIP_2) | instid1(VALU_DEP_3)
	v_cndmask_b32_e64 v63, v61, v59, s8
	v_bfe_i32 v61, v58, 0, 8
	v_cndmask_b32_e64 v62, v60, v62, s8
	v_cmp_ge_i32_e64 s9, v63, v21
	s_delay_alu instid0(VALU_DEP_3) | instskip(NEXT) | instid1(VALU_DEP_3)
	v_cmp_lt_i16_e64 s10, v61, v64
	v_cmp_lt_i32_e64 s11, v62, v22
                                        ; implicit-def: $vgpr61
	s_or_b32 s9, s9, s10
	s_wait_alu 0xfffe
	s_and_b32 s9, s11, s9
	s_wait_alu 0xfffe
	s_xor_b32 s10, s9, -1
	s_wait_alu 0xfffe
	s_and_saveexec_b32 s11, s10
	s_wait_alu 0xfffe
	s_xor_b32 s10, exec_lo, s11
; %bb.95:                               ;   in Loop: Header=BB67_2 Depth=1
	ds_load_u8 v61, v63 offset:1
; %bb.96:                               ;   in Loop: Header=BB67_2 Depth=1
	s_wait_alu 0xfffe
	s_or_saveexec_b32 s10, s10
	v_mov_b32_e32 v64, v58
	s_wait_alu 0xfffe
	s_xor_b32 exec_lo, exec_lo, s10
	s_cbranch_execz .LBB67_98
; %bb.97:                               ;   in Loop: Header=BB67_2 Depth=1
	ds_load_u8 v64, v62 offset:1
	s_wait_dscnt 0x1
	v_mov_b32_e32 v61, v57
.LBB67_98:                              ;   in Loop: Header=BB67_2 Depth=1
	s_or_b32 exec_lo, exec_lo, s10
	v_add_nc_u32_e32 v65, 1, v63
	v_add_nc_u32_e32 v66, 1, v62
	v_cndmask_b32_e64 v67, v63, v62, s9
	s_wait_dscnt 0x0
	v_bfe_i32 v68, v61, 0, 8
	v_bfe_i32 v69, v64, 0, 8
	v_cndmask_b32_e64 v63, v65, v63, s9
	v_cndmask_b32_e64 v59, v59, v60, s8
	;; [unrolled: 1-line block ×4, first 2 shown]
	v_cmp_lt_i16_e64 s10, v69, v68
	v_cmp_ge_i32_e64 s11, v63, v21
	s_wait_loadcnt 0x0
	v_cmp_lt_i32_e64 s12, v60, v22
	s_barrier_signal -1
	s_barrier_wait -1
	s_or_b32 s10, s11, s10
	global_inv scope:SCOPE_SE
	s_wait_alu 0xfffe
	s_and_b32 s10, s12, s10
	ds_store_b8 v1, v47
	ds_store_b8 v1, v49 offset:1
	ds_store_b8 v1, v50 offset:2
	;; [unrolled: 1-line block ×3, first 2 shown]
	s_wait_alu 0xfffe
	v_cndmask_b32_e64 v60, v63, v60, s10
	s_wait_loadcnt_dscnt 0x0
	s_barrier_signal -1
	s_barrier_wait -1
	global_inv scope:SCOPE_SE
	ds_load_u8 v47, v55
	ds_load_u8 v48, v60
	;; [unrolled: 1-line block ×4, first 2 shown]
	v_cndmask_b32_e64 v51, v51, v52, s7
	v_cndmask_b32_e64 v53, v53, v54, s8
	;; [unrolled: 1-line block ×4, first 2 shown]
	s_wait_loadcnt_dscnt 0x0
	s_barrier_signal -1
	s_barrier_wait -1
	global_inv scope:SCOPE_SE
	ds_store_b8 v1, v51
	ds_store_b8 v1, v53 offset:1
	ds_store_b8 v1, v55 offset:2
	;; [unrolled: 1-line block ×3, first 2 shown]
	v_mov_b32_e32 v51, v45
	s_wait_loadcnt_dscnt 0x0
	s_barrier_signal -1
	s_barrier_wait -1
	global_inv scope:SCOPE_SE
	s_and_saveexec_b32 s8, s6
	s_cbranch_execz .LBB67_102
; %bb.99:                               ;   in Loop: Header=BB67_2 Depth=1
	v_dual_mov_b32 v51, v45 :: v_dual_mov_b32 v52, v38
	s_mov_b32 s9, 0
.LBB67_100:                             ;   Parent Loop BB67_2 Depth=1
                                        ; =>  This Inner Loop Header: Depth=2
	s_delay_alu instid0(VALU_DEP_1) | instskip(NEXT) | instid1(VALU_DEP_1)
	v_sub_nc_u32_e32 v53, v52, v51
	v_lshrrev_b32_e32 v53, 1, v53
	s_delay_alu instid0(VALU_DEP_1) | instskip(NEXT) | instid1(VALU_DEP_1)
	v_add_nc_u32_e32 v53, v53, v51
	v_add_nc_u32_e32 v54, v8, v53
	v_xad_u32 v55, v53, -1, v31
	v_add_nc_u32_e32 v56, 1, v53
	ds_load_i8 v54, v54
	ds_load_i8 v55, v55
	s_wait_dscnt 0x0
	v_cmp_lt_i16_e64 s7, v55, v54
	s_wait_alu 0xf1ff
	s_delay_alu instid0(VALU_DEP_1) | instskip(SKIP_1) | instid1(VALU_DEP_1)
	v_cndmask_b32_e64 v52, v52, v53, s7
	v_cndmask_b32_e64 v51, v56, v51, s7
	v_cmp_ge_i32_e64 s7, v51, v52
	s_wait_alu 0xfffe
	s_or_b32 s9, s7, s9
	s_wait_alu 0xfffe
	s_and_not1_b32 exec_lo, exec_lo, s9
	s_cbranch_execnz .LBB67_100
; %bb.101:                              ;   in Loop: Header=BB67_2 Depth=1
	s_or_b32 exec_lo, exec_lo, s9
.LBB67_102:                             ;   in Loop: Header=BB67_2 Depth=1
	s_wait_alu 0xfffe
	s_or_b32 exec_lo, exec_lo, s8
	v_add_nc_u32_e32 v55, v51, v8
	v_sub_nc_u32_e32 v56, v31, v51
                                        ; implicit-def: $vgpr53
	ds_load_u8 v51, v55
	ds_load_u8 v52, v56
	v_cmp_le_i32_e64 s7, v23, v55
	v_cmp_gt_i32_e64 s9, v24, v56
	s_wait_dscnt 0x1
	v_bfe_i32 v51, v51, 0, 8
	s_wait_dscnt 0x0
	v_bfe_i32 v52, v52, 0, 8
	s_delay_alu instid0(VALU_DEP_1)
	v_cmp_lt_i16_e64 s8, v52, v51
	s_or_b32 s7, s7, s8
	s_wait_alu 0xfffe
	s_and_b32 s7, s9, s7
	s_wait_alu 0xfffe
	s_xor_b32 s8, s7, -1
	s_wait_alu 0xfffe
	s_and_saveexec_b32 s9, s8
	s_wait_alu 0xfffe
	s_xor_b32 s8, exec_lo, s9
; %bb.103:                              ;   in Loop: Header=BB67_2 Depth=1
	ds_load_u8 v53, v55 offset:1
; %bb.104:                              ;   in Loop: Header=BB67_2 Depth=1
	s_wait_alu 0xfffe
	s_or_saveexec_b32 s8, s8
	v_mov_b32_e32 v54, v52
	s_wait_alu 0xfffe
	s_xor_b32 exec_lo, exec_lo, s8
	s_cbranch_execz .LBB67_106
; %bb.105:                              ;   in Loop: Header=BB67_2 Depth=1
	ds_load_u8 v54, v56 offset:1
	s_wait_dscnt 0x1
	v_mov_b32_e32 v53, v51
.LBB67_106:                             ;   in Loop: Header=BB67_2 Depth=1
	s_or_b32 exec_lo, exec_lo, s8
	v_add_nc_u32_e32 v57, 1, v55
	v_add_nc_u32_e32 v58, 1, v56
	s_wait_dscnt 0x0
	v_bfe_i32 v61, v53, 0, 8
	s_delay_alu instid0(VALU_DEP_3) | instskip(SKIP_2) | instid1(VALU_DEP_3)
	v_cndmask_b32_e64 v59, v57, v55, s7
	v_bfe_i32 v57, v54, 0, 8
	v_cndmask_b32_e64 v60, v56, v58, s7
	v_cmp_ge_i32_e64 s8, v59, v23
	s_delay_alu instid0(VALU_DEP_3) | instskip(NEXT) | instid1(VALU_DEP_3)
	v_cmp_lt_i16_e64 s9, v57, v61
	v_cmp_lt_i32_e64 s10, v60, v24
                                        ; implicit-def: $vgpr57
	s_or_b32 s8, s8, s9
	s_wait_alu 0xfffe
	s_and_b32 s8, s10, s8
	s_wait_alu 0xfffe
	s_xor_b32 s9, s8, -1
	s_wait_alu 0xfffe
	s_and_saveexec_b32 s10, s9
	s_wait_alu 0xfffe
	s_xor_b32 s9, exec_lo, s10
; %bb.107:                              ;   in Loop: Header=BB67_2 Depth=1
	ds_load_u8 v57, v59 offset:1
; %bb.108:                              ;   in Loop: Header=BB67_2 Depth=1
	s_wait_alu 0xfffe
	s_or_saveexec_b32 s9, s9
	v_mov_b32_e32 v58, v54
	s_wait_alu 0xfffe
	s_xor_b32 exec_lo, exec_lo, s9
	s_cbranch_execz .LBB67_110
; %bb.109:                              ;   in Loop: Header=BB67_2 Depth=1
	ds_load_u8 v58, v60 offset:1
	s_wait_dscnt 0x1
	v_mov_b32_e32 v57, v53
.LBB67_110:                             ;   in Loop: Header=BB67_2 Depth=1
	s_or_b32 exec_lo, exec_lo, s9
	v_add_nc_u32_e32 v61, 1, v59
	v_add_nc_u32_e32 v62, 1, v60
	s_wait_dscnt 0x0
	v_bfe_i32 v64, v57, 0, 8
	s_delay_alu instid0(VALU_DEP_3) | instskip(SKIP_2) | instid1(VALU_DEP_3)
	v_cndmask_b32_e64 v63, v61, v59, s8
	v_bfe_i32 v61, v58, 0, 8
	v_cndmask_b32_e64 v62, v60, v62, s8
	v_cmp_ge_i32_e64 s9, v63, v23
	s_delay_alu instid0(VALU_DEP_3) | instskip(NEXT) | instid1(VALU_DEP_3)
	v_cmp_lt_i16_e64 s10, v61, v64
	v_cmp_lt_i32_e64 s11, v62, v24
                                        ; implicit-def: $vgpr61
	s_or_b32 s9, s9, s10
	s_wait_alu 0xfffe
	s_and_b32 s9, s11, s9
	s_wait_alu 0xfffe
	s_xor_b32 s10, s9, -1
	s_wait_alu 0xfffe
	s_and_saveexec_b32 s11, s10
	s_wait_alu 0xfffe
	s_xor_b32 s10, exec_lo, s11
; %bb.111:                              ;   in Loop: Header=BB67_2 Depth=1
	ds_load_u8 v61, v63 offset:1
; %bb.112:                              ;   in Loop: Header=BB67_2 Depth=1
	s_wait_alu 0xfffe
	s_or_saveexec_b32 s10, s10
	v_mov_b32_e32 v64, v58
	s_wait_alu 0xfffe
	s_xor_b32 exec_lo, exec_lo, s10
	s_cbranch_execz .LBB67_114
; %bb.113:                              ;   in Loop: Header=BB67_2 Depth=1
	ds_load_u8 v64, v62 offset:1
	s_wait_dscnt 0x1
	v_mov_b32_e32 v61, v57
.LBB67_114:                             ;   in Loop: Header=BB67_2 Depth=1
	s_or_b32 exec_lo, exec_lo, s10
	v_add_nc_u32_e32 v65, 1, v63
	v_add_nc_u32_e32 v66, 1, v62
	v_cndmask_b32_e64 v67, v63, v62, s9
	s_wait_dscnt 0x0
	v_bfe_i32 v68, v61, 0, 8
	v_bfe_i32 v69, v64, 0, 8
	v_cndmask_b32_e64 v63, v65, v63, s9
	v_cndmask_b32_e64 v59, v59, v60, s8
	;; [unrolled: 1-line block ×4, first 2 shown]
	v_cmp_lt_i16_e64 s10, v69, v68
	v_cmp_ge_i32_e64 s11, v63, v23
	s_wait_loadcnt 0x0
	v_cmp_lt_i32_e64 s12, v60, v24
	s_barrier_signal -1
	s_barrier_wait -1
	s_or_b32 s10, s11, s10
	global_inv scope:SCOPE_SE
	s_wait_alu 0xfffe
	s_and_b32 s10, s12, s10
	ds_store_b8 v1, v47
	ds_store_b8 v1, v49 offset:1
	ds_store_b8 v1, v50 offset:2
	;; [unrolled: 1-line block ×3, first 2 shown]
	s_wait_alu 0xfffe
	v_cndmask_b32_e64 v60, v63, v60, s10
	s_wait_loadcnt_dscnt 0x0
	s_barrier_signal -1
	s_barrier_wait -1
	global_inv scope:SCOPE_SE
	ds_load_u8 v47, v55
	ds_load_u8 v48, v60
	;; [unrolled: 1-line block ×4, first 2 shown]
	v_cndmask_b32_e64 v51, v51, v52, s7
	v_cndmask_b32_e64 v53, v53, v54, s8
	;; [unrolled: 1-line block ×4, first 2 shown]
	s_wait_loadcnt_dscnt 0x0
	s_barrier_signal -1
	s_barrier_wait -1
	global_inv scope:SCOPE_SE
	ds_store_b8 v1, v51
	ds_store_b8 v1, v53 offset:1
	ds_store_b8 v1, v55 offset:2
	;; [unrolled: 1-line block ×3, first 2 shown]
	v_mov_b32_e32 v51, v9
	s_wait_loadcnt_dscnt 0x0
	s_barrier_signal -1
	s_barrier_wait -1
	global_inv scope:SCOPE_SE
	s_and_saveexec_b32 s8, vcc_lo
	s_cbranch_execz .LBB67_118
; %bb.115:                              ;   in Loop: Header=BB67_2 Depth=1
	v_dual_mov_b32 v51, v9 :: v_dual_mov_b32 v52, v10
	s_mov_b32 s9, 0
.LBB67_116:                             ;   Parent Loop BB67_2 Depth=1
                                        ; =>  This Inner Loop Header: Depth=2
	s_delay_alu instid0(VALU_DEP_1) | instskip(NEXT) | instid1(VALU_DEP_1)
	v_sub_nc_u32_e32 v53, v52, v51
	v_lshrrev_b32_e32 v53, 1, v53
	s_delay_alu instid0(VALU_DEP_1) | instskip(NEXT) | instid1(VALU_DEP_1)
	v_add_nc_u32_e32 v53, v53, v51
	v_xad_u32 v54, v53, -1, v46
	v_add_nc_u32_e32 v56, 1, v53
	ds_load_i8 v55, v53
	ds_load_i8 v54, v54
	s_wait_dscnt 0x0
	v_cmp_lt_i16_e64 s7, v54, v55
	s_wait_alu 0xf1ff
	s_delay_alu instid0(VALU_DEP_1) | instskip(SKIP_1) | instid1(VALU_DEP_1)
	v_cndmask_b32_e64 v52, v52, v53, s7
	v_cndmask_b32_e64 v51, v56, v51, s7
	v_cmp_ge_i32_e64 s7, v51, v52
	s_wait_alu 0xfffe
	s_or_b32 s9, s7, s9
	s_wait_alu 0xfffe
	s_and_not1_b32 exec_lo, exec_lo, s9
	s_cbranch_execnz .LBB67_116
; %bb.117:                              ;   in Loop: Header=BB67_2 Depth=1
	s_or_b32 exec_lo, exec_lo, s9
.LBB67_118:                             ;   in Loop: Header=BB67_2 Depth=1
	s_wait_alu 0xfffe
	s_or_b32 exec_lo, exec_lo, s8
	v_sub_nc_u32_e32 v56, v46, v51
	v_cmp_le_i32_e64 s7, 0x200, v51
                                        ; implicit-def: $vgpr54
	ds_load_u8 v52, v51
	ds_load_u8 v53, v56
	v_cmp_gt_i32_e64 s9, 0x400, v56
	s_wait_dscnt 0x1
	v_bfe_i32 v52, v52, 0, 8
	s_wait_dscnt 0x0
	v_bfe_i32 v53, v53, 0, 8
	s_delay_alu instid0(VALU_DEP_1)
	v_cmp_lt_i16_e64 s8, v53, v52
	s_or_b32 s7, s7, s8
	s_wait_alu 0xfffe
	s_and_b32 s7, s9, s7
	s_wait_alu 0xfffe
	s_xor_b32 s8, s7, -1
	s_wait_alu 0xfffe
	s_and_saveexec_b32 s9, s8
	s_wait_alu 0xfffe
	s_xor_b32 s8, exec_lo, s9
; %bb.119:                              ;   in Loop: Header=BB67_2 Depth=1
	ds_load_u8 v54, v51 offset:1
; %bb.120:                              ;   in Loop: Header=BB67_2 Depth=1
	s_wait_alu 0xfffe
	s_or_saveexec_b32 s8, s8
	v_mov_b32_e32 v55, v53
	s_wait_alu 0xfffe
	s_xor_b32 exec_lo, exec_lo, s8
	s_cbranch_execz .LBB67_122
; %bb.121:                              ;   in Loop: Header=BB67_2 Depth=1
	ds_load_u8 v55, v56 offset:1
	s_wait_dscnt 0x1
	v_mov_b32_e32 v54, v52
.LBB67_122:                             ;   in Loop: Header=BB67_2 Depth=1
	s_or_b32 exec_lo, exec_lo, s8
	v_add_nc_u32_e32 v57, 1, v51
	v_add_nc_u32_e32 v58, 1, v56
	s_wait_dscnt 0x0
	v_bfe_i32 v61, v54, 0, 8
	s_delay_alu instid0(VALU_DEP_3) | instskip(SKIP_2) | instid1(VALU_DEP_3)
	v_cndmask_b32_e64 v59, v57, v51, s7
	v_bfe_i32 v57, v55, 0, 8
	v_cndmask_b32_e64 v60, v56, v58, s7
	v_cmp_le_i32_e64 s8, 0x200, v59
	s_delay_alu instid0(VALU_DEP_3) | instskip(NEXT) | instid1(VALU_DEP_3)
	v_cmp_lt_i16_e64 s9, v57, v61
	v_cmp_gt_i32_e64 s10, 0x400, v60
                                        ; implicit-def: $vgpr57
	s_or_b32 s8, s8, s9
	s_wait_alu 0xfffe
	s_and_b32 s8, s10, s8
	s_wait_alu 0xfffe
	s_xor_b32 s9, s8, -1
	s_wait_alu 0xfffe
	s_and_saveexec_b32 s10, s9
	s_wait_alu 0xfffe
	s_xor_b32 s9, exec_lo, s10
; %bb.123:                              ;   in Loop: Header=BB67_2 Depth=1
	ds_load_u8 v57, v59 offset:1
; %bb.124:                              ;   in Loop: Header=BB67_2 Depth=1
	s_wait_alu 0xfffe
	s_or_saveexec_b32 s9, s9
	v_mov_b32_e32 v58, v55
	s_wait_alu 0xfffe
	s_xor_b32 exec_lo, exec_lo, s9
	s_cbranch_execz .LBB67_126
; %bb.125:                              ;   in Loop: Header=BB67_2 Depth=1
	ds_load_u8 v58, v60 offset:1
	s_wait_dscnt 0x1
	v_mov_b32_e32 v57, v54
.LBB67_126:                             ;   in Loop: Header=BB67_2 Depth=1
	s_or_b32 exec_lo, exec_lo, s9
	v_add_nc_u32_e32 v61, 1, v59
	v_add_nc_u32_e32 v62, 1, v60
	s_wait_dscnt 0x0
	v_bfe_i32 v63, v57, 0, 8
	v_bfe_i32 v64, v58, 0, 8
	v_cndmask_b32_e64 v66, v61, v59, s8
	v_cndmask_b32_e64 v61, v60, v62, s8
                                        ; implicit-def: $vgpr62
	s_delay_alu instid0(VALU_DEP_3) | instskip(NEXT) | instid1(VALU_DEP_3)
	v_cmp_lt_i16_e64 s10, v64, v63
                                        ; implicit-def: $vgpr63
	v_cmp_le_i32_e64 s9, 0x200, v66
	s_delay_alu instid0(VALU_DEP_3)
	v_cmp_gt_i32_e64 s11, 0x400, v61
	s_or_b32 s9, s9, s10
	s_wait_alu 0xfffe
	s_and_b32 s9, s11, s9
	s_wait_alu 0xfffe
	s_xor_b32 s10, s9, -1
	s_wait_alu 0xfffe
	s_and_saveexec_b32 s11, s10
	s_wait_alu 0xfffe
	s_xor_b32 s10, exec_lo, s11
; %bb.127:                              ;   in Loop: Header=BB67_2 Depth=1
	ds_load_u8 v63, v66 offset:1
	v_add_nc_u32_e32 v62, 1, v66
; %bb.128:                              ;   in Loop: Header=BB67_2 Depth=1
	s_wait_alu 0xfffe
	s_or_saveexec_b32 s10, s10
	v_dual_mov_b32 v64, v66 :: v_dual_mov_b32 v65, v58
	s_wait_alu 0xfffe
	s_xor_b32 exec_lo, exec_lo, s10
	s_cbranch_execz .LBB67_1
; %bb.129:                              ;   in Loop: Header=BB67_2 Depth=1
	ds_load_u8 v65, v61 offset:1
	s_wait_dscnt 0x1
	v_dual_mov_b32 v64, v61 :: v_dual_add_nc_u32 v63, 1, v61
	s_delay_alu instid0(VALU_DEP_1)
	v_dual_mov_b32 v62, v66 :: v_dual_mov_b32 v61, v63
	v_mov_b32_e32 v63, v57
	s_branch .LBB67_1
.LBB67_130:
	s_add_nc_u64 s[0:1], s[18:19], s[20:21]
	s_wait_dscnt 0x3
	v_add_nc_u16 v2, v53, v50
	s_wait_alu 0xfffe
	v_add_co_u32 v0, s0, s0, v0
	s_wait_alu 0xf1ff
	v_add_co_ci_u32_e64 v1, null, s1, 0, s0
	s_wait_dscnt 0x0
	v_add_nc_u16 v3, v52, v49
	v_add_nc_u16 v4, v54, v47
	;; [unrolled: 1-line block ×3, first 2 shown]
	s_clause 0x3
	global_store_b8 v[0:1], v2, off
	global_store_b8 v[0:1], v3, off offset:256
	global_store_b8 v[0:1], v4, off offset:512
	;; [unrolled: 1-line block ×3, first 2 shown]
	s_endpgm
	.section	.rodata,"a",@progbits
	.p2align	6, 0x0
	.amdhsa_kernel _Z17sort_pairs_kernelIaLj256ELj4EN10test_utils4lessELj10EEvPKT_PS2_T2_
		.amdhsa_group_segment_fixed_size 1025
		.amdhsa_private_segment_fixed_size 0
		.amdhsa_kernarg_size 20
		.amdhsa_user_sgpr_count 2
		.amdhsa_user_sgpr_dispatch_ptr 0
		.amdhsa_user_sgpr_queue_ptr 0
		.amdhsa_user_sgpr_kernarg_segment_ptr 1
		.amdhsa_user_sgpr_dispatch_id 0
		.amdhsa_user_sgpr_private_segment_size 0
		.amdhsa_wavefront_size32 1
		.amdhsa_uses_dynamic_stack 0
		.amdhsa_enable_private_segment 0
		.amdhsa_system_sgpr_workgroup_id_x 1
		.amdhsa_system_sgpr_workgroup_id_y 0
		.amdhsa_system_sgpr_workgroup_id_z 0
		.amdhsa_system_sgpr_workgroup_info 0
		.amdhsa_system_vgpr_workitem_id 0
		.amdhsa_next_free_vgpr 70
		.amdhsa_next_free_sgpr 23
		.amdhsa_reserve_vcc 1
		.amdhsa_float_round_mode_32 0
		.amdhsa_float_round_mode_16_64 0
		.amdhsa_float_denorm_mode_32 3
		.amdhsa_float_denorm_mode_16_64 3
		.amdhsa_fp16_overflow 0
		.amdhsa_workgroup_processor_mode 1
		.amdhsa_memory_ordered 1
		.amdhsa_forward_progress 1
		.amdhsa_inst_pref_size 75
		.amdhsa_round_robin_scheduling 0
		.amdhsa_exception_fp_ieee_invalid_op 0
		.amdhsa_exception_fp_denorm_src 0
		.amdhsa_exception_fp_ieee_div_zero 0
		.amdhsa_exception_fp_ieee_overflow 0
		.amdhsa_exception_fp_ieee_underflow 0
		.amdhsa_exception_fp_ieee_inexact 0
		.amdhsa_exception_int_div_zero 0
	.end_amdhsa_kernel
	.section	.text._Z17sort_pairs_kernelIaLj256ELj4EN10test_utils4lessELj10EEvPKT_PS2_T2_,"axG",@progbits,_Z17sort_pairs_kernelIaLj256ELj4EN10test_utils4lessELj10EEvPKT_PS2_T2_,comdat
.Lfunc_end67:
	.size	_Z17sort_pairs_kernelIaLj256ELj4EN10test_utils4lessELj10EEvPKT_PS2_T2_, .Lfunc_end67-_Z17sort_pairs_kernelIaLj256ELj4EN10test_utils4lessELj10EEvPKT_PS2_T2_
                                        ; -- End function
	.set _Z17sort_pairs_kernelIaLj256ELj4EN10test_utils4lessELj10EEvPKT_PS2_T2_.num_vgpr, 70
	.set _Z17sort_pairs_kernelIaLj256ELj4EN10test_utils4lessELj10EEvPKT_PS2_T2_.num_agpr, 0
	.set _Z17sort_pairs_kernelIaLj256ELj4EN10test_utils4lessELj10EEvPKT_PS2_T2_.numbered_sgpr, 23
	.set _Z17sort_pairs_kernelIaLj256ELj4EN10test_utils4lessELj10EEvPKT_PS2_T2_.num_named_barrier, 0
	.set _Z17sort_pairs_kernelIaLj256ELj4EN10test_utils4lessELj10EEvPKT_PS2_T2_.private_seg_size, 0
	.set _Z17sort_pairs_kernelIaLj256ELj4EN10test_utils4lessELj10EEvPKT_PS2_T2_.uses_vcc, 1
	.set _Z17sort_pairs_kernelIaLj256ELj4EN10test_utils4lessELj10EEvPKT_PS2_T2_.uses_flat_scratch, 0
	.set _Z17sort_pairs_kernelIaLj256ELj4EN10test_utils4lessELj10EEvPKT_PS2_T2_.has_dyn_sized_stack, 0
	.set _Z17sort_pairs_kernelIaLj256ELj4EN10test_utils4lessELj10EEvPKT_PS2_T2_.has_recursion, 0
	.set _Z17sort_pairs_kernelIaLj256ELj4EN10test_utils4lessELj10EEvPKT_PS2_T2_.has_indirect_call, 0
	.section	.AMDGPU.csdata,"",@progbits
; Kernel info:
; codeLenInByte = 9480
; TotalNumSgprs: 25
; NumVgprs: 70
; ScratchSize: 0
; MemoryBound: 0
; FloatMode: 240
; IeeeMode: 1
; LDSByteSize: 1025 bytes/workgroup (compile time only)
; SGPRBlocks: 0
; VGPRBlocks: 8
; NumSGPRsForWavesPerEU: 25
; NumVGPRsForWavesPerEU: 70
; Occupancy: 16
; WaveLimiterHint : 1
; COMPUTE_PGM_RSRC2:SCRATCH_EN: 0
; COMPUTE_PGM_RSRC2:USER_SGPR: 2
; COMPUTE_PGM_RSRC2:TRAP_HANDLER: 0
; COMPUTE_PGM_RSRC2:TGID_X_EN: 1
; COMPUTE_PGM_RSRC2:TGID_Y_EN: 0
; COMPUTE_PGM_RSRC2:TGID_Z_EN: 0
; COMPUTE_PGM_RSRC2:TIDIG_COMP_CNT: 0
	.section	.text._Z16sort_keys_kernelIaLj256ELj8EN10test_utils4lessELj10EEvPKT_PS2_T2_,"axG",@progbits,_Z16sort_keys_kernelIaLj256ELj8EN10test_utils4lessELj10EEvPKT_PS2_T2_,comdat
	.protected	_Z16sort_keys_kernelIaLj256ELj8EN10test_utils4lessELj10EEvPKT_PS2_T2_ ; -- Begin function _Z16sort_keys_kernelIaLj256ELj8EN10test_utils4lessELj10EEvPKT_PS2_T2_
	.globl	_Z16sort_keys_kernelIaLj256ELj8EN10test_utils4lessELj10EEvPKT_PS2_T2_
	.p2align	8
	.type	_Z16sort_keys_kernelIaLj256ELj8EN10test_utils4lessELj10EEvPKT_PS2_T2_,@function
_Z16sort_keys_kernelIaLj256ELj8EN10test_utils4lessELj10EEvPKT_PS2_T2_: ; @_Z16sort_keys_kernelIaLj256ELj8EN10test_utils4lessELj10EEvPKT_PS2_T2_
; %bb.0:
	s_load_b128 s[16:19], s[0:1], 0x0
	s_lshl_b32 s20, ttmp9, 11
	s_mov_b32 s21, 0
	v_lshlrev_b32_e32 v1, 3, v0
	s_delay_alu instid0(VALU_DEP_1)
	v_and_b32_e32 v2, 0x7f0, v1
	v_and_b32_e32 v3, 0x7e0, v1
	;; [unrolled: 1-line block ×5, first 2 shown]
	v_or_b32_e32 v12, 8, v2
	v_add_nc_u32_e32 v13, 16, v2
	v_or_b32_e32 v14, 16, v3
	v_add_nc_u32_e32 v15, 32, v3
	v_and_b32_e32 v5, 0x780, v1
	v_or_b32_e32 v16, 32, v4
	v_sub_nc_u32_e32 v55, v13, v12
	s_wait_kmcnt 0x0
	s_add_nc_u64 s[0:1], s[16:17], s[20:21]
	v_add_nc_u32_e32 v17, 64, v4
	s_clause 0x7
	global_load_u8 v47, v0, s[0:1] offset:256
	global_load_u8 v48, v0, s[0:1] offset:1536
	global_load_u8 v49, v0, s[0:1] offset:1024
	global_load_u8 v50, v0, s[0:1] offset:512
	global_load_u8 v51, v0, s[0:1]
	global_load_u8 v52, v0, s[0:1] offset:768
	global_load_u8 v53, v0, s[0:1] offset:1280
	;; [unrolled: 1-line block ×3, first 2 shown]
	v_sub_nc_u32_e32 v33, v12, v2
	v_sub_nc_u32_e32 v56, v15, v14
	;; [unrolled: 1-line block ×3, first 2 shown]
	v_cmp_ge_i32_e64 s0, v40, v55
	v_and_b32_e32 v42, 56, v1
	v_and_b32_e32 v6, 0x700, v1
	v_or_b32_e32 v18, 64, v5
	v_add_nc_u32_e32 v19, 0x80, v5
	v_add_nc_u32_e32 v26, v12, v40
	v_sub_nc_u32_e32 v34, v14, v3
	v_sub_nc_u32_e32 v57, v17, v16
	v_min_i32_e32 v33, v40, v33
	v_sub_nc_u32_e32 v63, v41, v56
	v_cndmask_b32_e64 v40, 0, v62, s0
	v_cmp_ge_i32_e64 s0, v41, v56
	v_and_b32_e32 v43, 0x78, v1
	v_and_b32_e32 v7, 0x600, v1
	v_or_b32_e32 v20, 0x80, v6
	v_add_nc_u32_e32 v21, 0x100, v6
	v_add_nc_u32_e32 v27, v14, v41
	v_sub_nc_u32_e32 v35, v16, v4
	v_sub_nc_u32_e32 v58, v19, v18
	v_min_i32_e32 v34, v41, v34
	v_sub_nc_u32_e32 v64, v42, v57
	s_wait_alu 0xf1ff
	v_cndmask_b32_e64 v41, 0, v63, s0
	v_cmp_ge_i32_e64 s0, v42, v57
	v_and_b32_e32 v44, 0xf8, v1
	v_and_b32_e32 v8, 0x400, v1
	v_or_b32_e32 v22, 0x100, v7
	v_add_nc_u32_e32 v23, 0x200, v7
	v_add_nc_u32_e32 v28, v16, v42
	v_sub_nc_u32_e32 v36, v18, v5
	v_sub_nc_u32_e32 v59, v21, v20
	v_min_i32_e32 v35, v42, v35
	v_sub_nc_u32_e32 v65, v43, v58
	s_wait_alu 0xf1ff
	v_cndmask_b32_e64 v42, 0, v64, s0
	v_cmp_ge_i32_e64 s0, v43, v58
	v_and_b32_e32 v45, 0x1f8, v1
	v_or_b32_e32 v24, 0x200, v8
	v_add_nc_u32_e32 v25, 0x400, v8
	v_add_nc_u32_e32 v29, v18, v43
	v_sub_nc_u32_e32 v37, v20, v6
	v_sub_nc_u32_e32 v60, v23, v22
	v_min_i32_e32 v36, v43, v36
	v_sub_nc_u32_e32 v66, v44, v59
	s_wait_alu 0xf1ff
	v_cndmask_b32_e64 v43, 0, v65, s0
	v_cmp_ge_i32_e64 s0, v44, v59
	v_and_b32_e32 v46, 0x3f8, v1
	v_add_nc_u32_e32 v30, v20, v44
	v_sub_nc_u32_e32 v38, v22, v7
	v_sub_nc_u32_e32 v61, v25, v24
	v_min_i32_e32 v37, v44, v37
	v_sub_nc_u32_e32 v67, v45, v60
	s_wait_alu 0xf1ff
	v_cndmask_b32_e64 v44, 0, v66, s0
	v_cmp_ge_i32_e64 s0, v45, v60
	v_add_nc_u32_e32 v31, v22, v45
	v_sub_nc_u32_e32 v39, v24, v8
	v_min_i32_e32 v38, v45, v38
	v_sub_nc_u32_e32 v68, v46, v61
	s_wait_alu 0xf1ff
	v_cndmask_b32_e64 v45, 0, v67, s0
	v_cmp_ge_i32_e64 s0, v46, v61
	v_add_nc_u32_e32 v32, v24, v46
	v_min_i32_e32 v39, v46, v39
	v_subrev_nc_u32_e64 v9, 0x400, v1 clamp
	v_min_i32_e32 v10, 0x400, v1
	s_wait_alu 0xf1ff
	v_cndmask_b32_e64 v46, 0, v68, s0
	v_add_nc_u32_e32 v11, 0x400, v1
	v_cmp_lt_i32_e64 s0, v40, v33
	v_cmp_lt_i32_e64 s1, v41, v34
	;; [unrolled: 1-line block ×7, first 2 shown]
	s_mov_b32 s16, s21
	v_cmp_lt_i32_e32 vcc_lo, v9, v10
	s_wait_loadcnt 0x3
	v_perm_b32 v47, v51, v47, 0xc0c0004
	s_wait_loadcnt 0x2
	v_perm_b32 v50, v50, v52, 0xc0c0004
	;; [unrolled: 2-line block ×4, first 2 shown]
	v_lshl_or_b32 v56, v50, 16, v47
	s_delay_alu instid0(VALU_DEP_2)
	v_lshl_or_b32 v47, v48, 16, v49
	s_branch .LBB68_2
.LBB68_1:                               ;   in Loop: Header=BB68_2 Depth=1
	s_or_b32 exec_lo, exec_lo, s14
	s_wait_dscnt 0x0
	v_bfe_i32 v65, v62, 0, 8
	v_bfe_i32 v66, v64, 0, 8
	v_cndmask_b32_e64 v48, v47, v48, s7
	v_cndmask_b32_e64 v49, v49, v50, s8
	v_cmp_le_i32_e64 s7, 0x400, v63
	v_cndmask_b32_e64 v50, v51, v52, s9
	v_cmp_lt_i16_e64 s8, v66, v65
	v_cmp_gt_i32_e64 s9, 0x800, v61
	v_cndmask_b32_e64 v51, v53, v54, s10
	v_cndmask_b32_e64 v52, v55, v56, s11
	;; [unrolled: 1-line block ×3, first 2 shown]
	s_or_b32 s7, s7, s8
	v_cndmask_b32_e64 v54, v59, v60, s13
	s_wait_alu 0xfffe
	s_and_b32 s7, s9, s7
	v_lshlrev_b16 v47, 8, v49
	s_wait_alu 0xfffe
	v_cndmask_b32_e64 v55, v62, v64, s7
	v_and_b32_e32 v56, 0xff, v48
	v_lshlrev_b16 v57, 8, v51
	v_and_b32_e32 v58, 0xff, v50
	v_lshlrev_b16 v59, 8, v53
	v_and_b32_e32 v60, 0xff, v52
	v_and_b32_e32 v61, 0xff, v54
	v_lshlrev_b16 v62, 8, v55
	v_or_b32_e32 v47, v56, v47
	v_or_b32_e32 v56, v58, v57
	;; [unrolled: 1-line block ×3, first 2 shown]
	s_add_co_i32 s16, s16, 1
	v_or_b32_e32 v58, v61, v62
	v_and_b32_e32 v47, 0xffff, v47
	v_lshlrev_b32_e32 v56, 16, v56
	v_and_b32_e32 v57, 0xffff, v57
	s_cmp_eq_u32 s16, 10
	v_lshlrev_b32_e32 v58, 16, v58
	s_delay_alu instid0(VALU_DEP_3) | instskip(NEXT) | instid1(VALU_DEP_2)
	v_or_b32_e32 v56, v47, v56
	v_or_b32_e32 v47, v57, v58
	s_cbranch_scc1 .LBB68_258
.LBB68_2:                               ; =>This Loop Header: Depth=1
                                        ;     Child Loop BB68_4 Depth 2
                                        ;     Child Loop BB68_36 Depth 2
	;; [unrolled: 1-line block ×8, first 2 shown]
	s_delay_alu instid0(VALU_DEP_2)
	v_lshrrev_b32_e32 v48, 8, v56
	v_bfe_i32 v49, v56, 0, 8
	v_perm_b32 v50, v56, v56, 0x7060405
	v_lshrrev_b32_e32 v57, 8, v47
	v_perm_b32 v60, v47, v47, 0x7060405
	v_bfe_i32 v48, v48, 0, 8
	s_barrier_signal -1
	s_delay_alu instid0(VALU_DEP_3) | instskip(SKIP_1) | instid1(VALU_DEP_2)
	v_bfe_i32 v57, v57, 0, 8
	s_barrier_wait -1
	v_cmp_lt_i16_e64 s7, v48, v49
	global_inv scope:SCOPE_SE
	s_wait_alu 0xf1ff
	v_cndmask_b32_e64 v50, v56, v50, s7
	v_max_i16 v56, v48, v49
	v_min_i16 v48, v48, v49
	s_delay_alu instid0(VALU_DEP_3) | instskip(SKIP_1) | instid1(VALU_DEP_3)
	v_lshrrev_b32_e32 v51, 16, v50
	v_lshrrev_b32_e32 v53, 24, v50
	v_lshlrev_b16 v61, 8, v48
	s_delay_alu instid0(VALU_DEP_3) | instskip(NEXT) | instid1(VALU_DEP_3)
	v_perm_b32 v52, 0, v51, 0xc0c0001
	v_bfe_i32 v53, v53, 0, 8
	v_bfe_i32 v51, v51, 0, 8
	s_delay_alu instid0(VALU_DEP_3) | instskip(NEXT) | instid1(VALU_DEP_2)
	v_lshlrev_b32_e32 v52, 16, v52
	v_cmp_lt_i16_e64 s7, v53, v51
	v_min_i16 v54, v53, v51
	v_max_i16 v51, v53, v51
	s_delay_alu instid0(VALU_DEP_4) | instskip(NEXT) | instid1(VALU_DEP_3)
	v_and_or_b32 v52, 0xffff, v50, v52
	v_min_i16 v59, v54, v56
	v_cmp_lt_i16_e64 s8, v54, v48
	s_wait_alu 0xf1ff
	s_delay_alu instid0(VALU_DEP_3)
	v_cndmask_b32_e64 v50, v50, v52, s7
	v_lshlrev_b16 v52, 8, v54
	v_cmp_lt_i16_e64 s7, v54, v56
	v_and_b32_e32 v53, 0xff, v59
	v_cndmask_b32_e64 v66, v59, v48, s8
	v_and_b32_e32 v55, 0xff, v50
	v_cndmask_b32_e64 v48, v48, v59, s8
	s_delay_alu instid0(VALU_DEP_4) | instskip(NEXT) | instid1(VALU_DEP_3)
	v_or_b32_e32 v53, v53, v61
	v_or_b32_e32 v52, v55, v52
	v_perm_b32 v55, v56, v50, 0xc0c0304
	v_max_i16 v56, v54, v56
	s_delay_alu instid0(VALU_DEP_4) | instskip(NEXT) | instid1(VALU_DEP_4)
	v_and_b32_e32 v53, 0xffff, v53
	v_and_b32_e32 v52, 0xffff, v52
	s_delay_alu instid0(VALU_DEP_1) | instskip(SKIP_2) | instid1(VALU_DEP_2)
	v_lshl_or_b32 v52, v55, 16, v52
	v_bfe_i32 v55, v47, 0, 8
	s_wait_alu 0xf1ff
	v_cndmask_b32_e64 v50, v50, v52, s7
	s_delay_alu instid0(VALU_DEP_2) | instskip(SKIP_2) | instid1(VALU_DEP_4)
	v_min_i16 v52, v57, v55
	v_cmp_lt_i16_e64 s7, v57, v55
	v_max_i16 v55, v57, v55
	v_lshrrev_b32_e32 v58, 16, v50
	s_delay_alu instid0(VALU_DEP_4)
	v_lshlrev_b16 v49, 8, v52
	s_wait_alu 0xf1ff
	v_cndmask_b32_e64 v47, v47, v60, s7
	v_cmp_lt_i16_e64 s7, v52, v51
	v_lshlrev_b16 v60, 8, v56
	v_and_b32_e32 v58, 0xff, v58
	s_delay_alu instid0(VALU_DEP_4) | instskip(NEXT) | instid1(VALU_DEP_2)
	v_lshrrev_b32_e32 v61, 16, v47
	v_or_b32_e32 v49, v58, v49
	v_min_i16 v58, v52, v51
	s_delay_alu instid0(VALU_DEP_3) | instskip(NEXT) | instid1(VALU_DEP_3)
	v_bfe_i32 v61, v61, 0, 8
	v_lshlrev_b32_e32 v49, 16, v49
	s_delay_alu instid0(VALU_DEP_3) | instskip(NEXT) | instid1(VALU_DEP_2)
	v_and_b32_e32 v57, 0xff, v58
	v_and_or_b32 v49, 0xffff, v50, v49
	s_delay_alu instid0(VALU_DEP_2) | instskip(SKIP_2) | instid1(VALU_DEP_3)
	v_or_b32_e32 v57, v57, v60
	v_perm_b32 v60, v47, v47, 0x6070504
	s_wait_alu 0xf1ff
	v_cndmask_b32_e64 v49, v50, v49, s7
	v_lshrrev_b32_e32 v50, 24, v47
	v_lshlrev_b32_e32 v57, 16, v57
	s_delay_alu instid0(VALU_DEP_3) | instskip(NEXT) | instid1(VALU_DEP_3)
	v_and_or_b32 v53, 0xffff0000, v49, v53
	v_bfe_i32 v50, v50, 0, 8
	s_delay_alu instid0(VALU_DEP_2) | instskip(NEXT) | instid1(VALU_DEP_2)
	v_cndmask_b32_e64 v49, v49, v53, s8
	v_cmp_lt_i16_e64 s9, v50, v61
	v_and_b32_e32 v53, 0xff, v55
	s_delay_alu instid0(VALU_DEP_3) | instskip(SKIP_1) | instid1(VALU_DEP_3)
	v_and_or_b32 v54, 0xffff, v49, v57
	s_wait_alu 0xf1ff
	v_cndmask_b32_e64 v47, v47, v60, s9
	v_cmp_lt_i16_e64 s9, v58, v56
	v_min_i16 v60, v58, v56
	v_max_i16 v57, v50, v61
	v_min_i16 v50, v50, v61
	v_max_i16 v56, v58, v56
	s_wait_alu 0xf1ff
	v_cndmask_b32_e64 v49, v49, v54, s9
	v_lshlrev_b16 v61, 8, v60
	v_perm_b32 v54, v51, v47, 0x3020104
	v_max_i16 v64, v50, v55
	v_and_b32_e32 v65, 0xff, v57
	v_and_b32_e32 v62, 0xff, v49
	v_perm_b32 v58, v66, v49, 0xc0c0304
	v_cndmask_b32_e64 v47, v47, v54, s7
	v_lshlrev_b16 v68, 8, v64
	v_cmp_lt_i16_e64 s7, v60, v66
	v_or_b32_e32 v61, v62, v61
	v_max_i16 v51, v52, v51
	v_min_i16 v63, v50, v55
	v_lshlrev_b16 v52, 8, v50
	v_min_i16 v59, v60, v66
	v_and_b32_e32 v61, 0xffff, v61
	v_lshlrev_b16 v67, 8, v51
	v_min_i16 v70, v63, v51
	v_and_b32_e32 v62, 0xff, v63
	v_max_i16 v60, v60, v66
	v_lshl_or_b32 v58, v58, 16, v61
	v_or_b32_e32 v61, v65, v68
	v_lshrrev_b32_e32 v65, 16, v47
	v_and_b32_e32 v68, 0xff, v47
	v_lshlrev_b16 v54, 8, v70
	s_wait_alu 0xf1ff
	v_cndmask_b32_e64 v49, v49, v58, s7
	v_or_b32_e32 v62, v62, v67
	v_and_b32_e32 v65, 0xffffff00, v65
	v_or_b32_e32 v52, v68, v52
	v_cmp_lt_i16_e64 s7, v50, v55
	v_lshrrev_b32_e32 v71, 16, v49
	v_min_i16 v72, v70, v56
	v_or_b32_e32 v53, v53, v65
	v_and_b32_e32 v52, 0xffff, v52
	v_lshlrev_b16 v65, 8, v48
	v_and_b32_e32 v68, 0xff, v71
	v_and_b32_e32 v62, 0xffff, v62
	v_lshlrev_b32_e32 v53, 16, v53
	v_and_b32_e32 v66, 0xff, v72
	v_cmp_lt_i16_e64 s8, v63, v51
	v_or_b32_e32 v54, v68, v54
	v_and_b32_e32 v68, 0xff, v59
	v_or_b32_e32 v52, v52, v53
	v_max_i16 v69, v63, v51
	v_cmp_lt_i16_e64 s9, v72, v60
	v_lshlrev_b32_e32 v54, 16, v54
	v_or_b32_e32 v53, v68, v65
	s_wait_alu 0xf1ff
	v_cndmask_b32_e64 v47, v47, v52, s7
	v_cmp_lt_i16_e64 s7, v70, v56
	v_lshlrev_b16 v65, 8, v60
	v_and_or_b32 v54, 0xffff, v49, v54
	v_and_b32_e32 v50, 0xffff, v53
	v_lshlrev_b32_e32 v53, 16, v61
	v_and_b32_e32 v58, 0xff, v69
	v_or_b32_e32 v52, v66, v65
	s_wait_alu 0xf1ff
	v_cndmask_b32_e64 v49, v49, v54, s7
	v_and_or_b32 v54, 0xffff0000, v47, v62
	v_max_i16 v67, v70, v56
	v_lshlrev_b32_e32 v52, 16, v52
	s_delay_alu instid0(VALU_DEP_4) | instskip(NEXT) | instid1(VALU_DEP_4)
	v_and_or_b32 v50, 0xffff0000, v49, v50
	v_cndmask_b32_e64 v47, v47, v54, s8
	v_cmp_lt_i16_e64 s8, v59, v48
	v_min_i16 v54, v72, v60
	v_lshlrev_b16 v61, 8, v67
	s_delay_alu instid0(VALU_DEP_4)
	v_and_or_b32 v51, 0xffff, v47, v53
	s_wait_alu 0xf1ff
	v_cndmask_b32_e64 v49, v49, v50, s8
	v_cmp_gt_i16_e64 s8, v55, v57
	v_min_i16 v50, v59, v48
	v_max_i16 v48, v59, v48
	v_max_i16 v53, v72, v60
	v_and_or_b32 v52, 0xffff, v49, v52
	s_wait_alu 0xf1ff
	v_cndmask_b32_e64 v47, v47, v51, s8
	v_lshlrev_b16 v51, 8, v54
	v_cndmask_b32_e64 v62, v64, v57, s8
	v_cndmask_b32_e64 v57, v57, v64, s8
	;; [unrolled: 1-line block ×3, first 2 shown]
	v_perm_b32 v55, v56, v47, 0x3020104
	v_max_i16 v52, v54, v48
	v_min_i16 v68, v62, v69
	v_min_i16 v56, v54, v48
	v_and_b32_e32 v59, 0xff, v49
	v_cndmask_b32_e64 v47, v47, v55, s7
	v_perm_b32 v64, v48, v49, 0xc0c0304
	v_cmp_lt_i16_e64 s7, v54, v48
	v_max_i16 v65, v62, v69
	v_or_b32_e32 v51, v59, v51
	v_lshrrev_b32_e32 v63, 16, v47
	v_lshlrev_b16 v59, 8, v62
	v_and_b32_e32 v66, 0xff, v47
	v_lshlrev_b16 v60, 8, v50
	v_and_b32_e32 v51, 0xffff, v51
	v_and_b32_e32 v63, 0xffffff00, v63
	;; [unrolled: 1-line block ×3, first 2 shown]
	v_or_b32_e32 v59, v66, v59
	v_cmp_lt_i16_e64 s8, v57, v65
	v_lshl_or_b32 v51, v64, 16, v51
	v_or_b32_e32 v58, v58, v63
	v_and_b32_e32 v64, 0xff, v57
	v_or_b32_e32 v55, v55, v60
	s_wait_alu 0xf1ff
	v_cndmask_b32_e64 v48, v49, v51, s7
	v_and_b32_e32 v49, 0xff, v68
	v_and_b32_e32 v51, 0xffff, v59
	v_lshlrev_b32_e32 v58, 16, v58
	v_min_i16 v59, v68, v67
	v_lshrrev_b32_e32 v63, 16, v48
	v_or_b32_e32 v49, v49, v61
	v_cmp_lt_i16_e64 s7, v62, v69
	v_or_b32_e32 v51, v51, v58
	v_lshlrev_b16 v61, 8, v65
	v_lshlrev_b16 v58, 8, v59
	v_and_b32_e32 v63, 0xff, v63
	v_and_b32_e32 v49, 0xffff, v49
	s_wait_alu 0xf1ff
	v_cndmask_b32_e64 v47, v47, v51, s7
	v_or_b32_e32 v61, v64, v61
	v_cmp_lt_i16_e64 s7, v68, v67
	v_or_b32_e32 v58, v63, v58
	v_min_i16 v60, v59, v53
	v_and_or_b32 v49, 0xffff0000, v47, v49
	v_lshlrev_b32_e32 v61, 16, v61
	v_lshlrev_b16 v51, 8, v52
	v_lshlrev_b32_e32 v58, 16, v58
	v_max_i16 v62, v68, v67
	s_wait_alu 0xf1ff
	v_cndmask_b32_e64 v47, v47, v49, s7
	v_and_b32_e32 v49, 0xffff, v55
	v_cmp_lt_i16_e64 s7, v59, v53
	v_and_or_b32 v55, 0xffff, v48, v58
	v_and_b32_e32 v58, 0xff, v60
	v_and_or_b32 v61, 0xffff, v47, v61
	s_wait_alu 0xf1ff
	s_delay_alu instid0(VALU_DEP_3) | instskip(NEXT) | instid1(VALU_DEP_3)
	v_cndmask_b32_e64 v48, v48, v55, s7
	v_or_b32_e32 v51, v58, v51
	s_delay_alu instid0(VALU_DEP_3)
	v_cndmask_b32_e64 v47, v47, v61, s8
	v_cmp_lt_i16_e64 s8, v54, v50
	v_max_i16 v55, v57, v65
	v_and_or_b32 v49, 0xffff0000, v48, v49
	v_lshlrev_b32_e32 v51, 16, v51
	v_perm_b32 v58, v53, v47, 0x3020104
	v_min_i16 v57, v57, v65
	v_max_i16 v53, v59, v53
	s_wait_alu 0xf1ff
	v_cndmask_b32_e64 v48, v48, v49, s8
	v_and_b32_e32 v49, 0xff, v62
	v_cndmask_b32_e64 v47, v47, v58, s7
	v_cmp_lt_i16_e64 s7, v60, v52
	v_lshlrev_b16 v54, 8, v57
	v_and_or_b32 v51, 0xffff, v48, v51
	v_min_i16 v59, v60, v52
	v_lshrrev_b32_e32 v61, 16, v47
	v_and_b32_e32 v63, 0xff, v47
	v_cndmask_b32_e64 v50, v56, v50, s8
	s_wait_alu 0xf1ff
	v_cndmask_b32_e64 v48, v48, v51, s7
	v_min_i16 v51, v57, v62
	v_and_b32_e32 v61, 0xffffff00, v61
	v_lshlrev_b16 v64, 8, v59
	v_or_b32_e32 v54, v63, v54
	v_and_b32_e32 v65, 0xff, v48
	v_and_b32_e32 v66, 0xff, v51
	v_or_b32_e32 v49, v49, v61
	v_lshlrev_b16 v61, 8, v53
	v_and_b32_e32 v54, 0xffff, v54
	v_or_b32_e32 v56, v65, v64
	v_max_i16 v58, v57, v62
	v_lshlrev_b32_e32 v49, 16, v49
	v_perm_b32 v63, v50, v48, 0xc0c0304
	v_or_b32_e32 v61, v66, v61
	v_and_b32_e32 v56, 0xffff, v56
	v_cmp_lt_i16_e64 s7, v57, v62
	v_or_b32_e32 v49, v54, v49
	v_and_b32_e32 v64, 0xff, v55
	v_lshlrev_b16 v54, 8, v58
	v_lshl_or_b32 v56, v63, 16, v56
	v_and_b32_e32 v61, 0xffff, v61
	s_wait_alu 0xf1ff
	v_cndmask_b32_e64 v47, v47, v49, s7
	v_cmp_lt_i16_e64 s7, v59, v50
	v_or_b32_e32 v50, v64, v54
	v_min_i16 v49, v51, v53
	v_max_i16 v52, v60, v52
	v_and_or_b32 v54, 0xffff0000, v47, v61
	s_wait_alu 0xf1ff
	v_cndmask_b32_e64 v48, v48, v56, s7
	v_cmp_lt_i16_e64 s7, v51, v53
	v_lshlrev_b32_e32 v50, 16, v50
	v_lshlrev_b16 v57, 8, v49
	v_cmp_lt_i16_e64 s8, v49, v52
	v_lshrrev_b32_e32 v56, 16, v48
	s_wait_alu 0xf1ff
	v_cndmask_b32_e64 v47, v47, v54, s7
	v_cmp_gt_i16_e64 s7, v62, v55
	v_max_i16 v49, v51, v53
	v_and_b32_e32 v54, 0xff, v56
	s_delay_alu instid0(VALU_DEP_4) | instskip(NEXT) | instid1(VALU_DEP_2)
	v_and_or_b32 v50, 0xffff, v47, v50
	v_or_b32_e32 v54, v54, v57
	s_wait_alu 0xf1ff
	s_delay_alu instid0(VALU_DEP_2) | instskip(NEXT) | instid1(VALU_DEP_2)
	v_cndmask_b32_e64 v47, v47, v50, s7
	v_lshlrev_b32_e32 v50, 16, v54
	s_delay_alu instid0(VALU_DEP_2) | instskip(SKIP_1) | instid1(VALU_DEP_3)
	v_perm_b32 v54, v52, v47, 0x3020104
	v_and_b32_e32 v52, 0xff, v49
	v_and_or_b32 v50, 0xffff, v48, v50
	s_delay_alu instid0(VALU_DEP_3) | instskip(NEXT) | instid1(VALU_DEP_2)
	v_cndmask_b32_e64 v47, v47, v54, s8
	v_cndmask_b32_e64 v48, v48, v50, s8
	;; [unrolled: 1-line block ×3, first 2 shown]
	s_delay_alu instid0(VALU_DEP_3) | instskip(SKIP_1) | instid1(VALU_DEP_3)
	v_lshrrev_b32_e32 v51, 16, v47
	v_and_b32_e32 v54, 0xff, v47
	v_lshlrev_b16 v53, 8, v50
	s_delay_alu instid0(VALU_DEP_3) | instskip(SKIP_1) | instid1(VALU_DEP_3)
	v_and_b32_e32 v51, 0xffffff00, v51
	v_cmp_lt_i16_e64 s7, v50, v49
	v_or_b32_e32 v53, v54, v53
	s_delay_alu instid0(VALU_DEP_3) | instskip(NEXT) | instid1(VALU_DEP_2)
	v_or_b32_e32 v51, v52, v51
	v_and_b32_e32 v52, 0xffff, v53
	s_delay_alu instid0(VALU_DEP_2) | instskip(NEXT) | instid1(VALU_DEP_1)
	v_lshlrev_b32_e32 v51, 16, v51
	v_or_b32_e32 v51, v52, v51
	s_wait_alu 0xf1ff
	s_delay_alu instid0(VALU_DEP_1)
	v_cndmask_b32_e64 v49, v47, v51, s7
	v_mov_b32_e32 v47, v40
	ds_store_b64 v1, v[48:49]
	s_wait_loadcnt_dscnt 0x0
	s_barrier_signal -1
	s_barrier_wait -1
	global_inv scope:SCOPE_SE
	s_and_saveexec_b32 s8, s0
	s_cbranch_execz .LBB68_6
; %bb.3:                                ;   in Loop: Header=BB68_2 Depth=1
	v_dual_mov_b32 v47, v40 :: v_dual_mov_b32 v48, v33
	s_mov_b32 s9, 0
.LBB68_4:                               ;   Parent Loop BB68_2 Depth=1
                                        ; =>  This Inner Loop Header: Depth=2
	s_delay_alu instid0(VALU_DEP_1) | instskip(NEXT) | instid1(VALU_DEP_1)
	v_sub_nc_u32_e32 v49, v48, v47
	v_lshrrev_b32_e32 v49, 1, v49
	s_delay_alu instid0(VALU_DEP_1) | instskip(NEXT) | instid1(VALU_DEP_1)
	v_add_nc_u32_e32 v49, v49, v47
	v_add_nc_u32_e32 v50, v2, v49
	v_xad_u32 v51, v49, -1, v26
	v_add_nc_u32_e32 v52, 1, v49
	ds_load_i8 v50, v50
	ds_load_i8 v51, v51
	s_wait_dscnt 0x0
	v_cmp_lt_i16_e64 s7, v51, v50
	s_wait_alu 0xf1ff
	s_delay_alu instid0(VALU_DEP_1) | instskip(SKIP_1) | instid1(VALU_DEP_1)
	v_cndmask_b32_e64 v48, v48, v49, s7
	v_cndmask_b32_e64 v47, v52, v47, s7
	v_cmp_ge_i32_e64 s7, v47, v48
	s_wait_alu 0xfffe
	s_or_b32 s9, s7, s9
	s_wait_alu 0xfffe
	s_and_not1_b32 exec_lo, exec_lo, s9
	s_cbranch_execnz .LBB68_4
; %bb.5:                                ;   in Loop: Header=BB68_2 Depth=1
	s_or_b32 exec_lo, exec_lo, s9
.LBB68_6:                               ;   in Loop: Header=BB68_2 Depth=1
	s_wait_alu 0xfffe
	s_or_b32 exec_lo, exec_lo, s8
	v_add_nc_u32_e32 v52, v47, v2
	v_sub_nc_u32_e32 v51, v26, v47
                                        ; implicit-def: $vgpr49
	ds_load_u8 v47, v52
	ds_load_u8 v48, v51
	v_cmp_le_i32_e64 s7, v12, v52
	v_cmp_gt_i32_e64 s9, v13, v51
	s_wait_dscnt 0x1
	v_bfe_i32 v47, v47, 0, 8
	s_wait_dscnt 0x0
	v_bfe_i32 v48, v48, 0, 8
	s_delay_alu instid0(VALU_DEP_1)
	v_cmp_lt_i16_e64 s8, v48, v47
	s_or_b32 s7, s7, s8
	s_wait_alu 0xfffe
	s_and_b32 s7, s9, s7
	s_wait_alu 0xfffe
	s_xor_b32 s8, s7, -1
	s_wait_alu 0xfffe
	s_and_saveexec_b32 s9, s8
	s_wait_alu 0xfffe
	s_xor_b32 s8, exec_lo, s9
; %bb.7:                                ;   in Loop: Header=BB68_2 Depth=1
	ds_load_u8 v49, v52 offset:1
; %bb.8:                                ;   in Loop: Header=BB68_2 Depth=1
	s_wait_alu 0xfffe
	s_or_saveexec_b32 s8, s8
	v_mov_b32_e32 v50, v48
	s_wait_alu 0xfffe
	s_xor_b32 exec_lo, exec_lo, s8
	s_cbranch_execz .LBB68_10
; %bb.9:                                ;   in Loop: Header=BB68_2 Depth=1
	ds_load_u8 v50, v51 offset:1
	s_wait_dscnt 0x1
	v_mov_b32_e32 v49, v47
.LBB68_10:                              ;   in Loop: Header=BB68_2 Depth=1
	s_or_b32 exec_lo, exec_lo, s8
	v_add_nc_u32_e32 v53, 1, v52
	v_add_nc_u32_e32 v55, 1, v51
	s_wait_dscnt 0x0
	v_bfe_i32 v56, v49, 0, 8
	s_delay_alu instid0(VALU_DEP_3) | instskip(SKIP_2) | instid1(VALU_DEP_3)
	v_cndmask_b32_e64 v54, v53, v52, s7
	v_bfe_i32 v52, v50, 0, 8
	v_cndmask_b32_e64 v53, v51, v55, s7
                                        ; implicit-def: $vgpr51
	v_cmp_ge_i32_e64 s8, v54, v12
	s_delay_alu instid0(VALU_DEP_3) | instskip(NEXT) | instid1(VALU_DEP_3)
	v_cmp_lt_i16_e64 s9, v52, v56
	v_cmp_lt_i32_e64 s10, v53, v13
	s_or_b32 s8, s8, s9
	s_wait_alu 0xfffe
	s_and_b32 s8, s10, s8
	s_wait_alu 0xfffe
	s_xor_b32 s9, s8, -1
	s_wait_alu 0xfffe
	s_and_saveexec_b32 s10, s9
	s_wait_alu 0xfffe
	s_xor_b32 s9, exec_lo, s10
; %bb.11:                               ;   in Loop: Header=BB68_2 Depth=1
	ds_load_u8 v51, v54 offset:1
; %bb.12:                               ;   in Loop: Header=BB68_2 Depth=1
	s_wait_alu 0xfffe
	s_or_saveexec_b32 s9, s9
	v_mov_b32_e32 v52, v50
	s_wait_alu 0xfffe
	s_xor_b32 exec_lo, exec_lo, s9
	s_cbranch_execz .LBB68_14
; %bb.13:                               ;   in Loop: Header=BB68_2 Depth=1
	ds_load_u8 v52, v53 offset:1
	s_wait_dscnt 0x1
	v_mov_b32_e32 v51, v49
.LBB68_14:                              ;   in Loop: Header=BB68_2 Depth=1
	s_or_b32 exec_lo, exec_lo, s9
	v_add_nc_u32_e32 v55, 1, v54
	v_add_nc_u32_e32 v57, 1, v53
	s_wait_dscnt 0x0
	v_bfe_i32 v58, v51, 0, 8
	s_delay_alu instid0(VALU_DEP_3) | instskip(SKIP_2) | instid1(VALU_DEP_3)
	v_cndmask_b32_e64 v56, v55, v54, s8
	v_bfe_i32 v54, v52, 0, 8
	v_cndmask_b32_e64 v55, v53, v57, s8
                                        ; implicit-def: $vgpr53
	v_cmp_ge_i32_e64 s9, v56, v12
	s_delay_alu instid0(VALU_DEP_3) | instskip(NEXT) | instid1(VALU_DEP_3)
	v_cmp_lt_i16_e64 s10, v54, v58
	v_cmp_lt_i32_e64 s11, v55, v13
	s_or_b32 s9, s9, s10
	s_wait_alu 0xfffe
	s_and_b32 s9, s11, s9
	s_wait_alu 0xfffe
	s_xor_b32 s10, s9, -1
	s_wait_alu 0xfffe
	s_and_saveexec_b32 s11, s10
	s_wait_alu 0xfffe
	s_xor_b32 s10, exec_lo, s11
; %bb.15:                               ;   in Loop: Header=BB68_2 Depth=1
	ds_load_u8 v53, v56 offset:1
; %bb.16:                               ;   in Loop: Header=BB68_2 Depth=1
	s_wait_alu 0xfffe
	s_or_saveexec_b32 s10, s10
	v_mov_b32_e32 v54, v52
	s_wait_alu 0xfffe
	s_xor_b32 exec_lo, exec_lo, s10
	s_cbranch_execz .LBB68_18
; %bb.17:                               ;   in Loop: Header=BB68_2 Depth=1
	ds_load_u8 v54, v55 offset:1
	s_wait_dscnt 0x1
	v_mov_b32_e32 v53, v51
.LBB68_18:                              ;   in Loop: Header=BB68_2 Depth=1
	s_or_b32 exec_lo, exec_lo, s10
	v_add_nc_u32_e32 v57, 1, v56
	v_add_nc_u32_e32 v59, 1, v55
	s_wait_dscnt 0x0
	v_bfe_i32 v60, v53, 0, 8
	s_delay_alu instid0(VALU_DEP_3) | instskip(SKIP_2) | instid1(VALU_DEP_3)
	v_cndmask_b32_e64 v58, v57, v56, s9
	v_bfe_i32 v56, v54, 0, 8
	v_cndmask_b32_e64 v57, v55, v59, s9
                                        ; implicit-def: $vgpr55
	v_cmp_ge_i32_e64 s10, v58, v12
	s_delay_alu instid0(VALU_DEP_3) | instskip(NEXT) | instid1(VALU_DEP_3)
	v_cmp_lt_i16_e64 s11, v56, v60
	v_cmp_lt_i32_e64 s12, v57, v13
	s_or_b32 s10, s10, s11
	s_wait_alu 0xfffe
	s_and_b32 s10, s12, s10
	s_wait_alu 0xfffe
	s_xor_b32 s11, s10, -1
	s_wait_alu 0xfffe
	s_and_saveexec_b32 s12, s11
	s_wait_alu 0xfffe
	s_xor_b32 s11, exec_lo, s12
; %bb.19:                               ;   in Loop: Header=BB68_2 Depth=1
	ds_load_u8 v55, v58 offset:1
; %bb.20:                               ;   in Loop: Header=BB68_2 Depth=1
	s_wait_alu 0xfffe
	s_or_saveexec_b32 s11, s11
	v_mov_b32_e32 v56, v54
	s_wait_alu 0xfffe
	s_xor_b32 exec_lo, exec_lo, s11
	s_cbranch_execz .LBB68_22
; %bb.21:                               ;   in Loop: Header=BB68_2 Depth=1
	ds_load_u8 v56, v57 offset:1
	s_wait_dscnt 0x1
	v_mov_b32_e32 v55, v53
.LBB68_22:                              ;   in Loop: Header=BB68_2 Depth=1
	s_or_b32 exec_lo, exec_lo, s11
	v_add_nc_u32_e32 v59, 1, v58
	v_add_nc_u32_e32 v61, 1, v57
	s_wait_dscnt 0x0
	v_bfe_i32 v62, v55, 0, 8
	s_delay_alu instid0(VALU_DEP_3) | instskip(SKIP_2) | instid1(VALU_DEP_3)
	v_cndmask_b32_e64 v60, v59, v58, s10
	v_bfe_i32 v58, v56, 0, 8
	v_cndmask_b32_e64 v59, v57, v61, s10
                                        ; implicit-def: $vgpr57
	v_cmp_ge_i32_e64 s11, v60, v12
	s_delay_alu instid0(VALU_DEP_3) | instskip(NEXT) | instid1(VALU_DEP_3)
	v_cmp_lt_i16_e64 s12, v58, v62
	v_cmp_lt_i32_e64 s13, v59, v13
	s_or_b32 s11, s11, s12
	s_wait_alu 0xfffe
	s_and_b32 s11, s13, s11
	s_wait_alu 0xfffe
	s_xor_b32 s12, s11, -1
	s_wait_alu 0xfffe
	s_and_saveexec_b32 s13, s12
	s_wait_alu 0xfffe
	s_xor_b32 s12, exec_lo, s13
; %bb.23:                               ;   in Loop: Header=BB68_2 Depth=1
	ds_load_u8 v57, v60 offset:1
; %bb.24:                               ;   in Loop: Header=BB68_2 Depth=1
	s_wait_alu 0xfffe
	s_or_saveexec_b32 s12, s12
	v_mov_b32_e32 v58, v56
	s_wait_alu 0xfffe
	s_xor_b32 exec_lo, exec_lo, s12
	s_cbranch_execz .LBB68_26
; %bb.25:                               ;   in Loop: Header=BB68_2 Depth=1
	ds_load_u8 v58, v59 offset:1
	s_wait_dscnt 0x1
	v_mov_b32_e32 v57, v55
.LBB68_26:                              ;   in Loop: Header=BB68_2 Depth=1
	s_or_b32 exec_lo, exec_lo, s12
	v_add_nc_u32_e32 v61, 1, v60
	v_add_nc_u32_e32 v63, 1, v59
	s_wait_dscnt 0x0
	v_bfe_i32 v64, v57, 0, 8
	s_delay_alu instid0(VALU_DEP_3) | instskip(SKIP_2) | instid1(VALU_DEP_3)
	v_cndmask_b32_e64 v62, v61, v60, s11
	v_bfe_i32 v60, v58, 0, 8
	v_cndmask_b32_e64 v61, v59, v63, s11
                                        ; implicit-def: $vgpr59
	v_cmp_ge_i32_e64 s12, v62, v12
	s_delay_alu instid0(VALU_DEP_3) | instskip(NEXT) | instid1(VALU_DEP_3)
	v_cmp_lt_i16_e64 s13, v60, v64
	v_cmp_lt_i32_e64 s14, v61, v13
	s_or_b32 s12, s12, s13
	s_wait_alu 0xfffe
	s_and_b32 s12, s14, s12
	s_wait_alu 0xfffe
	s_xor_b32 s13, s12, -1
	s_wait_alu 0xfffe
	s_and_saveexec_b32 s14, s13
	s_delay_alu instid0(SALU_CYCLE_1)
	s_xor_b32 s13, exec_lo, s14
; %bb.27:                               ;   in Loop: Header=BB68_2 Depth=1
	ds_load_u8 v59, v62 offset:1
; %bb.28:                               ;   in Loop: Header=BB68_2 Depth=1
	s_wait_alu 0xfffe
	s_or_saveexec_b32 s13, s13
	v_mov_b32_e32 v60, v58
	s_wait_alu 0xfffe
	s_xor_b32 exec_lo, exec_lo, s13
	s_cbranch_execz .LBB68_30
; %bb.29:                               ;   in Loop: Header=BB68_2 Depth=1
	ds_load_u8 v60, v61 offset:1
	s_wait_dscnt 0x1
	v_mov_b32_e32 v59, v57
.LBB68_30:                              ;   in Loop: Header=BB68_2 Depth=1
	s_or_b32 exec_lo, exec_lo, s13
	v_add_nc_u32_e32 v63, 1, v62
	v_add_nc_u32_e32 v64, 1, v61
	s_wait_dscnt 0x0
	v_bfe_i32 v65, v59, 0, 8
	v_bfe_i32 v66, v60, 0, 8
	v_cndmask_b32_e64 v63, v63, v62, s12
	v_cndmask_b32_e64 v62, v61, v64, s12
                                        ; implicit-def: $vgpr61
	s_delay_alu instid0(VALU_DEP_3) | instskip(NEXT) | instid1(VALU_DEP_3)
	v_cmp_lt_i16_e64 s14, v66, v65
	v_cmp_ge_i32_e64 s13, v63, v12
	s_delay_alu instid0(VALU_DEP_3)
	v_cmp_lt_i32_e64 s15, v62, v13
	s_or_b32 s13, s13, s14
	s_wait_alu 0xfffe
	s_and_b32 s13, s15, s13
	s_wait_alu 0xfffe
	s_xor_b32 s14, s13, -1
	s_delay_alu instid0(SALU_CYCLE_1) | instskip(NEXT) | instid1(SALU_CYCLE_1)
	s_and_saveexec_b32 s15, s14
	s_xor_b32 s14, exec_lo, s15
; %bb.31:                               ;   in Loop: Header=BB68_2 Depth=1
	ds_load_u8 v61, v63 offset:1
; %bb.32:                               ;   in Loop: Header=BB68_2 Depth=1
	s_or_saveexec_b32 s14, s14
	v_mov_b32_e32 v64, v60
	s_xor_b32 exec_lo, exec_lo, s14
	s_cbranch_execz .LBB68_34
; %bb.33:                               ;   in Loop: Header=BB68_2 Depth=1
	ds_load_u8 v64, v62 offset:1
	s_wait_dscnt 0x1
	v_mov_b32_e32 v61, v59
.LBB68_34:                              ;   in Loop: Header=BB68_2 Depth=1
	s_or_b32 exec_lo, exec_lo, s14
	v_cndmask_b32_e64 v53, v53, v54, s10
	v_cndmask_b32_e64 v49, v49, v50, s8
	;; [unrolled: 1-line block ×4, first 2 shown]
	v_add_nc_u32_e32 v65, 1, v63
	v_lshlrev_b16 v51, 8, v53
	v_lshlrev_b16 v49, 8, v49
	v_and_b32_e32 v47, 0xff, v47
	v_and_b32_e32 v48, 0xff, v48
	v_cndmask_b32_e64 v59, v59, v60, s13
	v_add_nc_u32_e32 v60, 1, v62
	s_wait_dscnt 0x0
	v_bfe_i32 v66, v61, 0, 8
	v_or_b32_e32 v47, v47, v49
	v_or_b32_e32 v48, v48, v51
	v_bfe_i32 v67, v64, 0, 8
	v_cndmask_b32_e64 v63, v65, v63, s13
	v_cndmask_b32_e64 v57, v57, v58, s12
	v_and_b32_e32 v47, 0xffff, v47
	v_lshlrev_b32_e32 v48, 16, v48
	v_cndmask_b32_e64 v55, v55, v56, s11
	v_cmp_lt_i16_e64 s11, v67, v66
	v_cmp_ge_i32_e64 s12, v63, v12
	v_lshlrev_b16 v52, 8, v57
	v_or_b32_e32 v48, v47, v48
	v_mov_b32_e32 v47, v41
	v_cndmask_b32_e64 v58, v62, v60, s13
	s_or_b32 s7, s12, s11
	v_and_b32_e32 v53, 0xff, v55
	v_and_b32_e32 v54, 0xff, v59
	s_wait_loadcnt 0x0
	v_cmp_lt_i32_e64 s10, v58, v13
	s_barrier_signal -1
	v_or_b32_e32 v49, v53, v52
	s_barrier_wait -1
	global_inv scope:SCOPE_SE
	s_wait_alu 0xfffe
	s_and_b32 s7, s10, s7
	s_wait_alu 0xfffe
	v_cndmask_b32_e64 v50, v61, v64, s7
	v_and_b32_e32 v49, 0xffff, v49
	s_delay_alu instid0(VALU_DEP_2) | instskip(NEXT) | instid1(VALU_DEP_1)
	v_lshlrev_b16 v50, 8, v50
	v_or_b32_e32 v50, v54, v50
	s_delay_alu instid0(VALU_DEP_1) | instskip(NEXT) | instid1(VALU_DEP_1)
	v_lshlrev_b32_e32 v50, 16, v50
	v_or_b32_e32 v49, v49, v50
	ds_store_b64 v1, v[48:49]
	s_wait_loadcnt_dscnt 0x0
	s_barrier_signal -1
	s_barrier_wait -1
	global_inv scope:SCOPE_SE
	s_and_saveexec_b32 s8, s1
	s_cbranch_execz .LBB68_38
; %bb.35:                               ;   in Loop: Header=BB68_2 Depth=1
	v_dual_mov_b32 v47, v41 :: v_dual_mov_b32 v48, v34
	s_mov_b32 s9, 0
.LBB68_36:                              ;   Parent Loop BB68_2 Depth=1
                                        ; =>  This Inner Loop Header: Depth=2
	s_delay_alu instid0(VALU_DEP_1) | instskip(NEXT) | instid1(VALU_DEP_1)
	v_sub_nc_u32_e32 v49, v48, v47
	v_lshrrev_b32_e32 v49, 1, v49
	s_delay_alu instid0(VALU_DEP_1) | instskip(NEXT) | instid1(VALU_DEP_1)
	v_add_nc_u32_e32 v49, v49, v47
	v_add_nc_u32_e32 v50, v3, v49
	v_xad_u32 v51, v49, -1, v27
	v_add_nc_u32_e32 v52, 1, v49
	ds_load_i8 v50, v50
	ds_load_i8 v51, v51
	s_wait_dscnt 0x0
	v_cmp_lt_i16_e64 s7, v51, v50
	s_wait_alu 0xf1ff
	s_delay_alu instid0(VALU_DEP_1) | instskip(SKIP_1) | instid1(VALU_DEP_1)
	v_cndmask_b32_e64 v48, v48, v49, s7
	v_cndmask_b32_e64 v47, v52, v47, s7
	v_cmp_ge_i32_e64 s7, v47, v48
	s_wait_alu 0xfffe
	s_or_b32 s9, s7, s9
	s_wait_alu 0xfffe
	s_and_not1_b32 exec_lo, exec_lo, s9
	s_cbranch_execnz .LBB68_36
; %bb.37:                               ;   in Loop: Header=BB68_2 Depth=1
	s_or_b32 exec_lo, exec_lo, s9
.LBB68_38:                              ;   in Loop: Header=BB68_2 Depth=1
	s_wait_alu 0xfffe
	s_or_b32 exec_lo, exec_lo, s8
	v_add_nc_u32_e32 v52, v47, v3
	v_sub_nc_u32_e32 v51, v27, v47
                                        ; implicit-def: $vgpr49
	ds_load_u8 v47, v52
	ds_load_u8 v48, v51
	v_cmp_le_i32_e64 s7, v14, v52
	v_cmp_gt_i32_e64 s9, v15, v51
	s_wait_dscnt 0x1
	v_bfe_i32 v47, v47, 0, 8
	s_wait_dscnt 0x0
	v_bfe_i32 v48, v48, 0, 8
	s_delay_alu instid0(VALU_DEP_1)
	v_cmp_lt_i16_e64 s8, v48, v47
	s_or_b32 s7, s7, s8
	s_wait_alu 0xfffe
	s_and_b32 s7, s9, s7
	s_wait_alu 0xfffe
	s_xor_b32 s8, s7, -1
	s_wait_alu 0xfffe
	s_and_saveexec_b32 s9, s8
	s_wait_alu 0xfffe
	s_xor_b32 s8, exec_lo, s9
; %bb.39:                               ;   in Loop: Header=BB68_2 Depth=1
	ds_load_u8 v49, v52 offset:1
; %bb.40:                               ;   in Loop: Header=BB68_2 Depth=1
	s_wait_alu 0xfffe
	s_or_saveexec_b32 s8, s8
	v_mov_b32_e32 v50, v48
	s_wait_alu 0xfffe
	s_xor_b32 exec_lo, exec_lo, s8
	s_cbranch_execz .LBB68_42
; %bb.41:                               ;   in Loop: Header=BB68_2 Depth=1
	ds_load_u8 v50, v51 offset:1
	s_wait_dscnt 0x1
	v_mov_b32_e32 v49, v47
.LBB68_42:                              ;   in Loop: Header=BB68_2 Depth=1
	s_or_b32 exec_lo, exec_lo, s8
	v_add_nc_u32_e32 v53, 1, v52
	v_add_nc_u32_e32 v55, 1, v51
	s_wait_dscnt 0x0
	v_bfe_i32 v56, v49, 0, 8
	s_delay_alu instid0(VALU_DEP_3) | instskip(SKIP_2) | instid1(VALU_DEP_3)
	v_cndmask_b32_e64 v54, v53, v52, s7
	v_bfe_i32 v52, v50, 0, 8
	v_cndmask_b32_e64 v53, v51, v55, s7
                                        ; implicit-def: $vgpr51
	v_cmp_ge_i32_e64 s8, v54, v14
	s_delay_alu instid0(VALU_DEP_3) | instskip(NEXT) | instid1(VALU_DEP_3)
	v_cmp_lt_i16_e64 s9, v52, v56
	v_cmp_lt_i32_e64 s10, v53, v15
	s_or_b32 s8, s8, s9
	s_wait_alu 0xfffe
	s_and_b32 s8, s10, s8
	s_wait_alu 0xfffe
	s_xor_b32 s9, s8, -1
	s_wait_alu 0xfffe
	s_and_saveexec_b32 s10, s9
	s_wait_alu 0xfffe
	s_xor_b32 s9, exec_lo, s10
; %bb.43:                               ;   in Loop: Header=BB68_2 Depth=1
	ds_load_u8 v51, v54 offset:1
; %bb.44:                               ;   in Loop: Header=BB68_2 Depth=1
	s_wait_alu 0xfffe
	s_or_saveexec_b32 s9, s9
	v_mov_b32_e32 v52, v50
	s_wait_alu 0xfffe
	s_xor_b32 exec_lo, exec_lo, s9
	s_cbranch_execz .LBB68_46
; %bb.45:                               ;   in Loop: Header=BB68_2 Depth=1
	ds_load_u8 v52, v53 offset:1
	s_wait_dscnt 0x1
	v_mov_b32_e32 v51, v49
.LBB68_46:                              ;   in Loop: Header=BB68_2 Depth=1
	s_or_b32 exec_lo, exec_lo, s9
	v_add_nc_u32_e32 v55, 1, v54
	v_add_nc_u32_e32 v57, 1, v53
	s_wait_dscnt 0x0
	v_bfe_i32 v58, v51, 0, 8
	s_delay_alu instid0(VALU_DEP_3) | instskip(SKIP_2) | instid1(VALU_DEP_3)
	v_cndmask_b32_e64 v56, v55, v54, s8
	v_bfe_i32 v54, v52, 0, 8
	v_cndmask_b32_e64 v55, v53, v57, s8
                                        ; implicit-def: $vgpr53
	v_cmp_ge_i32_e64 s9, v56, v14
	s_delay_alu instid0(VALU_DEP_3) | instskip(NEXT) | instid1(VALU_DEP_3)
	v_cmp_lt_i16_e64 s10, v54, v58
	v_cmp_lt_i32_e64 s11, v55, v15
	s_or_b32 s9, s9, s10
	s_wait_alu 0xfffe
	s_and_b32 s9, s11, s9
	s_wait_alu 0xfffe
	s_xor_b32 s10, s9, -1
	s_wait_alu 0xfffe
	s_and_saveexec_b32 s11, s10
	s_wait_alu 0xfffe
	s_xor_b32 s10, exec_lo, s11
; %bb.47:                               ;   in Loop: Header=BB68_2 Depth=1
	ds_load_u8 v53, v56 offset:1
; %bb.48:                               ;   in Loop: Header=BB68_2 Depth=1
	s_wait_alu 0xfffe
	s_or_saveexec_b32 s10, s10
	v_mov_b32_e32 v54, v52
	s_wait_alu 0xfffe
	s_xor_b32 exec_lo, exec_lo, s10
	s_cbranch_execz .LBB68_50
; %bb.49:                               ;   in Loop: Header=BB68_2 Depth=1
	ds_load_u8 v54, v55 offset:1
	s_wait_dscnt 0x1
	v_mov_b32_e32 v53, v51
.LBB68_50:                              ;   in Loop: Header=BB68_2 Depth=1
	s_or_b32 exec_lo, exec_lo, s10
	v_add_nc_u32_e32 v57, 1, v56
	v_add_nc_u32_e32 v59, 1, v55
	s_wait_dscnt 0x0
	v_bfe_i32 v60, v53, 0, 8
	s_delay_alu instid0(VALU_DEP_3) | instskip(SKIP_2) | instid1(VALU_DEP_3)
	v_cndmask_b32_e64 v58, v57, v56, s9
	v_bfe_i32 v56, v54, 0, 8
	v_cndmask_b32_e64 v57, v55, v59, s9
                                        ; implicit-def: $vgpr55
	v_cmp_ge_i32_e64 s10, v58, v14
	s_delay_alu instid0(VALU_DEP_3) | instskip(NEXT) | instid1(VALU_DEP_3)
	v_cmp_lt_i16_e64 s11, v56, v60
	v_cmp_lt_i32_e64 s12, v57, v15
	s_or_b32 s10, s10, s11
	s_wait_alu 0xfffe
	s_and_b32 s10, s12, s10
	s_wait_alu 0xfffe
	s_xor_b32 s11, s10, -1
	s_wait_alu 0xfffe
	s_and_saveexec_b32 s12, s11
	s_wait_alu 0xfffe
	s_xor_b32 s11, exec_lo, s12
; %bb.51:                               ;   in Loop: Header=BB68_2 Depth=1
	ds_load_u8 v55, v58 offset:1
; %bb.52:                               ;   in Loop: Header=BB68_2 Depth=1
	s_wait_alu 0xfffe
	s_or_saveexec_b32 s11, s11
	v_mov_b32_e32 v56, v54
	s_wait_alu 0xfffe
	s_xor_b32 exec_lo, exec_lo, s11
	s_cbranch_execz .LBB68_54
; %bb.53:                               ;   in Loop: Header=BB68_2 Depth=1
	ds_load_u8 v56, v57 offset:1
	s_wait_dscnt 0x1
	v_mov_b32_e32 v55, v53
.LBB68_54:                              ;   in Loop: Header=BB68_2 Depth=1
	s_or_b32 exec_lo, exec_lo, s11
	v_add_nc_u32_e32 v59, 1, v58
	v_add_nc_u32_e32 v61, 1, v57
	s_wait_dscnt 0x0
	v_bfe_i32 v62, v55, 0, 8
	s_delay_alu instid0(VALU_DEP_3) | instskip(SKIP_2) | instid1(VALU_DEP_3)
	v_cndmask_b32_e64 v60, v59, v58, s10
	v_bfe_i32 v58, v56, 0, 8
	v_cndmask_b32_e64 v59, v57, v61, s10
                                        ; implicit-def: $vgpr57
	v_cmp_ge_i32_e64 s11, v60, v14
	s_delay_alu instid0(VALU_DEP_3) | instskip(NEXT) | instid1(VALU_DEP_3)
	v_cmp_lt_i16_e64 s12, v58, v62
	v_cmp_lt_i32_e64 s13, v59, v15
	s_or_b32 s11, s11, s12
	s_wait_alu 0xfffe
	s_and_b32 s11, s13, s11
	s_wait_alu 0xfffe
	s_xor_b32 s12, s11, -1
	s_wait_alu 0xfffe
	s_and_saveexec_b32 s13, s12
	s_wait_alu 0xfffe
	s_xor_b32 s12, exec_lo, s13
; %bb.55:                               ;   in Loop: Header=BB68_2 Depth=1
	ds_load_u8 v57, v60 offset:1
; %bb.56:                               ;   in Loop: Header=BB68_2 Depth=1
	s_wait_alu 0xfffe
	s_or_saveexec_b32 s12, s12
	v_mov_b32_e32 v58, v56
	s_wait_alu 0xfffe
	s_xor_b32 exec_lo, exec_lo, s12
	s_cbranch_execz .LBB68_58
; %bb.57:                               ;   in Loop: Header=BB68_2 Depth=1
	ds_load_u8 v58, v59 offset:1
	s_wait_dscnt 0x1
	v_mov_b32_e32 v57, v55
.LBB68_58:                              ;   in Loop: Header=BB68_2 Depth=1
	s_or_b32 exec_lo, exec_lo, s12
	v_add_nc_u32_e32 v61, 1, v60
	v_add_nc_u32_e32 v63, 1, v59
	s_wait_dscnt 0x0
	v_bfe_i32 v64, v57, 0, 8
	s_delay_alu instid0(VALU_DEP_3) | instskip(SKIP_2) | instid1(VALU_DEP_3)
	v_cndmask_b32_e64 v62, v61, v60, s11
	v_bfe_i32 v60, v58, 0, 8
	v_cndmask_b32_e64 v61, v59, v63, s11
                                        ; implicit-def: $vgpr59
	v_cmp_ge_i32_e64 s12, v62, v14
	s_delay_alu instid0(VALU_DEP_3) | instskip(NEXT) | instid1(VALU_DEP_3)
	v_cmp_lt_i16_e64 s13, v60, v64
	v_cmp_lt_i32_e64 s14, v61, v15
	s_or_b32 s12, s12, s13
	s_wait_alu 0xfffe
	s_and_b32 s12, s14, s12
	s_wait_alu 0xfffe
	s_xor_b32 s13, s12, -1
	s_wait_alu 0xfffe
	s_and_saveexec_b32 s14, s13
	s_delay_alu instid0(SALU_CYCLE_1)
	s_xor_b32 s13, exec_lo, s14
; %bb.59:                               ;   in Loop: Header=BB68_2 Depth=1
	ds_load_u8 v59, v62 offset:1
; %bb.60:                               ;   in Loop: Header=BB68_2 Depth=1
	s_wait_alu 0xfffe
	s_or_saveexec_b32 s13, s13
	v_mov_b32_e32 v60, v58
	s_wait_alu 0xfffe
	s_xor_b32 exec_lo, exec_lo, s13
	s_cbranch_execz .LBB68_62
; %bb.61:                               ;   in Loop: Header=BB68_2 Depth=1
	ds_load_u8 v60, v61 offset:1
	s_wait_dscnt 0x1
	v_mov_b32_e32 v59, v57
.LBB68_62:                              ;   in Loop: Header=BB68_2 Depth=1
	s_or_b32 exec_lo, exec_lo, s13
	v_add_nc_u32_e32 v63, 1, v62
	v_add_nc_u32_e32 v64, 1, v61
	s_wait_dscnt 0x0
	v_bfe_i32 v65, v59, 0, 8
	v_bfe_i32 v66, v60, 0, 8
	v_cndmask_b32_e64 v63, v63, v62, s12
	v_cndmask_b32_e64 v62, v61, v64, s12
                                        ; implicit-def: $vgpr61
	s_delay_alu instid0(VALU_DEP_3) | instskip(NEXT) | instid1(VALU_DEP_3)
	v_cmp_lt_i16_e64 s14, v66, v65
	v_cmp_ge_i32_e64 s13, v63, v14
	s_delay_alu instid0(VALU_DEP_3)
	v_cmp_lt_i32_e64 s15, v62, v15
	s_or_b32 s13, s13, s14
	s_wait_alu 0xfffe
	s_and_b32 s13, s15, s13
	s_wait_alu 0xfffe
	s_xor_b32 s14, s13, -1
	s_delay_alu instid0(SALU_CYCLE_1) | instskip(NEXT) | instid1(SALU_CYCLE_1)
	s_and_saveexec_b32 s15, s14
	s_xor_b32 s14, exec_lo, s15
; %bb.63:                               ;   in Loop: Header=BB68_2 Depth=1
	ds_load_u8 v61, v63 offset:1
; %bb.64:                               ;   in Loop: Header=BB68_2 Depth=1
	s_or_saveexec_b32 s14, s14
	v_mov_b32_e32 v64, v60
	s_xor_b32 exec_lo, exec_lo, s14
	s_cbranch_execz .LBB68_66
; %bb.65:                               ;   in Loop: Header=BB68_2 Depth=1
	ds_load_u8 v64, v62 offset:1
	s_wait_dscnt 0x1
	v_mov_b32_e32 v61, v59
.LBB68_66:                              ;   in Loop: Header=BB68_2 Depth=1
	s_or_b32 exec_lo, exec_lo, s14
	v_cndmask_b32_e64 v53, v53, v54, s10
	v_cndmask_b32_e64 v49, v49, v50, s8
	;; [unrolled: 1-line block ×4, first 2 shown]
	v_add_nc_u32_e32 v65, 1, v63
	v_lshlrev_b16 v51, 8, v53
	v_lshlrev_b16 v49, 8, v49
	v_and_b32_e32 v47, 0xff, v47
	v_and_b32_e32 v48, 0xff, v48
	v_cndmask_b32_e64 v59, v59, v60, s13
	v_add_nc_u32_e32 v60, 1, v62
	s_wait_dscnt 0x0
	v_bfe_i32 v66, v61, 0, 8
	v_or_b32_e32 v47, v47, v49
	v_or_b32_e32 v48, v48, v51
	v_bfe_i32 v67, v64, 0, 8
	v_cndmask_b32_e64 v63, v65, v63, s13
	v_cndmask_b32_e64 v57, v57, v58, s12
	v_and_b32_e32 v47, 0xffff, v47
	v_lshlrev_b32_e32 v48, 16, v48
	v_cndmask_b32_e64 v55, v55, v56, s11
	v_cmp_lt_i16_e64 s11, v67, v66
	v_cmp_ge_i32_e64 s12, v63, v14
	v_lshlrev_b16 v52, 8, v57
	v_or_b32_e32 v48, v47, v48
	v_mov_b32_e32 v47, v42
	v_cndmask_b32_e64 v58, v62, v60, s13
	s_or_b32 s7, s12, s11
	v_and_b32_e32 v53, 0xff, v55
	v_and_b32_e32 v54, 0xff, v59
	s_wait_loadcnt 0x0
	v_cmp_lt_i32_e64 s10, v58, v15
	s_barrier_signal -1
	v_or_b32_e32 v49, v53, v52
	s_barrier_wait -1
	global_inv scope:SCOPE_SE
	s_wait_alu 0xfffe
	s_and_b32 s7, s10, s7
	s_wait_alu 0xfffe
	v_cndmask_b32_e64 v50, v61, v64, s7
	v_and_b32_e32 v49, 0xffff, v49
	s_delay_alu instid0(VALU_DEP_2) | instskip(NEXT) | instid1(VALU_DEP_1)
	v_lshlrev_b16 v50, 8, v50
	v_or_b32_e32 v50, v54, v50
	s_delay_alu instid0(VALU_DEP_1) | instskip(NEXT) | instid1(VALU_DEP_1)
	v_lshlrev_b32_e32 v50, 16, v50
	v_or_b32_e32 v49, v49, v50
	ds_store_b64 v1, v[48:49]
	s_wait_loadcnt_dscnt 0x0
	s_barrier_signal -1
	s_barrier_wait -1
	global_inv scope:SCOPE_SE
	s_and_saveexec_b32 s8, s2
	s_cbranch_execz .LBB68_70
; %bb.67:                               ;   in Loop: Header=BB68_2 Depth=1
	v_dual_mov_b32 v47, v42 :: v_dual_mov_b32 v48, v35
	s_mov_b32 s9, 0
.LBB68_68:                              ;   Parent Loop BB68_2 Depth=1
                                        ; =>  This Inner Loop Header: Depth=2
	s_delay_alu instid0(VALU_DEP_1) | instskip(NEXT) | instid1(VALU_DEP_1)
	v_sub_nc_u32_e32 v49, v48, v47
	v_lshrrev_b32_e32 v49, 1, v49
	s_delay_alu instid0(VALU_DEP_1) | instskip(NEXT) | instid1(VALU_DEP_1)
	v_add_nc_u32_e32 v49, v49, v47
	v_add_nc_u32_e32 v50, v4, v49
	v_xad_u32 v51, v49, -1, v28
	v_add_nc_u32_e32 v52, 1, v49
	ds_load_i8 v50, v50
	ds_load_i8 v51, v51
	s_wait_dscnt 0x0
	v_cmp_lt_i16_e64 s7, v51, v50
	s_wait_alu 0xf1ff
	s_delay_alu instid0(VALU_DEP_1) | instskip(SKIP_1) | instid1(VALU_DEP_1)
	v_cndmask_b32_e64 v48, v48, v49, s7
	v_cndmask_b32_e64 v47, v52, v47, s7
	v_cmp_ge_i32_e64 s7, v47, v48
	s_wait_alu 0xfffe
	s_or_b32 s9, s7, s9
	s_wait_alu 0xfffe
	s_and_not1_b32 exec_lo, exec_lo, s9
	s_cbranch_execnz .LBB68_68
; %bb.69:                               ;   in Loop: Header=BB68_2 Depth=1
	s_or_b32 exec_lo, exec_lo, s9
.LBB68_70:                              ;   in Loop: Header=BB68_2 Depth=1
	s_wait_alu 0xfffe
	s_or_b32 exec_lo, exec_lo, s8
	v_add_nc_u32_e32 v52, v47, v4
	v_sub_nc_u32_e32 v51, v28, v47
                                        ; implicit-def: $vgpr49
	ds_load_u8 v47, v52
	ds_load_u8 v48, v51
	v_cmp_le_i32_e64 s7, v16, v52
	v_cmp_gt_i32_e64 s9, v17, v51
	s_wait_dscnt 0x1
	v_bfe_i32 v47, v47, 0, 8
	s_wait_dscnt 0x0
	v_bfe_i32 v48, v48, 0, 8
	s_delay_alu instid0(VALU_DEP_1)
	v_cmp_lt_i16_e64 s8, v48, v47
	s_or_b32 s7, s7, s8
	s_wait_alu 0xfffe
	s_and_b32 s7, s9, s7
	s_wait_alu 0xfffe
	s_xor_b32 s8, s7, -1
	s_wait_alu 0xfffe
	s_and_saveexec_b32 s9, s8
	s_wait_alu 0xfffe
	s_xor_b32 s8, exec_lo, s9
; %bb.71:                               ;   in Loop: Header=BB68_2 Depth=1
	ds_load_u8 v49, v52 offset:1
; %bb.72:                               ;   in Loop: Header=BB68_2 Depth=1
	s_wait_alu 0xfffe
	s_or_saveexec_b32 s8, s8
	v_mov_b32_e32 v50, v48
	s_wait_alu 0xfffe
	s_xor_b32 exec_lo, exec_lo, s8
	s_cbranch_execz .LBB68_74
; %bb.73:                               ;   in Loop: Header=BB68_2 Depth=1
	ds_load_u8 v50, v51 offset:1
	s_wait_dscnt 0x1
	v_mov_b32_e32 v49, v47
.LBB68_74:                              ;   in Loop: Header=BB68_2 Depth=1
	s_or_b32 exec_lo, exec_lo, s8
	v_add_nc_u32_e32 v53, 1, v52
	v_add_nc_u32_e32 v55, 1, v51
	s_wait_dscnt 0x0
	v_bfe_i32 v56, v49, 0, 8
	s_delay_alu instid0(VALU_DEP_3) | instskip(SKIP_2) | instid1(VALU_DEP_3)
	v_cndmask_b32_e64 v54, v53, v52, s7
	v_bfe_i32 v52, v50, 0, 8
	v_cndmask_b32_e64 v53, v51, v55, s7
                                        ; implicit-def: $vgpr51
	v_cmp_ge_i32_e64 s8, v54, v16
	s_delay_alu instid0(VALU_DEP_3) | instskip(NEXT) | instid1(VALU_DEP_3)
	v_cmp_lt_i16_e64 s9, v52, v56
	v_cmp_lt_i32_e64 s10, v53, v17
	s_or_b32 s8, s8, s9
	s_wait_alu 0xfffe
	s_and_b32 s8, s10, s8
	s_wait_alu 0xfffe
	s_xor_b32 s9, s8, -1
	s_wait_alu 0xfffe
	s_and_saveexec_b32 s10, s9
	s_wait_alu 0xfffe
	s_xor_b32 s9, exec_lo, s10
; %bb.75:                               ;   in Loop: Header=BB68_2 Depth=1
	ds_load_u8 v51, v54 offset:1
; %bb.76:                               ;   in Loop: Header=BB68_2 Depth=1
	s_wait_alu 0xfffe
	s_or_saveexec_b32 s9, s9
	v_mov_b32_e32 v52, v50
	s_wait_alu 0xfffe
	s_xor_b32 exec_lo, exec_lo, s9
	s_cbranch_execz .LBB68_78
; %bb.77:                               ;   in Loop: Header=BB68_2 Depth=1
	ds_load_u8 v52, v53 offset:1
	s_wait_dscnt 0x1
	v_mov_b32_e32 v51, v49
.LBB68_78:                              ;   in Loop: Header=BB68_2 Depth=1
	s_or_b32 exec_lo, exec_lo, s9
	v_add_nc_u32_e32 v55, 1, v54
	v_add_nc_u32_e32 v57, 1, v53
	s_wait_dscnt 0x0
	v_bfe_i32 v58, v51, 0, 8
	s_delay_alu instid0(VALU_DEP_3) | instskip(SKIP_2) | instid1(VALU_DEP_3)
	v_cndmask_b32_e64 v56, v55, v54, s8
	v_bfe_i32 v54, v52, 0, 8
	v_cndmask_b32_e64 v55, v53, v57, s8
                                        ; implicit-def: $vgpr53
	v_cmp_ge_i32_e64 s9, v56, v16
	s_delay_alu instid0(VALU_DEP_3) | instskip(NEXT) | instid1(VALU_DEP_3)
	v_cmp_lt_i16_e64 s10, v54, v58
	v_cmp_lt_i32_e64 s11, v55, v17
	s_or_b32 s9, s9, s10
	s_wait_alu 0xfffe
	s_and_b32 s9, s11, s9
	s_wait_alu 0xfffe
	s_xor_b32 s10, s9, -1
	s_wait_alu 0xfffe
	s_and_saveexec_b32 s11, s10
	s_wait_alu 0xfffe
	s_xor_b32 s10, exec_lo, s11
; %bb.79:                               ;   in Loop: Header=BB68_2 Depth=1
	ds_load_u8 v53, v56 offset:1
; %bb.80:                               ;   in Loop: Header=BB68_2 Depth=1
	s_wait_alu 0xfffe
	s_or_saveexec_b32 s10, s10
	v_mov_b32_e32 v54, v52
	s_wait_alu 0xfffe
	s_xor_b32 exec_lo, exec_lo, s10
	s_cbranch_execz .LBB68_82
; %bb.81:                               ;   in Loop: Header=BB68_2 Depth=1
	ds_load_u8 v54, v55 offset:1
	s_wait_dscnt 0x1
	v_mov_b32_e32 v53, v51
.LBB68_82:                              ;   in Loop: Header=BB68_2 Depth=1
	s_or_b32 exec_lo, exec_lo, s10
	v_add_nc_u32_e32 v57, 1, v56
	v_add_nc_u32_e32 v59, 1, v55
	s_wait_dscnt 0x0
	v_bfe_i32 v60, v53, 0, 8
	s_delay_alu instid0(VALU_DEP_3) | instskip(SKIP_2) | instid1(VALU_DEP_3)
	v_cndmask_b32_e64 v58, v57, v56, s9
	v_bfe_i32 v56, v54, 0, 8
	v_cndmask_b32_e64 v57, v55, v59, s9
                                        ; implicit-def: $vgpr55
	v_cmp_ge_i32_e64 s10, v58, v16
	s_delay_alu instid0(VALU_DEP_3) | instskip(NEXT) | instid1(VALU_DEP_3)
	v_cmp_lt_i16_e64 s11, v56, v60
	v_cmp_lt_i32_e64 s12, v57, v17
	s_or_b32 s10, s10, s11
	s_wait_alu 0xfffe
	s_and_b32 s10, s12, s10
	s_wait_alu 0xfffe
	s_xor_b32 s11, s10, -1
	s_wait_alu 0xfffe
	s_and_saveexec_b32 s12, s11
	s_wait_alu 0xfffe
	s_xor_b32 s11, exec_lo, s12
; %bb.83:                               ;   in Loop: Header=BB68_2 Depth=1
	ds_load_u8 v55, v58 offset:1
; %bb.84:                               ;   in Loop: Header=BB68_2 Depth=1
	s_wait_alu 0xfffe
	s_or_saveexec_b32 s11, s11
	v_mov_b32_e32 v56, v54
	s_wait_alu 0xfffe
	s_xor_b32 exec_lo, exec_lo, s11
	s_cbranch_execz .LBB68_86
; %bb.85:                               ;   in Loop: Header=BB68_2 Depth=1
	ds_load_u8 v56, v57 offset:1
	s_wait_dscnt 0x1
	v_mov_b32_e32 v55, v53
.LBB68_86:                              ;   in Loop: Header=BB68_2 Depth=1
	s_or_b32 exec_lo, exec_lo, s11
	v_add_nc_u32_e32 v59, 1, v58
	v_add_nc_u32_e32 v61, 1, v57
	s_wait_dscnt 0x0
	v_bfe_i32 v62, v55, 0, 8
	s_delay_alu instid0(VALU_DEP_3) | instskip(SKIP_2) | instid1(VALU_DEP_3)
	v_cndmask_b32_e64 v60, v59, v58, s10
	v_bfe_i32 v58, v56, 0, 8
	v_cndmask_b32_e64 v59, v57, v61, s10
                                        ; implicit-def: $vgpr57
	v_cmp_ge_i32_e64 s11, v60, v16
	s_delay_alu instid0(VALU_DEP_3) | instskip(NEXT) | instid1(VALU_DEP_3)
	v_cmp_lt_i16_e64 s12, v58, v62
	v_cmp_lt_i32_e64 s13, v59, v17
	s_or_b32 s11, s11, s12
	s_wait_alu 0xfffe
	s_and_b32 s11, s13, s11
	s_wait_alu 0xfffe
	s_xor_b32 s12, s11, -1
	s_wait_alu 0xfffe
	s_and_saveexec_b32 s13, s12
	s_wait_alu 0xfffe
	s_xor_b32 s12, exec_lo, s13
; %bb.87:                               ;   in Loop: Header=BB68_2 Depth=1
	ds_load_u8 v57, v60 offset:1
; %bb.88:                               ;   in Loop: Header=BB68_2 Depth=1
	s_wait_alu 0xfffe
	s_or_saveexec_b32 s12, s12
	v_mov_b32_e32 v58, v56
	s_wait_alu 0xfffe
	s_xor_b32 exec_lo, exec_lo, s12
	s_cbranch_execz .LBB68_90
; %bb.89:                               ;   in Loop: Header=BB68_2 Depth=1
	ds_load_u8 v58, v59 offset:1
	s_wait_dscnt 0x1
	v_mov_b32_e32 v57, v55
.LBB68_90:                              ;   in Loop: Header=BB68_2 Depth=1
	s_or_b32 exec_lo, exec_lo, s12
	v_add_nc_u32_e32 v61, 1, v60
	v_add_nc_u32_e32 v63, 1, v59
	s_wait_dscnt 0x0
	v_bfe_i32 v64, v57, 0, 8
	s_delay_alu instid0(VALU_DEP_3) | instskip(SKIP_2) | instid1(VALU_DEP_3)
	v_cndmask_b32_e64 v62, v61, v60, s11
	v_bfe_i32 v60, v58, 0, 8
	v_cndmask_b32_e64 v61, v59, v63, s11
                                        ; implicit-def: $vgpr59
	v_cmp_ge_i32_e64 s12, v62, v16
	s_delay_alu instid0(VALU_DEP_3) | instskip(NEXT) | instid1(VALU_DEP_3)
	v_cmp_lt_i16_e64 s13, v60, v64
	v_cmp_lt_i32_e64 s14, v61, v17
	s_or_b32 s12, s12, s13
	s_wait_alu 0xfffe
	s_and_b32 s12, s14, s12
	s_wait_alu 0xfffe
	s_xor_b32 s13, s12, -1
	s_wait_alu 0xfffe
	s_and_saveexec_b32 s14, s13
	s_delay_alu instid0(SALU_CYCLE_1)
	s_xor_b32 s13, exec_lo, s14
; %bb.91:                               ;   in Loop: Header=BB68_2 Depth=1
	ds_load_u8 v59, v62 offset:1
; %bb.92:                               ;   in Loop: Header=BB68_2 Depth=1
	s_wait_alu 0xfffe
	s_or_saveexec_b32 s13, s13
	v_mov_b32_e32 v60, v58
	s_wait_alu 0xfffe
	s_xor_b32 exec_lo, exec_lo, s13
	s_cbranch_execz .LBB68_94
; %bb.93:                               ;   in Loop: Header=BB68_2 Depth=1
	ds_load_u8 v60, v61 offset:1
	s_wait_dscnt 0x1
	v_mov_b32_e32 v59, v57
.LBB68_94:                              ;   in Loop: Header=BB68_2 Depth=1
	s_or_b32 exec_lo, exec_lo, s13
	v_add_nc_u32_e32 v63, 1, v62
	v_add_nc_u32_e32 v64, 1, v61
	s_wait_dscnt 0x0
	v_bfe_i32 v65, v59, 0, 8
	v_bfe_i32 v66, v60, 0, 8
	v_cndmask_b32_e64 v63, v63, v62, s12
	v_cndmask_b32_e64 v62, v61, v64, s12
                                        ; implicit-def: $vgpr61
	s_delay_alu instid0(VALU_DEP_3) | instskip(NEXT) | instid1(VALU_DEP_3)
	v_cmp_lt_i16_e64 s14, v66, v65
	v_cmp_ge_i32_e64 s13, v63, v16
	s_delay_alu instid0(VALU_DEP_3)
	v_cmp_lt_i32_e64 s15, v62, v17
	s_or_b32 s13, s13, s14
	s_wait_alu 0xfffe
	s_and_b32 s13, s15, s13
	s_wait_alu 0xfffe
	s_xor_b32 s14, s13, -1
	s_delay_alu instid0(SALU_CYCLE_1) | instskip(NEXT) | instid1(SALU_CYCLE_1)
	s_and_saveexec_b32 s15, s14
	s_xor_b32 s14, exec_lo, s15
; %bb.95:                               ;   in Loop: Header=BB68_2 Depth=1
	ds_load_u8 v61, v63 offset:1
; %bb.96:                               ;   in Loop: Header=BB68_2 Depth=1
	s_or_saveexec_b32 s14, s14
	v_mov_b32_e32 v64, v60
	s_xor_b32 exec_lo, exec_lo, s14
	s_cbranch_execz .LBB68_98
; %bb.97:                               ;   in Loop: Header=BB68_2 Depth=1
	ds_load_u8 v64, v62 offset:1
	s_wait_dscnt 0x1
	v_mov_b32_e32 v61, v59
.LBB68_98:                              ;   in Loop: Header=BB68_2 Depth=1
	s_or_b32 exec_lo, exec_lo, s14
	v_cndmask_b32_e64 v53, v53, v54, s10
	v_cndmask_b32_e64 v49, v49, v50, s8
	;; [unrolled: 1-line block ×4, first 2 shown]
	v_add_nc_u32_e32 v65, 1, v63
	v_lshlrev_b16 v51, 8, v53
	v_lshlrev_b16 v49, 8, v49
	v_and_b32_e32 v47, 0xff, v47
	v_and_b32_e32 v48, 0xff, v48
	v_cndmask_b32_e64 v59, v59, v60, s13
	v_add_nc_u32_e32 v60, 1, v62
	s_wait_dscnt 0x0
	v_bfe_i32 v66, v61, 0, 8
	v_or_b32_e32 v47, v47, v49
	v_or_b32_e32 v48, v48, v51
	v_bfe_i32 v67, v64, 0, 8
	v_cndmask_b32_e64 v63, v65, v63, s13
	v_cndmask_b32_e64 v57, v57, v58, s12
	v_and_b32_e32 v47, 0xffff, v47
	v_lshlrev_b32_e32 v48, 16, v48
	v_cndmask_b32_e64 v55, v55, v56, s11
	v_cmp_lt_i16_e64 s11, v67, v66
	v_cmp_ge_i32_e64 s12, v63, v16
	v_lshlrev_b16 v52, 8, v57
	v_or_b32_e32 v48, v47, v48
	v_mov_b32_e32 v47, v43
	v_cndmask_b32_e64 v58, v62, v60, s13
	s_or_b32 s7, s12, s11
	v_and_b32_e32 v53, 0xff, v55
	v_and_b32_e32 v54, 0xff, v59
	s_wait_loadcnt 0x0
	v_cmp_lt_i32_e64 s10, v58, v17
	s_barrier_signal -1
	v_or_b32_e32 v49, v53, v52
	s_barrier_wait -1
	global_inv scope:SCOPE_SE
	s_wait_alu 0xfffe
	s_and_b32 s7, s10, s7
	s_wait_alu 0xfffe
	v_cndmask_b32_e64 v50, v61, v64, s7
	v_and_b32_e32 v49, 0xffff, v49
	s_delay_alu instid0(VALU_DEP_2) | instskip(NEXT) | instid1(VALU_DEP_1)
	v_lshlrev_b16 v50, 8, v50
	v_or_b32_e32 v50, v54, v50
	s_delay_alu instid0(VALU_DEP_1) | instskip(NEXT) | instid1(VALU_DEP_1)
	v_lshlrev_b32_e32 v50, 16, v50
	v_or_b32_e32 v49, v49, v50
	ds_store_b64 v1, v[48:49]
	s_wait_loadcnt_dscnt 0x0
	s_barrier_signal -1
	s_barrier_wait -1
	global_inv scope:SCOPE_SE
	s_and_saveexec_b32 s8, s3
	s_cbranch_execz .LBB68_102
; %bb.99:                               ;   in Loop: Header=BB68_2 Depth=1
	v_dual_mov_b32 v47, v43 :: v_dual_mov_b32 v48, v36
	s_mov_b32 s9, 0
.LBB68_100:                             ;   Parent Loop BB68_2 Depth=1
                                        ; =>  This Inner Loop Header: Depth=2
	s_delay_alu instid0(VALU_DEP_1) | instskip(NEXT) | instid1(VALU_DEP_1)
	v_sub_nc_u32_e32 v49, v48, v47
	v_lshrrev_b32_e32 v49, 1, v49
	s_delay_alu instid0(VALU_DEP_1) | instskip(NEXT) | instid1(VALU_DEP_1)
	v_add_nc_u32_e32 v49, v49, v47
	v_add_nc_u32_e32 v50, v5, v49
	v_xad_u32 v51, v49, -1, v29
	v_add_nc_u32_e32 v52, 1, v49
	ds_load_i8 v50, v50
	ds_load_i8 v51, v51
	s_wait_dscnt 0x0
	v_cmp_lt_i16_e64 s7, v51, v50
	s_wait_alu 0xf1ff
	s_delay_alu instid0(VALU_DEP_1) | instskip(SKIP_1) | instid1(VALU_DEP_1)
	v_cndmask_b32_e64 v48, v48, v49, s7
	v_cndmask_b32_e64 v47, v52, v47, s7
	v_cmp_ge_i32_e64 s7, v47, v48
	s_wait_alu 0xfffe
	s_or_b32 s9, s7, s9
	s_wait_alu 0xfffe
	s_and_not1_b32 exec_lo, exec_lo, s9
	s_cbranch_execnz .LBB68_100
; %bb.101:                              ;   in Loop: Header=BB68_2 Depth=1
	s_or_b32 exec_lo, exec_lo, s9
.LBB68_102:                             ;   in Loop: Header=BB68_2 Depth=1
	s_wait_alu 0xfffe
	s_or_b32 exec_lo, exec_lo, s8
	v_add_nc_u32_e32 v52, v47, v5
	v_sub_nc_u32_e32 v51, v29, v47
                                        ; implicit-def: $vgpr49
	ds_load_u8 v47, v52
	ds_load_u8 v48, v51
	v_cmp_le_i32_e64 s7, v18, v52
	v_cmp_gt_i32_e64 s9, v19, v51
	s_wait_dscnt 0x1
	v_bfe_i32 v47, v47, 0, 8
	s_wait_dscnt 0x0
	v_bfe_i32 v48, v48, 0, 8
	s_delay_alu instid0(VALU_DEP_1)
	v_cmp_lt_i16_e64 s8, v48, v47
	s_or_b32 s7, s7, s8
	s_wait_alu 0xfffe
	s_and_b32 s7, s9, s7
	s_wait_alu 0xfffe
	s_xor_b32 s8, s7, -1
	s_wait_alu 0xfffe
	s_and_saveexec_b32 s9, s8
	s_wait_alu 0xfffe
	s_xor_b32 s8, exec_lo, s9
; %bb.103:                              ;   in Loop: Header=BB68_2 Depth=1
	ds_load_u8 v49, v52 offset:1
; %bb.104:                              ;   in Loop: Header=BB68_2 Depth=1
	s_wait_alu 0xfffe
	s_or_saveexec_b32 s8, s8
	v_mov_b32_e32 v50, v48
	s_wait_alu 0xfffe
	s_xor_b32 exec_lo, exec_lo, s8
	s_cbranch_execz .LBB68_106
; %bb.105:                              ;   in Loop: Header=BB68_2 Depth=1
	ds_load_u8 v50, v51 offset:1
	s_wait_dscnt 0x1
	v_mov_b32_e32 v49, v47
.LBB68_106:                             ;   in Loop: Header=BB68_2 Depth=1
	s_or_b32 exec_lo, exec_lo, s8
	v_add_nc_u32_e32 v53, 1, v52
	v_add_nc_u32_e32 v55, 1, v51
	s_wait_dscnt 0x0
	v_bfe_i32 v56, v49, 0, 8
	s_delay_alu instid0(VALU_DEP_3) | instskip(SKIP_2) | instid1(VALU_DEP_3)
	v_cndmask_b32_e64 v54, v53, v52, s7
	v_bfe_i32 v52, v50, 0, 8
	v_cndmask_b32_e64 v53, v51, v55, s7
                                        ; implicit-def: $vgpr51
	v_cmp_ge_i32_e64 s8, v54, v18
	s_delay_alu instid0(VALU_DEP_3) | instskip(NEXT) | instid1(VALU_DEP_3)
	v_cmp_lt_i16_e64 s9, v52, v56
	v_cmp_lt_i32_e64 s10, v53, v19
	s_or_b32 s8, s8, s9
	s_wait_alu 0xfffe
	s_and_b32 s8, s10, s8
	s_wait_alu 0xfffe
	s_xor_b32 s9, s8, -1
	s_wait_alu 0xfffe
	s_and_saveexec_b32 s10, s9
	s_wait_alu 0xfffe
	s_xor_b32 s9, exec_lo, s10
; %bb.107:                              ;   in Loop: Header=BB68_2 Depth=1
	ds_load_u8 v51, v54 offset:1
; %bb.108:                              ;   in Loop: Header=BB68_2 Depth=1
	s_wait_alu 0xfffe
	s_or_saveexec_b32 s9, s9
	v_mov_b32_e32 v52, v50
	s_wait_alu 0xfffe
	s_xor_b32 exec_lo, exec_lo, s9
	s_cbranch_execz .LBB68_110
; %bb.109:                              ;   in Loop: Header=BB68_2 Depth=1
	ds_load_u8 v52, v53 offset:1
	s_wait_dscnt 0x1
	v_mov_b32_e32 v51, v49
.LBB68_110:                             ;   in Loop: Header=BB68_2 Depth=1
	s_or_b32 exec_lo, exec_lo, s9
	v_add_nc_u32_e32 v55, 1, v54
	v_add_nc_u32_e32 v57, 1, v53
	s_wait_dscnt 0x0
	v_bfe_i32 v58, v51, 0, 8
	s_delay_alu instid0(VALU_DEP_3) | instskip(SKIP_2) | instid1(VALU_DEP_3)
	v_cndmask_b32_e64 v56, v55, v54, s8
	v_bfe_i32 v54, v52, 0, 8
	v_cndmask_b32_e64 v55, v53, v57, s8
                                        ; implicit-def: $vgpr53
	v_cmp_ge_i32_e64 s9, v56, v18
	s_delay_alu instid0(VALU_DEP_3) | instskip(NEXT) | instid1(VALU_DEP_3)
	v_cmp_lt_i16_e64 s10, v54, v58
	v_cmp_lt_i32_e64 s11, v55, v19
	s_or_b32 s9, s9, s10
	s_wait_alu 0xfffe
	s_and_b32 s9, s11, s9
	s_wait_alu 0xfffe
	s_xor_b32 s10, s9, -1
	s_wait_alu 0xfffe
	s_and_saveexec_b32 s11, s10
	s_wait_alu 0xfffe
	s_xor_b32 s10, exec_lo, s11
; %bb.111:                              ;   in Loop: Header=BB68_2 Depth=1
	ds_load_u8 v53, v56 offset:1
; %bb.112:                              ;   in Loop: Header=BB68_2 Depth=1
	s_wait_alu 0xfffe
	s_or_saveexec_b32 s10, s10
	v_mov_b32_e32 v54, v52
	s_wait_alu 0xfffe
	s_xor_b32 exec_lo, exec_lo, s10
	s_cbranch_execz .LBB68_114
; %bb.113:                              ;   in Loop: Header=BB68_2 Depth=1
	ds_load_u8 v54, v55 offset:1
	s_wait_dscnt 0x1
	v_mov_b32_e32 v53, v51
.LBB68_114:                             ;   in Loop: Header=BB68_2 Depth=1
	s_or_b32 exec_lo, exec_lo, s10
	v_add_nc_u32_e32 v57, 1, v56
	v_add_nc_u32_e32 v59, 1, v55
	s_wait_dscnt 0x0
	v_bfe_i32 v60, v53, 0, 8
	s_delay_alu instid0(VALU_DEP_3) | instskip(SKIP_2) | instid1(VALU_DEP_3)
	v_cndmask_b32_e64 v58, v57, v56, s9
	v_bfe_i32 v56, v54, 0, 8
	v_cndmask_b32_e64 v57, v55, v59, s9
                                        ; implicit-def: $vgpr55
	v_cmp_ge_i32_e64 s10, v58, v18
	s_delay_alu instid0(VALU_DEP_3) | instskip(NEXT) | instid1(VALU_DEP_3)
	v_cmp_lt_i16_e64 s11, v56, v60
	v_cmp_lt_i32_e64 s12, v57, v19
	s_or_b32 s10, s10, s11
	s_wait_alu 0xfffe
	s_and_b32 s10, s12, s10
	s_wait_alu 0xfffe
	s_xor_b32 s11, s10, -1
	s_wait_alu 0xfffe
	s_and_saveexec_b32 s12, s11
	s_wait_alu 0xfffe
	s_xor_b32 s11, exec_lo, s12
; %bb.115:                              ;   in Loop: Header=BB68_2 Depth=1
	ds_load_u8 v55, v58 offset:1
; %bb.116:                              ;   in Loop: Header=BB68_2 Depth=1
	s_wait_alu 0xfffe
	s_or_saveexec_b32 s11, s11
	v_mov_b32_e32 v56, v54
	s_wait_alu 0xfffe
	s_xor_b32 exec_lo, exec_lo, s11
	s_cbranch_execz .LBB68_118
; %bb.117:                              ;   in Loop: Header=BB68_2 Depth=1
	ds_load_u8 v56, v57 offset:1
	s_wait_dscnt 0x1
	v_mov_b32_e32 v55, v53
.LBB68_118:                             ;   in Loop: Header=BB68_2 Depth=1
	s_or_b32 exec_lo, exec_lo, s11
	v_add_nc_u32_e32 v59, 1, v58
	v_add_nc_u32_e32 v61, 1, v57
	s_wait_dscnt 0x0
	v_bfe_i32 v62, v55, 0, 8
	s_delay_alu instid0(VALU_DEP_3) | instskip(SKIP_2) | instid1(VALU_DEP_3)
	v_cndmask_b32_e64 v60, v59, v58, s10
	v_bfe_i32 v58, v56, 0, 8
	v_cndmask_b32_e64 v59, v57, v61, s10
                                        ; implicit-def: $vgpr57
	v_cmp_ge_i32_e64 s11, v60, v18
	s_delay_alu instid0(VALU_DEP_3) | instskip(NEXT) | instid1(VALU_DEP_3)
	v_cmp_lt_i16_e64 s12, v58, v62
	v_cmp_lt_i32_e64 s13, v59, v19
	s_or_b32 s11, s11, s12
	s_wait_alu 0xfffe
	s_and_b32 s11, s13, s11
	s_wait_alu 0xfffe
	s_xor_b32 s12, s11, -1
	s_wait_alu 0xfffe
	s_and_saveexec_b32 s13, s12
	s_wait_alu 0xfffe
	s_xor_b32 s12, exec_lo, s13
; %bb.119:                              ;   in Loop: Header=BB68_2 Depth=1
	ds_load_u8 v57, v60 offset:1
; %bb.120:                              ;   in Loop: Header=BB68_2 Depth=1
	s_wait_alu 0xfffe
	s_or_saveexec_b32 s12, s12
	v_mov_b32_e32 v58, v56
	s_wait_alu 0xfffe
	s_xor_b32 exec_lo, exec_lo, s12
	s_cbranch_execz .LBB68_122
; %bb.121:                              ;   in Loop: Header=BB68_2 Depth=1
	ds_load_u8 v58, v59 offset:1
	s_wait_dscnt 0x1
	v_mov_b32_e32 v57, v55
.LBB68_122:                             ;   in Loop: Header=BB68_2 Depth=1
	s_or_b32 exec_lo, exec_lo, s12
	v_add_nc_u32_e32 v61, 1, v60
	v_add_nc_u32_e32 v63, 1, v59
	s_wait_dscnt 0x0
	v_bfe_i32 v64, v57, 0, 8
	s_delay_alu instid0(VALU_DEP_3) | instskip(SKIP_2) | instid1(VALU_DEP_3)
	v_cndmask_b32_e64 v62, v61, v60, s11
	v_bfe_i32 v60, v58, 0, 8
	v_cndmask_b32_e64 v61, v59, v63, s11
                                        ; implicit-def: $vgpr59
	v_cmp_ge_i32_e64 s12, v62, v18
	s_delay_alu instid0(VALU_DEP_3) | instskip(NEXT) | instid1(VALU_DEP_3)
	v_cmp_lt_i16_e64 s13, v60, v64
	v_cmp_lt_i32_e64 s14, v61, v19
	s_or_b32 s12, s12, s13
	s_wait_alu 0xfffe
	s_and_b32 s12, s14, s12
	s_wait_alu 0xfffe
	s_xor_b32 s13, s12, -1
	s_wait_alu 0xfffe
	s_and_saveexec_b32 s14, s13
	s_delay_alu instid0(SALU_CYCLE_1)
	s_xor_b32 s13, exec_lo, s14
; %bb.123:                              ;   in Loop: Header=BB68_2 Depth=1
	ds_load_u8 v59, v62 offset:1
; %bb.124:                              ;   in Loop: Header=BB68_2 Depth=1
	s_wait_alu 0xfffe
	s_or_saveexec_b32 s13, s13
	v_mov_b32_e32 v60, v58
	s_wait_alu 0xfffe
	s_xor_b32 exec_lo, exec_lo, s13
	s_cbranch_execz .LBB68_126
; %bb.125:                              ;   in Loop: Header=BB68_2 Depth=1
	ds_load_u8 v60, v61 offset:1
	s_wait_dscnt 0x1
	v_mov_b32_e32 v59, v57
.LBB68_126:                             ;   in Loop: Header=BB68_2 Depth=1
	s_or_b32 exec_lo, exec_lo, s13
	v_add_nc_u32_e32 v63, 1, v62
	v_add_nc_u32_e32 v64, 1, v61
	s_wait_dscnt 0x0
	v_bfe_i32 v65, v59, 0, 8
	v_bfe_i32 v66, v60, 0, 8
	v_cndmask_b32_e64 v63, v63, v62, s12
	v_cndmask_b32_e64 v62, v61, v64, s12
                                        ; implicit-def: $vgpr61
	s_delay_alu instid0(VALU_DEP_3) | instskip(NEXT) | instid1(VALU_DEP_3)
	v_cmp_lt_i16_e64 s14, v66, v65
	v_cmp_ge_i32_e64 s13, v63, v18
	s_delay_alu instid0(VALU_DEP_3)
	v_cmp_lt_i32_e64 s15, v62, v19
	s_or_b32 s13, s13, s14
	s_wait_alu 0xfffe
	s_and_b32 s13, s15, s13
	s_wait_alu 0xfffe
	s_xor_b32 s14, s13, -1
	s_delay_alu instid0(SALU_CYCLE_1) | instskip(NEXT) | instid1(SALU_CYCLE_1)
	s_and_saveexec_b32 s15, s14
	s_xor_b32 s14, exec_lo, s15
; %bb.127:                              ;   in Loop: Header=BB68_2 Depth=1
	ds_load_u8 v61, v63 offset:1
; %bb.128:                              ;   in Loop: Header=BB68_2 Depth=1
	s_or_saveexec_b32 s14, s14
	v_mov_b32_e32 v64, v60
	s_xor_b32 exec_lo, exec_lo, s14
	s_cbranch_execz .LBB68_130
; %bb.129:                              ;   in Loop: Header=BB68_2 Depth=1
	ds_load_u8 v64, v62 offset:1
	s_wait_dscnt 0x1
	v_mov_b32_e32 v61, v59
.LBB68_130:                             ;   in Loop: Header=BB68_2 Depth=1
	s_or_b32 exec_lo, exec_lo, s14
	v_cndmask_b32_e64 v53, v53, v54, s10
	v_cndmask_b32_e64 v49, v49, v50, s8
	;; [unrolled: 1-line block ×4, first 2 shown]
	v_add_nc_u32_e32 v65, 1, v63
	v_lshlrev_b16 v51, 8, v53
	v_lshlrev_b16 v49, 8, v49
	v_and_b32_e32 v47, 0xff, v47
	v_and_b32_e32 v48, 0xff, v48
	v_cndmask_b32_e64 v59, v59, v60, s13
	v_add_nc_u32_e32 v60, 1, v62
	s_wait_dscnt 0x0
	v_bfe_i32 v66, v61, 0, 8
	v_or_b32_e32 v47, v47, v49
	v_or_b32_e32 v48, v48, v51
	v_bfe_i32 v67, v64, 0, 8
	v_cndmask_b32_e64 v63, v65, v63, s13
	v_cndmask_b32_e64 v57, v57, v58, s12
	v_and_b32_e32 v47, 0xffff, v47
	v_lshlrev_b32_e32 v48, 16, v48
	v_cndmask_b32_e64 v55, v55, v56, s11
	v_cmp_lt_i16_e64 s11, v67, v66
	v_cmp_ge_i32_e64 s12, v63, v18
	v_lshlrev_b16 v52, 8, v57
	v_or_b32_e32 v48, v47, v48
	v_mov_b32_e32 v47, v44
	v_cndmask_b32_e64 v58, v62, v60, s13
	s_or_b32 s7, s12, s11
	v_and_b32_e32 v53, 0xff, v55
	v_and_b32_e32 v54, 0xff, v59
	s_wait_loadcnt 0x0
	v_cmp_lt_i32_e64 s10, v58, v19
	s_barrier_signal -1
	v_or_b32_e32 v49, v53, v52
	s_barrier_wait -1
	global_inv scope:SCOPE_SE
	s_wait_alu 0xfffe
	s_and_b32 s7, s10, s7
	s_wait_alu 0xfffe
	v_cndmask_b32_e64 v50, v61, v64, s7
	v_and_b32_e32 v49, 0xffff, v49
	s_delay_alu instid0(VALU_DEP_2) | instskip(NEXT) | instid1(VALU_DEP_1)
	v_lshlrev_b16 v50, 8, v50
	v_or_b32_e32 v50, v54, v50
	s_delay_alu instid0(VALU_DEP_1) | instskip(NEXT) | instid1(VALU_DEP_1)
	v_lshlrev_b32_e32 v50, 16, v50
	v_or_b32_e32 v49, v49, v50
	ds_store_b64 v1, v[48:49]
	s_wait_loadcnt_dscnt 0x0
	s_barrier_signal -1
	s_barrier_wait -1
	global_inv scope:SCOPE_SE
	s_and_saveexec_b32 s8, s4
	s_cbranch_execz .LBB68_134
; %bb.131:                              ;   in Loop: Header=BB68_2 Depth=1
	v_dual_mov_b32 v47, v44 :: v_dual_mov_b32 v48, v37
	s_mov_b32 s9, 0
.LBB68_132:                             ;   Parent Loop BB68_2 Depth=1
                                        ; =>  This Inner Loop Header: Depth=2
	s_delay_alu instid0(VALU_DEP_1) | instskip(NEXT) | instid1(VALU_DEP_1)
	v_sub_nc_u32_e32 v49, v48, v47
	v_lshrrev_b32_e32 v49, 1, v49
	s_delay_alu instid0(VALU_DEP_1) | instskip(NEXT) | instid1(VALU_DEP_1)
	v_add_nc_u32_e32 v49, v49, v47
	v_add_nc_u32_e32 v50, v6, v49
	v_xad_u32 v51, v49, -1, v30
	v_add_nc_u32_e32 v52, 1, v49
	ds_load_i8 v50, v50
	ds_load_i8 v51, v51
	s_wait_dscnt 0x0
	v_cmp_lt_i16_e64 s7, v51, v50
	s_wait_alu 0xf1ff
	s_delay_alu instid0(VALU_DEP_1) | instskip(SKIP_1) | instid1(VALU_DEP_1)
	v_cndmask_b32_e64 v48, v48, v49, s7
	v_cndmask_b32_e64 v47, v52, v47, s7
	v_cmp_ge_i32_e64 s7, v47, v48
	s_wait_alu 0xfffe
	s_or_b32 s9, s7, s9
	s_wait_alu 0xfffe
	s_and_not1_b32 exec_lo, exec_lo, s9
	s_cbranch_execnz .LBB68_132
; %bb.133:                              ;   in Loop: Header=BB68_2 Depth=1
	s_or_b32 exec_lo, exec_lo, s9
.LBB68_134:                             ;   in Loop: Header=BB68_2 Depth=1
	s_wait_alu 0xfffe
	s_or_b32 exec_lo, exec_lo, s8
	v_add_nc_u32_e32 v52, v47, v6
	v_sub_nc_u32_e32 v51, v30, v47
                                        ; implicit-def: $vgpr49
	ds_load_u8 v47, v52
	ds_load_u8 v48, v51
	v_cmp_le_i32_e64 s7, v20, v52
	v_cmp_gt_i32_e64 s9, v21, v51
	s_wait_dscnt 0x1
	v_bfe_i32 v47, v47, 0, 8
	s_wait_dscnt 0x0
	v_bfe_i32 v48, v48, 0, 8
	s_delay_alu instid0(VALU_DEP_1)
	v_cmp_lt_i16_e64 s8, v48, v47
	s_or_b32 s7, s7, s8
	s_wait_alu 0xfffe
	s_and_b32 s7, s9, s7
	s_wait_alu 0xfffe
	s_xor_b32 s8, s7, -1
	s_wait_alu 0xfffe
	s_and_saveexec_b32 s9, s8
	s_wait_alu 0xfffe
	s_xor_b32 s8, exec_lo, s9
; %bb.135:                              ;   in Loop: Header=BB68_2 Depth=1
	ds_load_u8 v49, v52 offset:1
; %bb.136:                              ;   in Loop: Header=BB68_2 Depth=1
	s_wait_alu 0xfffe
	s_or_saveexec_b32 s8, s8
	v_mov_b32_e32 v50, v48
	s_wait_alu 0xfffe
	s_xor_b32 exec_lo, exec_lo, s8
	s_cbranch_execz .LBB68_138
; %bb.137:                              ;   in Loop: Header=BB68_2 Depth=1
	ds_load_u8 v50, v51 offset:1
	s_wait_dscnt 0x1
	v_mov_b32_e32 v49, v47
.LBB68_138:                             ;   in Loop: Header=BB68_2 Depth=1
	s_or_b32 exec_lo, exec_lo, s8
	v_add_nc_u32_e32 v53, 1, v52
	v_add_nc_u32_e32 v55, 1, v51
	s_wait_dscnt 0x0
	v_bfe_i32 v56, v49, 0, 8
	s_delay_alu instid0(VALU_DEP_3) | instskip(SKIP_2) | instid1(VALU_DEP_3)
	v_cndmask_b32_e64 v54, v53, v52, s7
	v_bfe_i32 v52, v50, 0, 8
	v_cndmask_b32_e64 v53, v51, v55, s7
                                        ; implicit-def: $vgpr51
	v_cmp_ge_i32_e64 s8, v54, v20
	s_delay_alu instid0(VALU_DEP_3) | instskip(NEXT) | instid1(VALU_DEP_3)
	v_cmp_lt_i16_e64 s9, v52, v56
	v_cmp_lt_i32_e64 s10, v53, v21
	s_or_b32 s8, s8, s9
	s_wait_alu 0xfffe
	s_and_b32 s8, s10, s8
	s_wait_alu 0xfffe
	s_xor_b32 s9, s8, -1
	s_wait_alu 0xfffe
	s_and_saveexec_b32 s10, s9
	s_wait_alu 0xfffe
	s_xor_b32 s9, exec_lo, s10
; %bb.139:                              ;   in Loop: Header=BB68_2 Depth=1
	ds_load_u8 v51, v54 offset:1
; %bb.140:                              ;   in Loop: Header=BB68_2 Depth=1
	s_wait_alu 0xfffe
	s_or_saveexec_b32 s9, s9
	v_mov_b32_e32 v52, v50
	s_wait_alu 0xfffe
	s_xor_b32 exec_lo, exec_lo, s9
	s_cbranch_execz .LBB68_142
; %bb.141:                              ;   in Loop: Header=BB68_2 Depth=1
	ds_load_u8 v52, v53 offset:1
	s_wait_dscnt 0x1
	v_mov_b32_e32 v51, v49
.LBB68_142:                             ;   in Loop: Header=BB68_2 Depth=1
	s_or_b32 exec_lo, exec_lo, s9
	v_add_nc_u32_e32 v55, 1, v54
	v_add_nc_u32_e32 v57, 1, v53
	s_wait_dscnt 0x0
	v_bfe_i32 v58, v51, 0, 8
	s_delay_alu instid0(VALU_DEP_3) | instskip(SKIP_2) | instid1(VALU_DEP_3)
	v_cndmask_b32_e64 v56, v55, v54, s8
	v_bfe_i32 v54, v52, 0, 8
	v_cndmask_b32_e64 v55, v53, v57, s8
                                        ; implicit-def: $vgpr53
	v_cmp_ge_i32_e64 s9, v56, v20
	s_delay_alu instid0(VALU_DEP_3) | instskip(NEXT) | instid1(VALU_DEP_3)
	v_cmp_lt_i16_e64 s10, v54, v58
	v_cmp_lt_i32_e64 s11, v55, v21
	s_or_b32 s9, s9, s10
	s_wait_alu 0xfffe
	s_and_b32 s9, s11, s9
	s_wait_alu 0xfffe
	s_xor_b32 s10, s9, -1
	s_wait_alu 0xfffe
	s_and_saveexec_b32 s11, s10
	s_wait_alu 0xfffe
	s_xor_b32 s10, exec_lo, s11
; %bb.143:                              ;   in Loop: Header=BB68_2 Depth=1
	ds_load_u8 v53, v56 offset:1
; %bb.144:                              ;   in Loop: Header=BB68_2 Depth=1
	s_wait_alu 0xfffe
	s_or_saveexec_b32 s10, s10
	v_mov_b32_e32 v54, v52
	s_wait_alu 0xfffe
	s_xor_b32 exec_lo, exec_lo, s10
	s_cbranch_execz .LBB68_146
; %bb.145:                              ;   in Loop: Header=BB68_2 Depth=1
	ds_load_u8 v54, v55 offset:1
	s_wait_dscnt 0x1
	v_mov_b32_e32 v53, v51
.LBB68_146:                             ;   in Loop: Header=BB68_2 Depth=1
	s_or_b32 exec_lo, exec_lo, s10
	v_add_nc_u32_e32 v57, 1, v56
	v_add_nc_u32_e32 v59, 1, v55
	s_wait_dscnt 0x0
	v_bfe_i32 v60, v53, 0, 8
	s_delay_alu instid0(VALU_DEP_3) | instskip(SKIP_2) | instid1(VALU_DEP_3)
	v_cndmask_b32_e64 v58, v57, v56, s9
	v_bfe_i32 v56, v54, 0, 8
	v_cndmask_b32_e64 v57, v55, v59, s9
                                        ; implicit-def: $vgpr55
	v_cmp_ge_i32_e64 s10, v58, v20
	s_delay_alu instid0(VALU_DEP_3) | instskip(NEXT) | instid1(VALU_DEP_3)
	v_cmp_lt_i16_e64 s11, v56, v60
	v_cmp_lt_i32_e64 s12, v57, v21
	s_or_b32 s10, s10, s11
	s_wait_alu 0xfffe
	s_and_b32 s10, s12, s10
	s_wait_alu 0xfffe
	s_xor_b32 s11, s10, -1
	s_wait_alu 0xfffe
	s_and_saveexec_b32 s12, s11
	s_wait_alu 0xfffe
	s_xor_b32 s11, exec_lo, s12
; %bb.147:                              ;   in Loop: Header=BB68_2 Depth=1
	ds_load_u8 v55, v58 offset:1
; %bb.148:                              ;   in Loop: Header=BB68_2 Depth=1
	s_wait_alu 0xfffe
	s_or_saveexec_b32 s11, s11
	v_mov_b32_e32 v56, v54
	s_wait_alu 0xfffe
	s_xor_b32 exec_lo, exec_lo, s11
	s_cbranch_execz .LBB68_150
; %bb.149:                              ;   in Loop: Header=BB68_2 Depth=1
	ds_load_u8 v56, v57 offset:1
	s_wait_dscnt 0x1
	v_mov_b32_e32 v55, v53
.LBB68_150:                             ;   in Loop: Header=BB68_2 Depth=1
	s_or_b32 exec_lo, exec_lo, s11
	v_add_nc_u32_e32 v59, 1, v58
	v_add_nc_u32_e32 v61, 1, v57
	s_wait_dscnt 0x0
	v_bfe_i32 v62, v55, 0, 8
	s_delay_alu instid0(VALU_DEP_3) | instskip(SKIP_2) | instid1(VALU_DEP_3)
	v_cndmask_b32_e64 v60, v59, v58, s10
	v_bfe_i32 v58, v56, 0, 8
	v_cndmask_b32_e64 v59, v57, v61, s10
                                        ; implicit-def: $vgpr57
	v_cmp_ge_i32_e64 s11, v60, v20
	s_delay_alu instid0(VALU_DEP_3) | instskip(NEXT) | instid1(VALU_DEP_3)
	v_cmp_lt_i16_e64 s12, v58, v62
	v_cmp_lt_i32_e64 s13, v59, v21
	s_or_b32 s11, s11, s12
	s_wait_alu 0xfffe
	s_and_b32 s11, s13, s11
	s_wait_alu 0xfffe
	s_xor_b32 s12, s11, -1
	s_wait_alu 0xfffe
	s_and_saveexec_b32 s13, s12
	s_wait_alu 0xfffe
	s_xor_b32 s12, exec_lo, s13
; %bb.151:                              ;   in Loop: Header=BB68_2 Depth=1
	ds_load_u8 v57, v60 offset:1
; %bb.152:                              ;   in Loop: Header=BB68_2 Depth=1
	s_wait_alu 0xfffe
	s_or_saveexec_b32 s12, s12
	v_mov_b32_e32 v58, v56
	s_wait_alu 0xfffe
	s_xor_b32 exec_lo, exec_lo, s12
	s_cbranch_execz .LBB68_154
; %bb.153:                              ;   in Loop: Header=BB68_2 Depth=1
	ds_load_u8 v58, v59 offset:1
	s_wait_dscnt 0x1
	v_mov_b32_e32 v57, v55
.LBB68_154:                             ;   in Loop: Header=BB68_2 Depth=1
	s_or_b32 exec_lo, exec_lo, s12
	v_add_nc_u32_e32 v61, 1, v60
	v_add_nc_u32_e32 v63, 1, v59
	s_wait_dscnt 0x0
	v_bfe_i32 v64, v57, 0, 8
	s_delay_alu instid0(VALU_DEP_3) | instskip(SKIP_2) | instid1(VALU_DEP_3)
	v_cndmask_b32_e64 v62, v61, v60, s11
	v_bfe_i32 v60, v58, 0, 8
	v_cndmask_b32_e64 v61, v59, v63, s11
                                        ; implicit-def: $vgpr59
	v_cmp_ge_i32_e64 s12, v62, v20
	s_delay_alu instid0(VALU_DEP_3) | instskip(NEXT) | instid1(VALU_DEP_3)
	v_cmp_lt_i16_e64 s13, v60, v64
	v_cmp_lt_i32_e64 s14, v61, v21
	s_or_b32 s12, s12, s13
	s_wait_alu 0xfffe
	s_and_b32 s12, s14, s12
	s_wait_alu 0xfffe
	s_xor_b32 s13, s12, -1
	s_wait_alu 0xfffe
	s_and_saveexec_b32 s14, s13
	s_delay_alu instid0(SALU_CYCLE_1)
	s_xor_b32 s13, exec_lo, s14
; %bb.155:                              ;   in Loop: Header=BB68_2 Depth=1
	ds_load_u8 v59, v62 offset:1
; %bb.156:                              ;   in Loop: Header=BB68_2 Depth=1
	s_wait_alu 0xfffe
	s_or_saveexec_b32 s13, s13
	v_mov_b32_e32 v60, v58
	s_wait_alu 0xfffe
	s_xor_b32 exec_lo, exec_lo, s13
	s_cbranch_execz .LBB68_158
; %bb.157:                              ;   in Loop: Header=BB68_2 Depth=1
	ds_load_u8 v60, v61 offset:1
	s_wait_dscnt 0x1
	v_mov_b32_e32 v59, v57
.LBB68_158:                             ;   in Loop: Header=BB68_2 Depth=1
	s_or_b32 exec_lo, exec_lo, s13
	v_add_nc_u32_e32 v63, 1, v62
	v_add_nc_u32_e32 v64, 1, v61
	s_wait_dscnt 0x0
	v_bfe_i32 v65, v59, 0, 8
	v_bfe_i32 v66, v60, 0, 8
	v_cndmask_b32_e64 v63, v63, v62, s12
	v_cndmask_b32_e64 v62, v61, v64, s12
                                        ; implicit-def: $vgpr61
	s_delay_alu instid0(VALU_DEP_3) | instskip(NEXT) | instid1(VALU_DEP_3)
	v_cmp_lt_i16_e64 s14, v66, v65
	v_cmp_ge_i32_e64 s13, v63, v20
	s_delay_alu instid0(VALU_DEP_3)
	v_cmp_lt_i32_e64 s15, v62, v21
	s_or_b32 s13, s13, s14
	s_wait_alu 0xfffe
	s_and_b32 s13, s15, s13
	s_wait_alu 0xfffe
	s_xor_b32 s14, s13, -1
	s_delay_alu instid0(SALU_CYCLE_1) | instskip(NEXT) | instid1(SALU_CYCLE_1)
	s_and_saveexec_b32 s15, s14
	s_xor_b32 s14, exec_lo, s15
; %bb.159:                              ;   in Loop: Header=BB68_2 Depth=1
	ds_load_u8 v61, v63 offset:1
; %bb.160:                              ;   in Loop: Header=BB68_2 Depth=1
	s_or_saveexec_b32 s14, s14
	v_mov_b32_e32 v64, v60
	s_xor_b32 exec_lo, exec_lo, s14
	s_cbranch_execz .LBB68_162
; %bb.161:                              ;   in Loop: Header=BB68_2 Depth=1
	ds_load_u8 v64, v62 offset:1
	s_wait_dscnt 0x1
	v_mov_b32_e32 v61, v59
.LBB68_162:                             ;   in Loop: Header=BB68_2 Depth=1
	s_or_b32 exec_lo, exec_lo, s14
	v_cndmask_b32_e64 v53, v53, v54, s10
	v_cndmask_b32_e64 v49, v49, v50, s8
	;; [unrolled: 1-line block ×4, first 2 shown]
	v_add_nc_u32_e32 v65, 1, v63
	v_lshlrev_b16 v51, 8, v53
	v_lshlrev_b16 v49, 8, v49
	v_and_b32_e32 v47, 0xff, v47
	v_and_b32_e32 v48, 0xff, v48
	v_cndmask_b32_e64 v59, v59, v60, s13
	v_add_nc_u32_e32 v60, 1, v62
	s_wait_dscnt 0x0
	v_bfe_i32 v66, v61, 0, 8
	v_or_b32_e32 v47, v47, v49
	v_or_b32_e32 v48, v48, v51
	v_bfe_i32 v67, v64, 0, 8
	v_cndmask_b32_e64 v63, v65, v63, s13
	v_cndmask_b32_e64 v57, v57, v58, s12
	v_and_b32_e32 v47, 0xffff, v47
	v_lshlrev_b32_e32 v48, 16, v48
	v_cndmask_b32_e64 v55, v55, v56, s11
	v_cmp_lt_i16_e64 s11, v67, v66
	v_cmp_ge_i32_e64 s12, v63, v20
	v_lshlrev_b16 v52, 8, v57
	v_or_b32_e32 v48, v47, v48
	v_mov_b32_e32 v47, v45
	v_cndmask_b32_e64 v58, v62, v60, s13
	s_or_b32 s7, s12, s11
	v_and_b32_e32 v53, 0xff, v55
	v_and_b32_e32 v54, 0xff, v59
	s_wait_loadcnt 0x0
	v_cmp_lt_i32_e64 s10, v58, v21
	s_barrier_signal -1
	v_or_b32_e32 v49, v53, v52
	s_barrier_wait -1
	global_inv scope:SCOPE_SE
	s_wait_alu 0xfffe
	s_and_b32 s7, s10, s7
	s_wait_alu 0xfffe
	v_cndmask_b32_e64 v50, v61, v64, s7
	v_and_b32_e32 v49, 0xffff, v49
	s_delay_alu instid0(VALU_DEP_2) | instskip(NEXT) | instid1(VALU_DEP_1)
	v_lshlrev_b16 v50, 8, v50
	v_or_b32_e32 v50, v54, v50
	s_delay_alu instid0(VALU_DEP_1) | instskip(NEXT) | instid1(VALU_DEP_1)
	v_lshlrev_b32_e32 v50, 16, v50
	v_or_b32_e32 v49, v49, v50
	ds_store_b64 v1, v[48:49]
	s_wait_loadcnt_dscnt 0x0
	s_barrier_signal -1
	s_barrier_wait -1
	global_inv scope:SCOPE_SE
	s_and_saveexec_b32 s8, s5
	s_cbranch_execz .LBB68_166
; %bb.163:                              ;   in Loop: Header=BB68_2 Depth=1
	v_dual_mov_b32 v47, v45 :: v_dual_mov_b32 v48, v38
	s_mov_b32 s9, 0
.LBB68_164:                             ;   Parent Loop BB68_2 Depth=1
                                        ; =>  This Inner Loop Header: Depth=2
	s_delay_alu instid0(VALU_DEP_1) | instskip(NEXT) | instid1(VALU_DEP_1)
	v_sub_nc_u32_e32 v49, v48, v47
	v_lshrrev_b32_e32 v49, 1, v49
	s_delay_alu instid0(VALU_DEP_1) | instskip(NEXT) | instid1(VALU_DEP_1)
	v_add_nc_u32_e32 v49, v49, v47
	v_add_nc_u32_e32 v50, v7, v49
	v_xad_u32 v51, v49, -1, v31
	v_add_nc_u32_e32 v52, 1, v49
	ds_load_i8 v50, v50
	ds_load_i8 v51, v51
	s_wait_dscnt 0x0
	v_cmp_lt_i16_e64 s7, v51, v50
	s_wait_alu 0xf1ff
	s_delay_alu instid0(VALU_DEP_1) | instskip(SKIP_1) | instid1(VALU_DEP_1)
	v_cndmask_b32_e64 v48, v48, v49, s7
	v_cndmask_b32_e64 v47, v52, v47, s7
	v_cmp_ge_i32_e64 s7, v47, v48
	s_wait_alu 0xfffe
	s_or_b32 s9, s7, s9
	s_wait_alu 0xfffe
	s_and_not1_b32 exec_lo, exec_lo, s9
	s_cbranch_execnz .LBB68_164
; %bb.165:                              ;   in Loop: Header=BB68_2 Depth=1
	s_or_b32 exec_lo, exec_lo, s9
.LBB68_166:                             ;   in Loop: Header=BB68_2 Depth=1
	s_wait_alu 0xfffe
	s_or_b32 exec_lo, exec_lo, s8
	v_add_nc_u32_e32 v52, v47, v7
	v_sub_nc_u32_e32 v51, v31, v47
                                        ; implicit-def: $vgpr49
	ds_load_u8 v47, v52
	ds_load_u8 v48, v51
	v_cmp_le_i32_e64 s7, v22, v52
	v_cmp_gt_i32_e64 s9, v23, v51
	s_wait_dscnt 0x1
	v_bfe_i32 v47, v47, 0, 8
	s_wait_dscnt 0x0
	v_bfe_i32 v48, v48, 0, 8
	s_delay_alu instid0(VALU_DEP_1)
	v_cmp_lt_i16_e64 s8, v48, v47
	s_or_b32 s7, s7, s8
	s_wait_alu 0xfffe
	s_and_b32 s7, s9, s7
	s_wait_alu 0xfffe
	s_xor_b32 s8, s7, -1
	s_wait_alu 0xfffe
	s_and_saveexec_b32 s9, s8
	s_wait_alu 0xfffe
	s_xor_b32 s8, exec_lo, s9
; %bb.167:                              ;   in Loop: Header=BB68_2 Depth=1
	ds_load_u8 v49, v52 offset:1
; %bb.168:                              ;   in Loop: Header=BB68_2 Depth=1
	s_wait_alu 0xfffe
	s_or_saveexec_b32 s8, s8
	v_mov_b32_e32 v50, v48
	s_wait_alu 0xfffe
	s_xor_b32 exec_lo, exec_lo, s8
	s_cbranch_execz .LBB68_170
; %bb.169:                              ;   in Loop: Header=BB68_2 Depth=1
	ds_load_u8 v50, v51 offset:1
	s_wait_dscnt 0x1
	v_mov_b32_e32 v49, v47
.LBB68_170:                             ;   in Loop: Header=BB68_2 Depth=1
	s_or_b32 exec_lo, exec_lo, s8
	v_add_nc_u32_e32 v53, 1, v52
	v_add_nc_u32_e32 v55, 1, v51
	s_wait_dscnt 0x0
	v_bfe_i32 v56, v49, 0, 8
	s_delay_alu instid0(VALU_DEP_3) | instskip(SKIP_2) | instid1(VALU_DEP_3)
	v_cndmask_b32_e64 v54, v53, v52, s7
	v_bfe_i32 v52, v50, 0, 8
	v_cndmask_b32_e64 v53, v51, v55, s7
                                        ; implicit-def: $vgpr51
	v_cmp_ge_i32_e64 s8, v54, v22
	s_delay_alu instid0(VALU_DEP_3) | instskip(NEXT) | instid1(VALU_DEP_3)
	v_cmp_lt_i16_e64 s9, v52, v56
	v_cmp_lt_i32_e64 s10, v53, v23
	s_or_b32 s8, s8, s9
	s_wait_alu 0xfffe
	s_and_b32 s8, s10, s8
	s_wait_alu 0xfffe
	s_xor_b32 s9, s8, -1
	s_wait_alu 0xfffe
	s_and_saveexec_b32 s10, s9
	s_wait_alu 0xfffe
	s_xor_b32 s9, exec_lo, s10
; %bb.171:                              ;   in Loop: Header=BB68_2 Depth=1
	ds_load_u8 v51, v54 offset:1
; %bb.172:                              ;   in Loop: Header=BB68_2 Depth=1
	s_wait_alu 0xfffe
	s_or_saveexec_b32 s9, s9
	v_mov_b32_e32 v52, v50
	s_wait_alu 0xfffe
	s_xor_b32 exec_lo, exec_lo, s9
	s_cbranch_execz .LBB68_174
; %bb.173:                              ;   in Loop: Header=BB68_2 Depth=1
	ds_load_u8 v52, v53 offset:1
	s_wait_dscnt 0x1
	v_mov_b32_e32 v51, v49
.LBB68_174:                             ;   in Loop: Header=BB68_2 Depth=1
	s_or_b32 exec_lo, exec_lo, s9
	v_add_nc_u32_e32 v55, 1, v54
	v_add_nc_u32_e32 v57, 1, v53
	s_wait_dscnt 0x0
	v_bfe_i32 v58, v51, 0, 8
	s_delay_alu instid0(VALU_DEP_3) | instskip(SKIP_2) | instid1(VALU_DEP_3)
	v_cndmask_b32_e64 v56, v55, v54, s8
	v_bfe_i32 v54, v52, 0, 8
	v_cndmask_b32_e64 v55, v53, v57, s8
                                        ; implicit-def: $vgpr53
	v_cmp_ge_i32_e64 s9, v56, v22
	s_delay_alu instid0(VALU_DEP_3) | instskip(NEXT) | instid1(VALU_DEP_3)
	v_cmp_lt_i16_e64 s10, v54, v58
	v_cmp_lt_i32_e64 s11, v55, v23
	s_or_b32 s9, s9, s10
	s_wait_alu 0xfffe
	s_and_b32 s9, s11, s9
	s_wait_alu 0xfffe
	s_xor_b32 s10, s9, -1
	s_wait_alu 0xfffe
	s_and_saveexec_b32 s11, s10
	s_wait_alu 0xfffe
	s_xor_b32 s10, exec_lo, s11
; %bb.175:                              ;   in Loop: Header=BB68_2 Depth=1
	ds_load_u8 v53, v56 offset:1
; %bb.176:                              ;   in Loop: Header=BB68_2 Depth=1
	s_wait_alu 0xfffe
	s_or_saveexec_b32 s10, s10
	v_mov_b32_e32 v54, v52
	s_wait_alu 0xfffe
	s_xor_b32 exec_lo, exec_lo, s10
	s_cbranch_execz .LBB68_178
; %bb.177:                              ;   in Loop: Header=BB68_2 Depth=1
	ds_load_u8 v54, v55 offset:1
	s_wait_dscnt 0x1
	v_mov_b32_e32 v53, v51
.LBB68_178:                             ;   in Loop: Header=BB68_2 Depth=1
	s_or_b32 exec_lo, exec_lo, s10
	v_add_nc_u32_e32 v57, 1, v56
	v_add_nc_u32_e32 v59, 1, v55
	s_wait_dscnt 0x0
	v_bfe_i32 v60, v53, 0, 8
	s_delay_alu instid0(VALU_DEP_3) | instskip(SKIP_2) | instid1(VALU_DEP_3)
	v_cndmask_b32_e64 v58, v57, v56, s9
	v_bfe_i32 v56, v54, 0, 8
	v_cndmask_b32_e64 v57, v55, v59, s9
                                        ; implicit-def: $vgpr55
	v_cmp_ge_i32_e64 s10, v58, v22
	s_delay_alu instid0(VALU_DEP_3) | instskip(NEXT) | instid1(VALU_DEP_3)
	v_cmp_lt_i16_e64 s11, v56, v60
	v_cmp_lt_i32_e64 s12, v57, v23
	s_or_b32 s10, s10, s11
	s_wait_alu 0xfffe
	s_and_b32 s10, s12, s10
	s_wait_alu 0xfffe
	s_xor_b32 s11, s10, -1
	s_wait_alu 0xfffe
	s_and_saveexec_b32 s12, s11
	s_wait_alu 0xfffe
	s_xor_b32 s11, exec_lo, s12
; %bb.179:                              ;   in Loop: Header=BB68_2 Depth=1
	ds_load_u8 v55, v58 offset:1
; %bb.180:                              ;   in Loop: Header=BB68_2 Depth=1
	s_wait_alu 0xfffe
	s_or_saveexec_b32 s11, s11
	v_mov_b32_e32 v56, v54
	s_wait_alu 0xfffe
	s_xor_b32 exec_lo, exec_lo, s11
	s_cbranch_execz .LBB68_182
; %bb.181:                              ;   in Loop: Header=BB68_2 Depth=1
	ds_load_u8 v56, v57 offset:1
	s_wait_dscnt 0x1
	v_mov_b32_e32 v55, v53
.LBB68_182:                             ;   in Loop: Header=BB68_2 Depth=1
	s_or_b32 exec_lo, exec_lo, s11
	v_add_nc_u32_e32 v59, 1, v58
	v_add_nc_u32_e32 v61, 1, v57
	s_wait_dscnt 0x0
	v_bfe_i32 v62, v55, 0, 8
	s_delay_alu instid0(VALU_DEP_3) | instskip(SKIP_2) | instid1(VALU_DEP_3)
	v_cndmask_b32_e64 v60, v59, v58, s10
	v_bfe_i32 v58, v56, 0, 8
	v_cndmask_b32_e64 v59, v57, v61, s10
                                        ; implicit-def: $vgpr57
	v_cmp_ge_i32_e64 s11, v60, v22
	s_delay_alu instid0(VALU_DEP_3) | instskip(NEXT) | instid1(VALU_DEP_3)
	v_cmp_lt_i16_e64 s12, v58, v62
	v_cmp_lt_i32_e64 s13, v59, v23
	s_or_b32 s11, s11, s12
	s_wait_alu 0xfffe
	s_and_b32 s11, s13, s11
	s_wait_alu 0xfffe
	s_xor_b32 s12, s11, -1
	s_wait_alu 0xfffe
	s_and_saveexec_b32 s13, s12
	s_wait_alu 0xfffe
	s_xor_b32 s12, exec_lo, s13
; %bb.183:                              ;   in Loop: Header=BB68_2 Depth=1
	ds_load_u8 v57, v60 offset:1
; %bb.184:                              ;   in Loop: Header=BB68_2 Depth=1
	s_wait_alu 0xfffe
	s_or_saveexec_b32 s12, s12
	v_mov_b32_e32 v58, v56
	s_wait_alu 0xfffe
	s_xor_b32 exec_lo, exec_lo, s12
	s_cbranch_execz .LBB68_186
; %bb.185:                              ;   in Loop: Header=BB68_2 Depth=1
	ds_load_u8 v58, v59 offset:1
	s_wait_dscnt 0x1
	v_mov_b32_e32 v57, v55
.LBB68_186:                             ;   in Loop: Header=BB68_2 Depth=1
	s_or_b32 exec_lo, exec_lo, s12
	v_add_nc_u32_e32 v61, 1, v60
	v_add_nc_u32_e32 v63, 1, v59
	s_wait_dscnt 0x0
	v_bfe_i32 v64, v57, 0, 8
	s_delay_alu instid0(VALU_DEP_3) | instskip(SKIP_2) | instid1(VALU_DEP_3)
	v_cndmask_b32_e64 v62, v61, v60, s11
	v_bfe_i32 v60, v58, 0, 8
	v_cndmask_b32_e64 v61, v59, v63, s11
                                        ; implicit-def: $vgpr59
	v_cmp_ge_i32_e64 s12, v62, v22
	s_delay_alu instid0(VALU_DEP_3) | instskip(NEXT) | instid1(VALU_DEP_3)
	v_cmp_lt_i16_e64 s13, v60, v64
	v_cmp_lt_i32_e64 s14, v61, v23
	s_or_b32 s12, s12, s13
	s_wait_alu 0xfffe
	s_and_b32 s12, s14, s12
	s_wait_alu 0xfffe
	s_xor_b32 s13, s12, -1
	s_wait_alu 0xfffe
	s_and_saveexec_b32 s14, s13
	s_delay_alu instid0(SALU_CYCLE_1)
	s_xor_b32 s13, exec_lo, s14
; %bb.187:                              ;   in Loop: Header=BB68_2 Depth=1
	ds_load_u8 v59, v62 offset:1
; %bb.188:                              ;   in Loop: Header=BB68_2 Depth=1
	s_wait_alu 0xfffe
	s_or_saveexec_b32 s13, s13
	v_mov_b32_e32 v60, v58
	s_wait_alu 0xfffe
	s_xor_b32 exec_lo, exec_lo, s13
	s_cbranch_execz .LBB68_190
; %bb.189:                              ;   in Loop: Header=BB68_2 Depth=1
	ds_load_u8 v60, v61 offset:1
	s_wait_dscnt 0x1
	v_mov_b32_e32 v59, v57
.LBB68_190:                             ;   in Loop: Header=BB68_2 Depth=1
	s_or_b32 exec_lo, exec_lo, s13
	v_add_nc_u32_e32 v63, 1, v62
	v_add_nc_u32_e32 v64, 1, v61
	s_wait_dscnt 0x0
	v_bfe_i32 v65, v59, 0, 8
	v_bfe_i32 v66, v60, 0, 8
	v_cndmask_b32_e64 v63, v63, v62, s12
	v_cndmask_b32_e64 v62, v61, v64, s12
                                        ; implicit-def: $vgpr61
	s_delay_alu instid0(VALU_DEP_3) | instskip(NEXT) | instid1(VALU_DEP_3)
	v_cmp_lt_i16_e64 s14, v66, v65
	v_cmp_ge_i32_e64 s13, v63, v22
	s_delay_alu instid0(VALU_DEP_3)
	v_cmp_lt_i32_e64 s15, v62, v23
	s_or_b32 s13, s13, s14
	s_wait_alu 0xfffe
	s_and_b32 s13, s15, s13
	s_wait_alu 0xfffe
	s_xor_b32 s14, s13, -1
	s_delay_alu instid0(SALU_CYCLE_1) | instskip(NEXT) | instid1(SALU_CYCLE_1)
	s_and_saveexec_b32 s15, s14
	s_xor_b32 s14, exec_lo, s15
; %bb.191:                              ;   in Loop: Header=BB68_2 Depth=1
	ds_load_u8 v61, v63 offset:1
; %bb.192:                              ;   in Loop: Header=BB68_2 Depth=1
	s_or_saveexec_b32 s14, s14
	v_mov_b32_e32 v64, v60
	s_xor_b32 exec_lo, exec_lo, s14
	s_cbranch_execz .LBB68_194
; %bb.193:                              ;   in Loop: Header=BB68_2 Depth=1
	ds_load_u8 v64, v62 offset:1
	s_wait_dscnt 0x1
	v_mov_b32_e32 v61, v59
.LBB68_194:                             ;   in Loop: Header=BB68_2 Depth=1
	s_or_b32 exec_lo, exec_lo, s14
	v_cndmask_b32_e64 v53, v53, v54, s10
	v_cndmask_b32_e64 v49, v49, v50, s8
	;; [unrolled: 1-line block ×4, first 2 shown]
	v_add_nc_u32_e32 v65, 1, v63
	v_lshlrev_b16 v51, 8, v53
	v_lshlrev_b16 v49, 8, v49
	v_and_b32_e32 v47, 0xff, v47
	v_and_b32_e32 v48, 0xff, v48
	v_cndmask_b32_e64 v59, v59, v60, s13
	v_add_nc_u32_e32 v60, 1, v62
	s_wait_dscnt 0x0
	v_bfe_i32 v66, v61, 0, 8
	v_or_b32_e32 v47, v47, v49
	v_or_b32_e32 v48, v48, v51
	v_bfe_i32 v67, v64, 0, 8
	v_cndmask_b32_e64 v63, v65, v63, s13
	v_cndmask_b32_e64 v57, v57, v58, s12
	v_and_b32_e32 v47, 0xffff, v47
	v_lshlrev_b32_e32 v48, 16, v48
	v_cndmask_b32_e64 v55, v55, v56, s11
	v_cmp_lt_i16_e64 s11, v67, v66
	v_cmp_ge_i32_e64 s12, v63, v22
	v_lshlrev_b16 v52, 8, v57
	v_or_b32_e32 v48, v47, v48
	v_mov_b32_e32 v47, v46
	v_cndmask_b32_e64 v58, v62, v60, s13
	s_or_b32 s7, s12, s11
	v_and_b32_e32 v53, 0xff, v55
	v_and_b32_e32 v54, 0xff, v59
	s_wait_loadcnt 0x0
	v_cmp_lt_i32_e64 s10, v58, v23
	s_barrier_signal -1
	v_or_b32_e32 v49, v53, v52
	s_barrier_wait -1
	global_inv scope:SCOPE_SE
	s_wait_alu 0xfffe
	s_and_b32 s7, s10, s7
	s_wait_alu 0xfffe
	v_cndmask_b32_e64 v50, v61, v64, s7
	v_and_b32_e32 v49, 0xffff, v49
	s_delay_alu instid0(VALU_DEP_2) | instskip(NEXT) | instid1(VALU_DEP_1)
	v_lshlrev_b16 v50, 8, v50
	v_or_b32_e32 v50, v54, v50
	s_delay_alu instid0(VALU_DEP_1) | instskip(NEXT) | instid1(VALU_DEP_1)
	v_lshlrev_b32_e32 v50, 16, v50
	v_or_b32_e32 v49, v49, v50
	ds_store_b64 v1, v[48:49]
	s_wait_loadcnt_dscnt 0x0
	s_barrier_signal -1
	s_barrier_wait -1
	global_inv scope:SCOPE_SE
	s_and_saveexec_b32 s8, s6
	s_cbranch_execz .LBB68_198
; %bb.195:                              ;   in Loop: Header=BB68_2 Depth=1
	v_dual_mov_b32 v47, v46 :: v_dual_mov_b32 v48, v39
	s_mov_b32 s9, 0
.LBB68_196:                             ;   Parent Loop BB68_2 Depth=1
                                        ; =>  This Inner Loop Header: Depth=2
	s_delay_alu instid0(VALU_DEP_1) | instskip(NEXT) | instid1(VALU_DEP_1)
	v_sub_nc_u32_e32 v49, v48, v47
	v_lshrrev_b32_e32 v49, 1, v49
	s_delay_alu instid0(VALU_DEP_1) | instskip(NEXT) | instid1(VALU_DEP_1)
	v_add_nc_u32_e32 v49, v49, v47
	v_add_nc_u32_e32 v50, v8, v49
	v_xad_u32 v51, v49, -1, v32
	v_add_nc_u32_e32 v52, 1, v49
	ds_load_i8 v50, v50
	ds_load_i8 v51, v51
	s_wait_dscnt 0x0
	v_cmp_lt_i16_e64 s7, v51, v50
	s_wait_alu 0xf1ff
	s_delay_alu instid0(VALU_DEP_1) | instskip(SKIP_1) | instid1(VALU_DEP_1)
	v_cndmask_b32_e64 v48, v48, v49, s7
	v_cndmask_b32_e64 v47, v52, v47, s7
	v_cmp_ge_i32_e64 s7, v47, v48
	s_wait_alu 0xfffe
	s_or_b32 s9, s7, s9
	s_wait_alu 0xfffe
	s_and_not1_b32 exec_lo, exec_lo, s9
	s_cbranch_execnz .LBB68_196
; %bb.197:                              ;   in Loop: Header=BB68_2 Depth=1
	s_or_b32 exec_lo, exec_lo, s9
.LBB68_198:                             ;   in Loop: Header=BB68_2 Depth=1
	s_wait_alu 0xfffe
	s_or_b32 exec_lo, exec_lo, s8
	v_add_nc_u32_e32 v52, v47, v8
	v_sub_nc_u32_e32 v51, v32, v47
                                        ; implicit-def: $vgpr49
	ds_load_u8 v47, v52
	ds_load_u8 v48, v51
	v_cmp_le_i32_e64 s7, v24, v52
	v_cmp_gt_i32_e64 s9, v25, v51
	s_wait_dscnt 0x1
	v_bfe_i32 v47, v47, 0, 8
	s_wait_dscnt 0x0
	v_bfe_i32 v48, v48, 0, 8
	s_delay_alu instid0(VALU_DEP_1)
	v_cmp_lt_i16_e64 s8, v48, v47
	s_or_b32 s7, s7, s8
	s_wait_alu 0xfffe
	s_and_b32 s7, s9, s7
	s_wait_alu 0xfffe
	s_xor_b32 s8, s7, -1
	s_wait_alu 0xfffe
	s_and_saveexec_b32 s9, s8
	s_wait_alu 0xfffe
	s_xor_b32 s8, exec_lo, s9
; %bb.199:                              ;   in Loop: Header=BB68_2 Depth=1
	ds_load_u8 v49, v52 offset:1
; %bb.200:                              ;   in Loop: Header=BB68_2 Depth=1
	s_wait_alu 0xfffe
	s_or_saveexec_b32 s8, s8
	v_mov_b32_e32 v50, v48
	s_wait_alu 0xfffe
	s_xor_b32 exec_lo, exec_lo, s8
	s_cbranch_execz .LBB68_202
; %bb.201:                              ;   in Loop: Header=BB68_2 Depth=1
	ds_load_u8 v50, v51 offset:1
	s_wait_dscnt 0x1
	v_mov_b32_e32 v49, v47
.LBB68_202:                             ;   in Loop: Header=BB68_2 Depth=1
	s_or_b32 exec_lo, exec_lo, s8
	v_add_nc_u32_e32 v53, 1, v52
	v_add_nc_u32_e32 v55, 1, v51
	s_wait_dscnt 0x0
	v_bfe_i32 v56, v49, 0, 8
	s_delay_alu instid0(VALU_DEP_3) | instskip(SKIP_2) | instid1(VALU_DEP_3)
	v_cndmask_b32_e64 v54, v53, v52, s7
	v_bfe_i32 v52, v50, 0, 8
	v_cndmask_b32_e64 v53, v51, v55, s7
                                        ; implicit-def: $vgpr51
	v_cmp_ge_i32_e64 s8, v54, v24
	s_delay_alu instid0(VALU_DEP_3) | instskip(NEXT) | instid1(VALU_DEP_3)
	v_cmp_lt_i16_e64 s9, v52, v56
	v_cmp_lt_i32_e64 s10, v53, v25
	s_or_b32 s8, s8, s9
	s_wait_alu 0xfffe
	s_and_b32 s8, s10, s8
	s_wait_alu 0xfffe
	s_xor_b32 s9, s8, -1
	s_wait_alu 0xfffe
	s_and_saveexec_b32 s10, s9
	s_wait_alu 0xfffe
	s_xor_b32 s9, exec_lo, s10
; %bb.203:                              ;   in Loop: Header=BB68_2 Depth=1
	ds_load_u8 v51, v54 offset:1
; %bb.204:                              ;   in Loop: Header=BB68_2 Depth=1
	s_wait_alu 0xfffe
	s_or_saveexec_b32 s9, s9
	v_mov_b32_e32 v52, v50
	s_wait_alu 0xfffe
	s_xor_b32 exec_lo, exec_lo, s9
	s_cbranch_execz .LBB68_206
; %bb.205:                              ;   in Loop: Header=BB68_2 Depth=1
	ds_load_u8 v52, v53 offset:1
	s_wait_dscnt 0x1
	v_mov_b32_e32 v51, v49
.LBB68_206:                             ;   in Loop: Header=BB68_2 Depth=1
	s_or_b32 exec_lo, exec_lo, s9
	v_add_nc_u32_e32 v55, 1, v54
	v_add_nc_u32_e32 v57, 1, v53
	s_wait_dscnt 0x0
	v_bfe_i32 v58, v51, 0, 8
	s_delay_alu instid0(VALU_DEP_3) | instskip(SKIP_2) | instid1(VALU_DEP_3)
	v_cndmask_b32_e64 v56, v55, v54, s8
	v_bfe_i32 v54, v52, 0, 8
	v_cndmask_b32_e64 v55, v53, v57, s8
                                        ; implicit-def: $vgpr53
	v_cmp_ge_i32_e64 s9, v56, v24
	s_delay_alu instid0(VALU_DEP_3) | instskip(NEXT) | instid1(VALU_DEP_3)
	v_cmp_lt_i16_e64 s10, v54, v58
	v_cmp_lt_i32_e64 s11, v55, v25
	s_or_b32 s9, s9, s10
	s_wait_alu 0xfffe
	s_and_b32 s9, s11, s9
	s_wait_alu 0xfffe
	s_xor_b32 s10, s9, -1
	s_wait_alu 0xfffe
	s_and_saveexec_b32 s11, s10
	s_wait_alu 0xfffe
	s_xor_b32 s10, exec_lo, s11
; %bb.207:                              ;   in Loop: Header=BB68_2 Depth=1
	ds_load_u8 v53, v56 offset:1
; %bb.208:                              ;   in Loop: Header=BB68_2 Depth=1
	s_wait_alu 0xfffe
	s_or_saveexec_b32 s10, s10
	v_mov_b32_e32 v54, v52
	s_wait_alu 0xfffe
	s_xor_b32 exec_lo, exec_lo, s10
	s_cbranch_execz .LBB68_210
; %bb.209:                              ;   in Loop: Header=BB68_2 Depth=1
	ds_load_u8 v54, v55 offset:1
	s_wait_dscnt 0x1
	v_mov_b32_e32 v53, v51
.LBB68_210:                             ;   in Loop: Header=BB68_2 Depth=1
	s_or_b32 exec_lo, exec_lo, s10
	v_add_nc_u32_e32 v57, 1, v56
	v_add_nc_u32_e32 v59, 1, v55
	s_wait_dscnt 0x0
	v_bfe_i32 v60, v53, 0, 8
	s_delay_alu instid0(VALU_DEP_3) | instskip(SKIP_2) | instid1(VALU_DEP_3)
	v_cndmask_b32_e64 v58, v57, v56, s9
	v_bfe_i32 v56, v54, 0, 8
	v_cndmask_b32_e64 v57, v55, v59, s9
                                        ; implicit-def: $vgpr55
	v_cmp_ge_i32_e64 s10, v58, v24
	s_delay_alu instid0(VALU_DEP_3) | instskip(NEXT) | instid1(VALU_DEP_3)
	v_cmp_lt_i16_e64 s11, v56, v60
	v_cmp_lt_i32_e64 s12, v57, v25
	s_or_b32 s10, s10, s11
	s_wait_alu 0xfffe
	s_and_b32 s10, s12, s10
	s_wait_alu 0xfffe
	s_xor_b32 s11, s10, -1
	s_wait_alu 0xfffe
	s_and_saveexec_b32 s12, s11
	s_wait_alu 0xfffe
	s_xor_b32 s11, exec_lo, s12
; %bb.211:                              ;   in Loop: Header=BB68_2 Depth=1
	ds_load_u8 v55, v58 offset:1
; %bb.212:                              ;   in Loop: Header=BB68_2 Depth=1
	s_wait_alu 0xfffe
	s_or_saveexec_b32 s11, s11
	v_mov_b32_e32 v56, v54
	s_wait_alu 0xfffe
	s_xor_b32 exec_lo, exec_lo, s11
	s_cbranch_execz .LBB68_214
; %bb.213:                              ;   in Loop: Header=BB68_2 Depth=1
	ds_load_u8 v56, v57 offset:1
	s_wait_dscnt 0x1
	v_mov_b32_e32 v55, v53
.LBB68_214:                             ;   in Loop: Header=BB68_2 Depth=1
	s_or_b32 exec_lo, exec_lo, s11
	v_add_nc_u32_e32 v59, 1, v58
	v_add_nc_u32_e32 v61, 1, v57
	s_wait_dscnt 0x0
	v_bfe_i32 v62, v55, 0, 8
	s_delay_alu instid0(VALU_DEP_3) | instskip(SKIP_2) | instid1(VALU_DEP_3)
	v_cndmask_b32_e64 v60, v59, v58, s10
	v_bfe_i32 v58, v56, 0, 8
	v_cndmask_b32_e64 v59, v57, v61, s10
                                        ; implicit-def: $vgpr57
	v_cmp_ge_i32_e64 s11, v60, v24
	s_delay_alu instid0(VALU_DEP_3) | instskip(NEXT) | instid1(VALU_DEP_3)
	v_cmp_lt_i16_e64 s12, v58, v62
	v_cmp_lt_i32_e64 s13, v59, v25
	s_or_b32 s11, s11, s12
	s_wait_alu 0xfffe
	s_and_b32 s11, s13, s11
	s_wait_alu 0xfffe
	s_xor_b32 s12, s11, -1
	s_wait_alu 0xfffe
	s_and_saveexec_b32 s13, s12
	s_wait_alu 0xfffe
	s_xor_b32 s12, exec_lo, s13
; %bb.215:                              ;   in Loop: Header=BB68_2 Depth=1
	ds_load_u8 v57, v60 offset:1
; %bb.216:                              ;   in Loop: Header=BB68_2 Depth=1
	s_wait_alu 0xfffe
	s_or_saveexec_b32 s12, s12
	v_mov_b32_e32 v58, v56
	s_wait_alu 0xfffe
	s_xor_b32 exec_lo, exec_lo, s12
	s_cbranch_execz .LBB68_218
; %bb.217:                              ;   in Loop: Header=BB68_2 Depth=1
	ds_load_u8 v58, v59 offset:1
	s_wait_dscnt 0x1
	v_mov_b32_e32 v57, v55
.LBB68_218:                             ;   in Loop: Header=BB68_2 Depth=1
	s_or_b32 exec_lo, exec_lo, s12
	v_add_nc_u32_e32 v61, 1, v60
	v_add_nc_u32_e32 v63, 1, v59
	s_wait_dscnt 0x0
	v_bfe_i32 v64, v57, 0, 8
	s_delay_alu instid0(VALU_DEP_3) | instskip(SKIP_2) | instid1(VALU_DEP_3)
	v_cndmask_b32_e64 v62, v61, v60, s11
	v_bfe_i32 v60, v58, 0, 8
	v_cndmask_b32_e64 v61, v59, v63, s11
                                        ; implicit-def: $vgpr59
	v_cmp_ge_i32_e64 s12, v62, v24
	s_delay_alu instid0(VALU_DEP_3) | instskip(NEXT) | instid1(VALU_DEP_3)
	v_cmp_lt_i16_e64 s13, v60, v64
	v_cmp_lt_i32_e64 s14, v61, v25
	s_or_b32 s12, s12, s13
	s_wait_alu 0xfffe
	s_and_b32 s12, s14, s12
	s_wait_alu 0xfffe
	s_xor_b32 s13, s12, -1
	s_wait_alu 0xfffe
	s_and_saveexec_b32 s14, s13
	s_delay_alu instid0(SALU_CYCLE_1)
	s_xor_b32 s13, exec_lo, s14
; %bb.219:                              ;   in Loop: Header=BB68_2 Depth=1
	ds_load_u8 v59, v62 offset:1
; %bb.220:                              ;   in Loop: Header=BB68_2 Depth=1
	s_wait_alu 0xfffe
	s_or_saveexec_b32 s13, s13
	v_mov_b32_e32 v60, v58
	s_wait_alu 0xfffe
	s_xor_b32 exec_lo, exec_lo, s13
	s_cbranch_execz .LBB68_222
; %bb.221:                              ;   in Loop: Header=BB68_2 Depth=1
	ds_load_u8 v60, v61 offset:1
	s_wait_dscnt 0x1
	v_mov_b32_e32 v59, v57
.LBB68_222:                             ;   in Loop: Header=BB68_2 Depth=1
	s_or_b32 exec_lo, exec_lo, s13
	v_add_nc_u32_e32 v63, 1, v62
	v_add_nc_u32_e32 v64, 1, v61
	s_wait_dscnt 0x0
	v_bfe_i32 v65, v59, 0, 8
	v_bfe_i32 v66, v60, 0, 8
	v_cndmask_b32_e64 v63, v63, v62, s12
	v_cndmask_b32_e64 v62, v61, v64, s12
                                        ; implicit-def: $vgpr61
	s_delay_alu instid0(VALU_DEP_3) | instskip(NEXT) | instid1(VALU_DEP_3)
	v_cmp_lt_i16_e64 s14, v66, v65
	v_cmp_ge_i32_e64 s13, v63, v24
	s_delay_alu instid0(VALU_DEP_3)
	v_cmp_lt_i32_e64 s15, v62, v25
	s_or_b32 s13, s13, s14
	s_wait_alu 0xfffe
	s_and_b32 s13, s15, s13
	s_wait_alu 0xfffe
	s_xor_b32 s14, s13, -1
	s_delay_alu instid0(SALU_CYCLE_1) | instskip(NEXT) | instid1(SALU_CYCLE_1)
	s_and_saveexec_b32 s15, s14
	s_xor_b32 s14, exec_lo, s15
; %bb.223:                              ;   in Loop: Header=BB68_2 Depth=1
	ds_load_u8 v61, v63 offset:1
; %bb.224:                              ;   in Loop: Header=BB68_2 Depth=1
	s_or_saveexec_b32 s14, s14
	v_mov_b32_e32 v64, v60
	s_xor_b32 exec_lo, exec_lo, s14
	s_cbranch_execz .LBB68_226
; %bb.225:                              ;   in Loop: Header=BB68_2 Depth=1
	ds_load_u8 v64, v62 offset:1
	s_wait_dscnt 0x1
	v_mov_b32_e32 v61, v59
.LBB68_226:                             ;   in Loop: Header=BB68_2 Depth=1
	s_or_b32 exec_lo, exec_lo, s14
	v_cndmask_b32_e64 v53, v53, v54, s10
	v_cndmask_b32_e64 v47, v47, v48, s7
	;; [unrolled: 1-line block ×3, first 2 shown]
	v_add_nc_u32_e32 v65, 1, v63
	v_cndmask_b32_e64 v59, v59, v60, s13
	v_add_nc_u32_e32 v60, 1, v62
	v_lshlrev_b16 v51, 8, v53
	v_and_b32_e32 v48, 0xff, v48
	s_wait_dscnt 0x0
	v_bfe_i32 v66, v61, 0, 8
	v_bfe_i32 v67, v64, 0, 8
	v_cndmask_b32_e64 v63, v65, v63, s13
	v_cndmask_b32_e64 v57, v57, v58, s12
	v_or_b32_e32 v48, v48, v51
	v_mov_b32_e32 v51, v9
	v_cndmask_b32_e64 v58, v62, v60, s13
	v_cndmask_b32_e64 v55, v55, v56, s11
	v_cmp_lt_i16_e64 s11, v67, v66
	v_cmp_ge_i32_e64 s12, v63, v24
	v_cndmask_b32_e64 v49, v49, v50, s8
	v_cmp_lt_i32_e64 s10, v58, v25
	v_and_b32_e32 v47, 0xff, v47
	v_lshlrev_b16 v52, 8, v57
	s_or_b32 s7, s12, s11
	v_lshlrev_b16 v49, 8, v49
	s_wait_alu 0xfffe
	s_and_b32 s7, s10, s7
	v_and_b32_e32 v53, 0xff, v55
	s_wait_alu 0xfffe
	v_cndmask_b32_e64 v50, v61, v64, s7
	v_and_b32_e32 v54, 0xff, v59
	v_or_b32_e32 v47, v47, v49
	v_lshlrev_b32_e32 v48, 16, v48
	v_or_b32_e32 v49, v53, v52
	v_lshlrev_b16 v50, 8, v50
	s_wait_loadcnt 0x0
	v_and_b32_e32 v47, 0xffff, v47
	s_barrier_signal -1
	v_and_b32_e32 v49, 0xffff, v49
	v_or_b32_e32 v50, v54, v50
	s_barrier_wait -1
	v_or_b32_e32 v47, v47, v48
	global_inv scope:SCOPE_SE
	v_lshlrev_b32_e32 v50, 16, v50
	s_delay_alu instid0(VALU_DEP_1)
	v_or_b32_e32 v48, v49, v50
	ds_store_b64 v1, v[47:48]
	s_wait_loadcnt_dscnt 0x0
	s_barrier_signal -1
	s_barrier_wait -1
	global_inv scope:SCOPE_SE
	s_and_saveexec_b32 s8, vcc_lo
	s_cbranch_execz .LBB68_230
; %bb.227:                              ;   in Loop: Header=BB68_2 Depth=1
	v_mov_b32_e32 v51, v9
	v_mov_b32_e32 v47, v10
	s_mov_b32 s9, 0
.LBB68_228:                             ;   Parent Loop BB68_2 Depth=1
                                        ; =>  This Inner Loop Header: Depth=2
	s_delay_alu instid0(VALU_DEP_1) | instskip(NEXT) | instid1(VALU_DEP_1)
	v_sub_nc_u32_e32 v48, v47, v51
	v_lshrrev_b32_e32 v48, 1, v48
	s_delay_alu instid0(VALU_DEP_1) | instskip(NEXT) | instid1(VALU_DEP_1)
	v_add_nc_u32_e32 v48, v48, v51
	v_xad_u32 v49, v48, -1, v11
	v_add_nc_u32_e32 v52, 1, v48
	ds_load_i8 v50, v48
	ds_load_i8 v49, v49
	s_wait_dscnt 0x0
	v_cmp_lt_i16_e64 s7, v49, v50
	s_wait_alu 0xf1ff
	s_delay_alu instid0(VALU_DEP_1) | instskip(SKIP_1) | instid1(VALU_DEP_1)
	v_cndmask_b32_e64 v47, v47, v48, s7
	v_cndmask_b32_e64 v51, v52, v51, s7
	v_cmp_ge_i32_e64 s7, v51, v47
	s_wait_alu 0xfffe
	s_or_b32 s9, s7, s9
	s_wait_alu 0xfffe
	s_and_not1_b32 exec_lo, exec_lo, s9
	s_cbranch_execnz .LBB68_228
; %bb.229:                              ;   in Loop: Header=BB68_2 Depth=1
	s_or_b32 exec_lo, exec_lo, s9
.LBB68_230:                             ;   in Loop: Header=BB68_2 Depth=1
	s_wait_alu 0xfffe
	s_or_b32 exec_lo, exec_lo, s8
	v_sub_nc_u32_e32 v52, v11, v51
	v_cmp_le_i32_e64 s7, 0x400, v51
                                        ; implicit-def: $vgpr49
	ds_load_u8 v47, v51
	ds_load_u8 v48, v52
	v_cmp_gt_i32_e64 s9, 0x800, v52
	s_wait_dscnt 0x1
	v_bfe_i32 v47, v47, 0, 8
	s_wait_dscnt 0x0
	v_bfe_i32 v48, v48, 0, 8
	s_delay_alu instid0(VALU_DEP_1)
	v_cmp_lt_i16_e64 s8, v48, v47
	s_or_b32 s7, s7, s8
	s_wait_alu 0xfffe
	s_and_b32 s7, s9, s7
	s_wait_alu 0xfffe
	s_xor_b32 s8, s7, -1
	s_wait_alu 0xfffe
	s_and_saveexec_b32 s9, s8
	s_wait_alu 0xfffe
	s_xor_b32 s8, exec_lo, s9
; %bb.231:                              ;   in Loop: Header=BB68_2 Depth=1
	ds_load_u8 v49, v51 offset:1
; %bb.232:                              ;   in Loop: Header=BB68_2 Depth=1
	s_wait_alu 0xfffe
	s_or_saveexec_b32 s8, s8
	v_mov_b32_e32 v50, v48
	s_wait_alu 0xfffe
	s_xor_b32 exec_lo, exec_lo, s8
	s_cbranch_execz .LBB68_234
; %bb.233:                              ;   in Loop: Header=BB68_2 Depth=1
	ds_load_u8 v50, v52 offset:1
	s_wait_dscnt 0x1
	v_mov_b32_e32 v49, v47
.LBB68_234:                             ;   in Loop: Header=BB68_2 Depth=1
	s_or_b32 exec_lo, exec_lo, s8
	v_add_nc_u32_e32 v53, 1, v51
	v_add_nc_u32_e32 v55, 1, v52
	s_wait_dscnt 0x0
	v_bfe_i32 v56, v49, 0, 8
	s_delay_alu instid0(VALU_DEP_3) | instskip(SKIP_2) | instid1(VALU_DEP_3)
	v_cndmask_b32_e64 v54, v53, v51, s7
	v_bfe_i32 v51, v50, 0, 8
	v_cndmask_b32_e64 v53, v52, v55, s7
	v_cmp_le_i32_e64 s8, 0x400, v54
	s_delay_alu instid0(VALU_DEP_3) | instskip(NEXT) | instid1(VALU_DEP_3)
	v_cmp_lt_i16_e64 s9, v51, v56
	v_cmp_gt_i32_e64 s10, 0x800, v53
                                        ; implicit-def: $vgpr51
	s_or_b32 s8, s8, s9
	s_wait_alu 0xfffe
	s_and_b32 s8, s10, s8
	s_wait_alu 0xfffe
	s_xor_b32 s9, s8, -1
	s_wait_alu 0xfffe
	s_and_saveexec_b32 s10, s9
	s_wait_alu 0xfffe
	s_xor_b32 s9, exec_lo, s10
; %bb.235:                              ;   in Loop: Header=BB68_2 Depth=1
	ds_load_u8 v51, v54 offset:1
; %bb.236:                              ;   in Loop: Header=BB68_2 Depth=1
	s_wait_alu 0xfffe
	s_or_saveexec_b32 s9, s9
	v_mov_b32_e32 v52, v50
	s_wait_alu 0xfffe
	s_xor_b32 exec_lo, exec_lo, s9
	s_cbranch_execz .LBB68_238
; %bb.237:                              ;   in Loop: Header=BB68_2 Depth=1
	ds_load_u8 v52, v53 offset:1
	s_wait_dscnt 0x1
	v_mov_b32_e32 v51, v49
.LBB68_238:                             ;   in Loop: Header=BB68_2 Depth=1
	s_or_b32 exec_lo, exec_lo, s9
	v_add_nc_u32_e32 v55, 1, v54
	v_add_nc_u32_e32 v57, 1, v53
	s_wait_dscnt 0x0
	v_bfe_i32 v58, v51, 0, 8
	s_delay_alu instid0(VALU_DEP_3) | instskip(SKIP_2) | instid1(VALU_DEP_3)
	v_cndmask_b32_e64 v56, v55, v54, s8
	v_bfe_i32 v54, v52, 0, 8
	v_cndmask_b32_e64 v55, v53, v57, s8
                                        ; implicit-def: $vgpr53
	v_cmp_le_i32_e64 s9, 0x400, v56
	s_delay_alu instid0(VALU_DEP_3) | instskip(NEXT) | instid1(VALU_DEP_3)
	v_cmp_lt_i16_e64 s10, v54, v58
	v_cmp_gt_i32_e64 s11, 0x800, v55
	s_or_b32 s9, s9, s10
	s_wait_alu 0xfffe
	s_and_b32 s9, s11, s9
	s_wait_alu 0xfffe
	s_xor_b32 s10, s9, -1
	s_wait_alu 0xfffe
	s_and_saveexec_b32 s11, s10
	s_wait_alu 0xfffe
	s_xor_b32 s10, exec_lo, s11
; %bb.239:                              ;   in Loop: Header=BB68_2 Depth=1
	ds_load_u8 v53, v56 offset:1
; %bb.240:                              ;   in Loop: Header=BB68_2 Depth=1
	s_wait_alu 0xfffe
	s_or_saveexec_b32 s10, s10
	v_mov_b32_e32 v54, v52
	s_wait_alu 0xfffe
	s_xor_b32 exec_lo, exec_lo, s10
	s_cbranch_execz .LBB68_242
; %bb.241:                              ;   in Loop: Header=BB68_2 Depth=1
	ds_load_u8 v54, v55 offset:1
	s_wait_dscnt 0x1
	v_mov_b32_e32 v53, v51
.LBB68_242:                             ;   in Loop: Header=BB68_2 Depth=1
	s_or_b32 exec_lo, exec_lo, s10
	v_add_nc_u32_e32 v57, 1, v56
	v_add_nc_u32_e32 v59, 1, v55
	s_wait_dscnt 0x0
	v_bfe_i32 v60, v53, 0, 8
	s_delay_alu instid0(VALU_DEP_3) | instskip(SKIP_2) | instid1(VALU_DEP_3)
	v_cndmask_b32_e64 v58, v57, v56, s9
	v_bfe_i32 v56, v54, 0, 8
	v_cndmask_b32_e64 v57, v55, v59, s9
                                        ; implicit-def: $vgpr55
	v_cmp_le_i32_e64 s10, 0x400, v58
	s_delay_alu instid0(VALU_DEP_3) | instskip(NEXT) | instid1(VALU_DEP_3)
	v_cmp_lt_i16_e64 s11, v56, v60
	v_cmp_gt_i32_e64 s12, 0x800, v57
	s_or_b32 s10, s10, s11
	s_wait_alu 0xfffe
	s_and_b32 s10, s12, s10
	s_wait_alu 0xfffe
	s_xor_b32 s11, s10, -1
	s_wait_alu 0xfffe
	s_and_saveexec_b32 s12, s11
	s_wait_alu 0xfffe
	s_xor_b32 s11, exec_lo, s12
; %bb.243:                              ;   in Loop: Header=BB68_2 Depth=1
	ds_load_u8 v55, v58 offset:1
; %bb.244:                              ;   in Loop: Header=BB68_2 Depth=1
	s_wait_alu 0xfffe
	s_or_saveexec_b32 s11, s11
	v_mov_b32_e32 v56, v54
	s_wait_alu 0xfffe
	s_xor_b32 exec_lo, exec_lo, s11
	s_cbranch_execz .LBB68_246
; %bb.245:                              ;   in Loop: Header=BB68_2 Depth=1
	ds_load_u8 v56, v57 offset:1
	s_wait_dscnt 0x1
	v_mov_b32_e32 v55, v53
.LBB68_246:                             ;   in Loop: Header=BB68_2 Depth=1
	s_or_b32 exec_lo, exec_lo, s11
	v_add_nc_u32_e32 v59, 1, v58
	v_add_nc_u32_e32 v61, 1, v57
	s_wait_dscnt 0x0
	v_bfe_i32 v62, v55, 0, 8
	s_delay_alu instid0(VALU_DEP_3) | instskip(SKIP_2) | instid1(VALU_DEP_3)
	v_cndmask_b32_e64 v60, v59, v58, s10
	v_bfe_i32 v58, v56, 0, 8
	v_cndmask_b32_e64 v59, v57, v61, s10
                                        ; implicit-def: $vgpr57
	v_cmp_le_i32_e64 s11, 0x400, v60
	s_delay_alu instid0(VALU_DEP_3) | instskip(NEXT) | instid1(VALU_DEP_3)
	v_cmp_lt_i16_e64 s12, v58, v62
	v_cmp_gt_i32_e64 s13, 0x800, v59
	s_or_b32 s11, s11, s12
	s_wait_alu 0xfffe
	s_and_b32 s11, s13, s11
	s_wait_alu 0xfffe
	s_xor_b32 s12, s11, -1
	s_wait_alu 0xfffe
	s_and_saveexec_b32 s13, s12
	s_wait_alu 0xfffe
	s_xor_b32 s12, exec_lo, s13
; %bb.247:                              ;   in Loop: Header=BB68_2 Depth=1
	ds_load_u8 v57, v60 offset:1
; %bb.248:                              ;   in Loop: Header=BB68_2 Depth=1
	s_wait_alu 0xfffe
	s_or_saveexec_b32 s12, s12
	v_mov_b32_e32 v58, v56
	s_wait_alu 0xfffe
	s_xor_b32 exec_lo, exec_lo, s12
	s_cbranch_execz .LBB68_250
; %bb.249:                              ;   in Loop: Header=BB68_2 Depth=1
	ds_load_u8 v58, v59 offset:1
	s_wait_dscnt 0x1
	v_mov_b32_e32 v57, v55
.LBB68_250:                             ;   in Loop: Header=BB68_2 Depth=1
	s_or_b32 exec_lo, exec_lo, s12
	v_add_nc_u32_e32 v61, 1, v60
	v_add_nc_u32_e32 v63, 1, v59
	s_wait_dscnt 0x0
	v_bfe_i32 v64, v57, 0, 8
	s_delay_alu instid0(VALU_DEP_3) | instskip(SKIP_2) | instid1(VALU_DEP_3)
	v_cndmask_b32_e64 v62, v61, v60, s11
	v_bfe_i32 v60, v58, 0, 8
	v_cndmask_b32_e64 v61, v59, v63, s11
                                        ; implicit-def: $vgpr59
	v_cmp_le_i32_e64 s12, 0x400, v62
	s_delay_alu instid0(VALU_DEP_3) | instskip(NEXT) | instid1(VALU_DEP_3)
	v_cmp_lt_i16_e64 s13, v60, v64
	v_cmp_gt_i32_e64 s14, 0x800, v61
	s_or_b32 s12, s12, s13
	s_wait_alu 0xfffe
	s_and_b32 s12, s14, s12
	s_wait_alu 0xfffe
	s_xor_b32 s13, s12, -1
	s_wait_alu 0xfffe
	s_and_saveexec_b32 s14, s13
	s_delay_alu instid0(SALU_CYCLE_1)
	s_xor_b32 s13, exec_lo, s14
; %bb.251:                              ;   in Loop: Header=BB68_2 Depth=1
	ds_load_u8 v59, v62 offset:1
; %bb.252:                              ;   in Loop: Header=BB68_2 Depth=1
	s_wait_alu 0xfffe
	s_or_saveexec_b32 s13, s13
	v_mov_b32_e32 v60, v58
	s_wait_alu 0xfffe
	s_xor_b32 exec_lo, exec_lo, s13
	s_cbranch_execz .LBB68_254
; %bb.253:                              ;   in Loop: Header=BB68_2 Depth=1
	ds_load_u8 v60, v61 offset:1
	s_wait_dscnt 0x1
	v_mov_b32_e32 v59, v57
.LBB68_254:                             ;   in Loop: Header=BB68_2 Depth=1
	s_or_b32 exec_lo, exec_lo, s13
	v_add_nc_u32_e32 v63, 1, v62
	v_add_nc_u32_e32 v64, 1, v61
	s_wait_dscnt 0x0
	v_bfe_i32 v66, v59, 0, 8
	s_delay_alu instid0(VALU_DEP_3) | instskip(SKIP_2) | instid1(VALU_DEP_3)
	v_cndmask_b32_e64 v65, v63, v62, s12
	v_bfe_i32 v62, v60, 0, 8
	v_cndmask_b32_e64 v61, v61, v64, s12
                                        ; implicit-def: $vgpr63
	v_cmp_le_i32_e64 s13, 0x400, v65
	s_delay_alu instid0(VALU_DEP_3) | instskip(NEXT) | instid1(VALU_DEP_3)
	v_cmp_lt_i16_e64 s14, v62, v66
	v_cmp_gt_i32_e64 s15, 0x800, v61
                                        ; implicit-def: $vgpr62
	s_or_b32 s13, s13, s14
	s_wait_alu 0xfffe
	s_and_b32 s13, s15, s13
	s_wait_alu 0xfffe
	s_xor_b32 s14, s13, -1
	s_delay_alu instid0(SALU_CYCLE_1) | instskip(NEXT) | instid1(SALU_CYCLE_1)
	s_and_saveexec_b32 s15, s14
	s_xor_b32 s14, exec_lo, s15
; %bb.255:                              ;   in Loop: Header=BB68_2 Depth=1
	ds_load_u8 v62, v65 offset:1
	v_add_nc_u32_e32 v63, 1, v65
                                        ; implicit-def: $vgpr65
; %bb.256:                              ;   in Loop: Header=BB68_2 Depth=1
	s_or_saveexec_b32 s14, s14
	v_mov_b32_e32 v64, v60
	s_xor_b32 exec_lo, exec_lo, s14
	s_cbranch_execz .LBB68_1
; %bb.257:                              ;   in Loop: Header=BB68_2 Depth=1
	ds_load_u8 v64, v61 offset:1
	s_wait_dscnt 0x1
	v_dual_mov_b32 v62, v59 :: v_dual_add_nc_u32 v61, 1, v61
	v_mov_b32_e32 v63, v65
	s_branch .LBB68_1
.LBB68_258:
	s_add_nc_u64 s[0:1], s[18:19], s[20:21]
	s_wait_alu 0xfffe
	v_add_co_u32 v0, s0, s0, v0
	s_wait_alu 0xf1ff
	v_add_co_ci_u32_e64 v1, null, s1, 0, s0
	s_clause 0x7
	global_store_b8 v[0:1], v48, off
	global_store_b8 v[0:1], v49, off offset:256
	global_store_b8 v[0:1], v50, off offset:512
	;; [unrolled: 1-line block ×7, first 2 shown]
	s_endpgm
	.section	.rodata,"a",@progbits
	.p2align	6, 0x0
	.amdhsa_kernel _Z16sort_keys_kernelIaLj256ELj8EN10test_utils4lessELj10EEvPKT_PS2_T2_
		.amdhsa_group_segment_fixed_size 2049
		.amdhsa_private_segment_fixed_size 0
		.amdhsa_kernarg_size 20
		.amdhsa_user_sgpr_count 2
		.amdhsa_user_sgpr_dispatch_ptr 0
		.amdhsa_user_sgpr_queue_ptr 0
		.amdhsa_user_sgpr_kernarg_segment_ptr 1
		.amdhsa_user_sgpr_dispatch_id 0
		.amdhsa_user_sgpr_private_segment_size 0
		.amdhsa_wavefront_size32 1
		.amdhsa_uses_dynamic_stack 0
		.amdhsa_enable_private_segment 0
		.amdhsa_system_sgpr_workgroup_id_x 1
		.amdhsa_system_sgpr_workgroup_id_y 0
		.amdhsa_system_sgpr_workgroup_id_z 0
		.amdhsa_system_sgpr_workgroup_info 0
		.amdhsa_system_vgpr_workitem_id 0
		.amdhsa_next_free_vgpr 73
		.amdhsa_next_free_sgpr 22
		.amdhsa_reserve_vcc 1
		.amdhsa_float_round_mode_32 0
		.amdhsa_float_round_mode_16_64 0
		.amdhsa_float_denorm_mode_32 3
		.amdhsa_float_denorm_mode_16_64 3
		.amdhsa_fp16_overflow 0
		.amdhsa_workgroup_processor_mode 1
		.amdhsa_memory_ordered 1
		.amdhsa_forward_progress 1
		.amdhsa_inst_pref_size 127
		.amdhsa_round_robin_scheduling 0
		.amdhsa_exception_fp_ieee_invalid_op 0
		.amdhsa_exception_fp_denorm_src 0
		.amdhsa_exception_fp_ieee_div_zero 0
		.amdhsa_exception_fp_ieee_overflow 0
		.amdhsa_exception_fp_ieee_underflow 0
		.amdhsa_exception_fp_ieee_inexact 0
		.amdhsa_exception_int_div_zero 0
	.end_amdhsa_kernel
	.section	.text._Z16sort_keys_kernelIaLj256ELj8EN10test_utils4lessELj10EEvPKT_PS2_T2_,"axG",@progbits,_Z16sort_keys_kernelIaLj256ELj8EN10test_utils4lessELj10EEvPKT_PS2_T2_,comdat
.Lfunc_end68:
	.size	_Z16sort_keys_kernelIaLj256ELj8EN10test_utils4lessELj10EEvPKT_PS2_T2_, .Lfunc_end68-_Z16sort_keys_kernelIaLj256ELj8EN10test_utils4lessELj10EEvPKT_PS2_T2_
                                        ; -- End function
	.set _Z16sort_keys_kernelIaLj256ELj8EN10test_utils4lessELj10EEvPKT_PS2_T2_.num_vgpr, 73
	.set _Z16sort_keys_kernelIaLj256ELj8EN10test_utils4lessELj10EEvPKT_PS2_T2_.num_agpr, 0
	.set _Z16sort_keys_kernelIaLj256ELj8EN10test_utils4lessELj10EEvPKT_PS2_T2_.numbered_sgpr, 22
	.set _Z16sort_keys_kernelIaLj256ELj8EN10test_utils4lessELj10EEvPKT_PS2_T2_.num_named_barrier, 0
	.set _Z16sort_keys_kernelIaLj256ELj8EN10test_utils4lessELj10EEvPKT_PS2_T2_.private_seg_size, 0
	.set _Z16sort_keys_kernelIaLj256ELj8EN10test_utils4lessELj10EEvPKT_PS2_T2_.uses_vcc, 1
	.set _Z16sort_keys_kernelIaLj256ELj8EN10test_utils4lessELj10EEvPKT_PS2_T2_.uses_flat_scratch, 0
	.set _Z16sort_keys_kernelIaLj256ELj8EN10test_utils4lessELj10EEvPKT_PS2_T2_.has_dyn_sized_stack, 0
	.set _Z16sort_keys_kernelIaLj256ELj8EN10test_utils4lessELj10EEvPKT_PS2_T2_.has_recursion, 0
	.set _Z16sort_keys_kernelIaLj256ELj8EN10test_utils4lessELj10EEvPKT_PS2_T2_.has_indirect_call, 0
	.section	.AMDGPU.csdata,"",@progbits
; Kernel info:
; codeLenInByte = 16180
; TotalNumSgprs: 24
; NumVgprs: 73
; ScratchSize: 0
; MemoryBound: 0
; FloatMode: 240
; IeeeMode: 1
; LDSByteSize: 2049 bytes/workgroup (compile time only)
; SGPRBlocks: 0
; VGPRBlocks: 9
; NumSGPRsForWavesPerEU: 24
; NumVGPRsForWavesPerEU: 73
; Occupancy: 16
; WaveLimiterHint : 1
; COMPUTE_PGM_RSRC2:SCRATCH_EN: 0
; COMPUTE_PGM_RSRC2:USER_SGPR: 2
; COMPUTE_PGM_RSRC2:TRAP_HANDLER: 0
; COMPUTE_PGM_RSRC2:TGID_X_EN: 1
; COMPUTE_PGM_RSRC2:TGID_Y_EN: 0
; COMPUTE_PGM_RSRC2:TGID_Z_EN: 0
; COMPUTE_PGM_RSRC2:TIDIG_COMP_CNT: 0
	.section	.text._Z17sort_pairs_kernelIaLj256ELj8EN10test_utils4lessELj10EEvPKT_PS2_T2_,"axG",@progbits,_Z17sort_pairs_kernelIaLj256ELj8EN10test_utils4lessELj10EEvPKT_PS2_T2_,comdat
	.protected	_Z17sort_pairs_kernelIaLj256ELj8EN10test_utils4lessELj10EEvPKT_PS2_T2_ ; -- Begin function _Z17sort_pairs_kernelIaLj256ELj8EN10test_utils4lessELj10EEvPKT_PS2_T2_
	.globl	_Z17sort_pairs_kernelIaLj256ELj8EN10test_utils4lessELj10EEvPKT_PS2_T2_
	.p2align	8
	.type	_Z17sort_pairs_kernelIaLj256ELj8EN10test_utils4lessELj10EEvPKT_PS2_T2_,@function
_Z17sort_pairs_kernelIaLj256ELj8EN10test_utils4lessELj10EEvPKT_PS2_T2_: ; @_Z17sort_pairs_kernelIaLj256ELj8EN10test_utils4lessELj10EEvPKT_PS2_T2_
; %bb.0:
	s_load_b128 s[44:47], s[0:1], 0x0
	s_lshl_b32 s48, ttmp9, 11
	s_mov_b32 s49, 0
	v_lshlrev_b32_e32 v5, 3, v0
	s_delay_alu instid0(VALU_DEP_1)
	v_and_b32_e32 v6, 0x7f0, v5
	v_and_b32_e32 v7, 0x7e0, v5
	;; [unrolled: 1-line block ×5, first 2 shown]
	v_or_b32_e32 v16, 8, v6
	v_add_nc_u32_e32 v17, 16, v6
	v_or_b32_e32 v18, 16, v7
	v_add_nc_u32_e32 v19, 32, v7
	v_and_b32_e32 v9, 0x780, v5
	v_or_b32_e32 v20, 32, v8
	v_sub_nc_u32_e32 v55, v17, v16
	s_wait_kmcnt 0x0
	s_add_nc_u64 s[0:1], s[44:45], s[48:49]
	v_add_nc_u32_e32 v21, 64, v8
	s_clause 0x7
	global_load_u8 v1, v0, s[0:1]
	global_load_u8 v2, v0, s[0:1] offset:512
	global_load_u8 v3, v0, s[0:1] offset:1024
	;; [unrolled: 1-line block ×7, first 2 shown]
	v_sub_nc_u32_e32 v37, v16, v6
	v_sub_nc_u32_e32 v56, v19, v18
	;; [unrolled: 1-line block ×3, first 2 shown]
	v_cmp_ge_i32_e64 s0, v44, v55
	v_and_b32_e32 v46, 56, v5
	v_and_b32_e32 v10, 0x700, v5
	v_or_b32_e32 v22, 64, v9
	v_add_nc_u32_e32 v23, 0x80, v9
	v_add_nc_u32_e32 v30, v16, v44
	v_sub_nc_u32_e32 v38, v18, v7
	v_sub_nc_u32_e32 v57, v21, v20
	v_min_i32_e32 v37, v44, v37
	v_sub_nc_u32_e32 v63, v45, v56
	v_cndmask_b32_e64 v44, 0, v62, s0
	v_cmp_ge_i32_e64 s0, v45, v56
	v_and_b32_e32 v47, 0x78, v5
	v_and_b32_e32 v11, 0x600, v5
	v_or_b32_e32 v24, 0x80, v10
	v_add_nc_u32_e32 v25, 0x100, v10
	v_add_nc_u32_e32 v31, v18, v45
	v_sub_nc_u32_e32 v39, v20, v8
	v_sub_nc_u32_e32 v58, v23, v22
	v_min_i32_e32 v38, v45, v38
	v_sub_nc_u32_e32 v64, v46, v57
	s_wait_alu 0xf1ff
	v_cndmask_b32_e64 v45, 0, v63, s0
	v_cmp_ge_i32_e64 s0, v46, v57
	v_and_b32_e32 v48, 0xf8, v5
	v_and_b32_e32 v12, 0x400, v5
	v_or_b32_e32 v26, 0x100, v11
	v_add_nc_u32_e32 v27, 0x200, v11
	v_add_nc_u32_e32 v32, v20, v46
	v_sub_nc_u32_e32 v40, v22, v9
	v_sub_nc_u32_e32 v59, v25, v24
	v_min_i32_e32 v39, v46, v39
	v_sub_nc_u32_e32 v65, v47, v58
	s_wait_alu 0xf1ff
	v_cndmask_b32_e64 v46, 0, v64, s0
	v_cmp_ge_i32_e64 s0, v47, v58
	v_and_b32_e32 v49, 0x1f8, v5
	v_or_b32_e32 v28, 0x200, v12
	v_add_nc_u32_e32 v29, 0x400, v12
	v_add_nc_u32_e32 v33, v22, v47
	v_sub_nc_u32_e32 v41, v24, v10
	v_sub_nc_u32_e32 v60, v27, v26
	v_min_i32_e32 v40, v47, v40
	v_sub_nc_u32_e32 v66, v48, v59
	s_wait_alu 0xf1ff
	v_cndmask_b32_e64 v47, 0, v65, s0
	v_cmp_ge_i32_e64 s0, v48, v59
	v_and_b32_e32 v50, 0x3f8, v5
	v_add_nc_u32_e32 v34, v24, v48
	v_sub_nc_u32_e32 v42, v26, v11
	v_sub_nc_u32_e32 v61, v29, v28
	v_min_i32_e32 v41, v48, v41
	v_sub_nc_u32_e32 v67, v49, v60
	s_wait_alu 0xf1ff
	v_cndmask_b32_e64 v48, 0, v66, s0
	v_cmp_ge_i32_e64 s0, v49, v60
	v_add_nc_u32_e32 v35, v26, v49
	v_min_i32_e32 v42, v49, v42
	v_sub_nc_u32_e32 v68, v50, v61
	v_sub_nc_u32_e32 v43, v28, v12
	s_wait_alu 0xf1ff
	v_cndmask_b32_e64 v49, 0, v67, s0
	v_cmp_ge_i32_e64 s0, v50, v61
	v_add_nc_u32_e32 v36, v28, v50
	v_subrev_nc_u32_e64 v13, 0x400, v5 clamp
	v_min_i32_e32 v43, v50, v43
	v_min_i32_e32 v14, 0x400, v5
	s_wait_alu 0xf1ff
	v_cndmask_b32_e64 v50, 0, v68, s0
	v_add_nc_u32_e32 v15, 0x400, v5
	v_cmp_lt_i32_e64 s0, v44, v37
	v_cmp_lt_i32_e64 s1, v45, v38
	;; [unrolled: 1-line block ×7, first 2 shown]
	s_mov_b32 s45, s49
	v_cmp_lt_i32_e32 vcc_lo, v13, v14
	s_wait_loadcnt 0x7
	v_add_nc_u16 v55, v1, 1
	s_wait_loadcnt 0x6
	v_add_nc_u16 v56, v2, 1
	;; [unrolled: 2-line block ×4, first 2 shown]
	s_wait_loadcnt 0x3
	v_perm_b32 v1, v1, v51, 0xc0c0004
	s_wait_loadcnt 0x2
	v_lshlrev_b16 v59, 8, v52
	v_lshlrev_b16 v51, 8, v51
	s_wait_loadcnt 0x1
	v_lshlrev_b16 v60, 8, v53
	s_wait_loadcnt 0x0
	v_lshlrev_b16 v61, 8, v54
	v_and_b32_e32 v55, 0xff, v55
	v_and_b32_e32 v56, 0xff, v56
	;; [unrolled: 1-line block ×4, first 2 shown]
	v_perm_b32 v2, v2, v52, 0xc0c0004
	v_or_b32_e32 v51, v51, v55
	v_or_b32_e32 v52, v59, v56
	;; [unrolled: 1-line block ×4, first 2 shown]
	v_perm_b32 v3, v3, v54, 0xc0c0004
	v_add_nc_u16 v51, 0x100, v51
	v_add_nc_u16 v52, 0x100, v52
	;; [unrolled: 1-line block ×4, first 2 shown]
	v_perm_b32 v4, v4, v53, 0xc0c0004
	v_and_b32_e32 v51, 0xffff, v51
	v_lshlrev_b32_e32 v52, 16, v52
	v_and_b32_e32 v53, 0xffff, v54
	v_lshlrev_b32_e32 v54, 16, v55
	v_lshl_or_b32 v64, v2, 16, v1
	v_lshl_or_b32 v55, v4, 16, v3
	v_or_b32_e32 v1, v51, v52
	s_delay_alu instid0(VALU_DEP_4)
	v_or_b32_e32 v2, v53, v54
	s_branch .LBB69_2
.LBB69_1:                               ;   in Loop: Header=BB69_2 Depth=1
	s_or_b32 exec_lo, exec_lo, s14
	v_cndmask_b32_e64 v63, v63, v65, s9
	v_cndmask_b32_e64 v65, v67, v68, s10
	s_wait_dscnt 0x0
	v_bfe_i32 v67, v85, 0, 8
	v_bfe_i32 v68, v86, 0, 8
	v_cndmask_b32_e64 v77, v57, v58, s7
	v_cndmask_b32_e64 v57, v71, v72, s11
	;; [unrolled: 1-line block ×4, first 2 shown]
	v_cmp_le_i32_e64 s10, 0x400, v84
	v_cmp_lt_i16_e64 s11, v68, v67
	v_cndmask_b32_e64 v55, v55, v56, s7
	v_cmp_gt_i32_e64 s7, 0x800, v81
	v_perm_b32 v52, v52, v53, 0xc0c0004
	v_perm_b32 v51, v54, v51, 0xc0c0004
	;; [unrolled: 1-line block ×4, first 2 shown]
	v_cndmask_b32_e64 v62, v59, v62, s8
	v_cndmask_b32_e64 v60, v60, v61, s8
	s_or_b32 s8, s10, s11
	v_lshl_or_b32 v2, v51, 16, v52
	s_wait_alu 0xfffe
	s_and_b32 s7, s7, s8
	v_lshl_or_b32 v1, v4, 16, v1
	s_wait_alu 0xfffe
	v_cndmask_b32_e64 v53, v84, v81, s7
	v_cndmask_b32_e64 v64, v64, v66, s9
	;; [unrolled: 1-line block ×3, first 2 shown]
	s_wait_loadcnt 0x0
	s_barrier_signal -1
	s_barrier_wait -1
	global_inv scope:SCOPE_SE
	ds_store_b64 v5, v[1:2]
	s_wait_loadcnt_dscnt 0x0
	s_barrier_signal -1
	s_barrier_wait -1
	global_inv scope:SCOPE_SE
	ds_load_u8 v52, v55
	ds_load_u8 v4, v82
	;; [unrolled: 1-line block ×8, first 2 shown]
	v_cndmask_b32_e64 v58, v75, v76, s12
	v_cndmask_b32_e64 v59, v80, v83, s13
	;; [unrolled: 1-line block ×3, first 2 shown]
	v_lshlrev_b16 v1, 8, v62
	v_and_b32_e32 v2, 0xff, v77
	v_lshlrev_b16 v55, 8, v65
	v_and_b32_e32 v64, 0xff, v63
	;; [unrolled: 2-line block ×3, first 2 shown]
	v_and_b32_e32 v68, 0xff, v59
	v_lshlrev_b16 v69, 8, v3
	v_or_b32_e32 v1, v2, v1
	v_or_b32_e32 v2, v64, v55
	;; [unrolled: 1-line block ×3, first 2 shown]
	s_wait_dscnt 0x5
	v_perm_b32 v70, v4, v51, 0xc0c0004
	v_or_b32_e32 v64, v68, v69
	v_and_b32_e32 v1, 0xffff, v1
	v_lshlrev_b32_e32 v2, 16, v2
	v_and_b32_e32 v55, 0xffff, v55
	s_wait_dscnt 0x4
	v_perm_b32 v67, v52, v56, 0xc0c0004
	v_lshlrev_b32_e32 v66, 16, v64
	s_wait_dscnt 0x2
	v_perm_b32 v68, v60, v61, 0xc0c0004
	s_wait_dscnt 0x0
	v_perm_b32 v69, v53, v54, 0xc0c0004
	v_or_b32_e32 v64, v1, v2
	s_add_co_i32 s45, s45, 1
	v_or_b32_e32 v55, v55, v66
	v_lshl_or_b32 v1, v68, 16, v67
	v_lshl_or_b32 v2, v70, 16, v69
	s_cmp_eq_u32 s45, 10
	s_cbranch_scc1 .LBB69_258
.LBB69_2:                               ; =>This Loop Header: Depth=1
                                        ;     Child Loop BB69_4 Depth 2
                                        ;     Child Loop BB69_36 Depth 2
                                        ;     Child Loop BB69_68 Depth 2
                                        ;     Child Loop BB69_100 Depth 2
                                        ;     Child Loop BB69_132 Depth 2
                                        ;     Child Loop BB69_164 Depth 2
                                        ;     Child Loop BB69_196 Depth 2
                                        ;     Child Loop BB69_228 Depth 2
	v_lshrrev_b32_e32 v3, 8, v64
	v_bfe_i32 v4, v64, 0, 8
	v_perm_b32 v51, v64, v64, 0x7060405
	v_lshrrev_b32_e32 v53, 8, v55
	v_bfe_i32 v54, v55, 0, 8
	v_bfe_i32 v3, v3, 0, 8
	v_perm_b32 v56, v55, v55, 0x7060405
	s_delay_alu instid0(VALU_DEP_4) | instskip(SKIP_1) | instid1(VALU_DEP_3)
	v_bfe_i32 v53, v53, 0, 8
	s_barrier_signal -1
	v_cmp_lt_i16_e64 s7, v3, v4
	s_barrier_wait -1
	global_inv scope:SCOPE_SE
	v_cmp_lt_i16_e64 s9, v53, v54
	s_wait_alu 0xf1ff
	v_cndmask_b32_e64 v3, v64, v51, s7
	s_delay_alu instid0(VALU_DEP_1) | instskip(SKIP_1) | instid1(VALU_DEP_2)
	v_lshrrev_b32_e32 v4, 16, v3
	v_lshrrev_b32_e32 v52, 24, v3
	v_perm_b32 v51, 0, v4, 0xc0c0001
	s_delay_alu instid0(VALU_DEP_2) | instskip(SKIP_1) | instid1(VALU_DEP_3)
	v_bfe_i32 v52, v52, 0, 8
	v_bfe_i32 v4, v4, 0, 8
	v_lshlrev_b32_e32 v51, 16, v51
	s_delay_alu instid0(VALU_DEP_2) | instskip(SKIP_1) | instid1(VALU_DEP_3)
	v_cmp_lt_i16_e64 s8, v52, v4
	v_cndmask_b32_e64 v4, v55, v56, s9
	v_and_or_b32 v51, 0xffff, v3, v51
	s_delay_alu instid0(VALU_DEP_2) | instskip(SKIP_2) | instid1(VALU_DEP_3)
	v_lshrrev_b32_e32 v53, 24, v4
	v_lshrrev_b32_e32 v54, 16, v4
	s_wait_alu 0xf1ff
	v_cndmask_b32_e64 v3, v3, v51, s8
	v_perm_b32 v56, v4, v4, 0x6070504
	v_bfe_i32 v53, v53, 0, 8
	v_bfe_i32 v54, v54, 0, 8
	s_delay_alu instid0(VALU_DEP_4) | instskip(SKIP_2) | instid1(VALU_DEP_4)
	v_lshrrev_b32_e32 v51, 16, v3
	v_lshrrev_b32_e32 v52, 8, v3
	v_perm_b32 v55, v3, v3, 0x7050604
	v_cmp_lt_i16_e64 s12, v53, v54
	s_delay_alu instid0(VALU_DEP_4) | instskip(NEXT) | instid1(VALU_DEP_4)
	v_bfe_i32 v51, v51, 0, 8
	v_bfe_i32 v52, v52, 0, 8
	s_wait_alu 0xf1ff
	s_delay_alu instid0(VALU_DEP_3) | instskip(NEXT) | instid1(VALU_DEP_2)
	v_cndmask_b32_e64 v4, v4, v56, s12
	v_cmp_lt_i16_e64 s11, v51, v52
	s_delay_alu instid0(VALU_DEP_2) | instskip(SKIP_2) | instid1(VALU_DEP_3)
	v_lshlrev_b16 v52, 8, v4
	v_bfe_i32 v53, v4, 0, 8
	s_wait_alu 0xf1ff
	v_cndmask_b32_e64 v3, v3, v55, s11
	s_delay_alu instid0(VALU_DEP_1) | instskip(NEXT) | instid1(VALU_DEP_1)
	v_lshrrev_b32_e32 v51, 16, v3
	v_and_b32_e32 v51, 0xff, v51
	s_delay_alu instid0(VALU_DEP_1) | instskip(SKIP_1) | instid1(VALU_DEP_2)
	v_or_b32_e32 v51, v51, v52
	v_lshrrev_b32_e32 v52, 24, v3
	v_lshlrev_b32_e32 v51, 16, v51
	s_delay_alu instid0(VALU_DEP_2) | instskip(NEXT) | instid1(VALU_DEP_2)
	v_bfe_i32 v52, v52, 0, 8
	v_and_or_b32 v51, 0xffff, v3, v51
	s_delay_alu instid0(VALU_DEP_2) | instskip(SKIP_1) | instid1(VALU_DEP_1)
	v_cmp_lt_i16_e64 s10, v53, v52
	s_wait_alu 0xf1ff
	v_cndmask_b32_e64 v51, v3, v51, s10
	v_perm_b32 v3, v3, v4, 0x3020107
	s_delay_alu instid0(VALU_DEP_2) | instskip(SKIP_1) | instid1(VALU_DEP_3)
	v_lshrrev_b32_e32 v52, 8, v51
	v_perm_b32 v53, 0, v51, 0xc0c0001
	v_cndmask_b32_e64 v3, v4, v3, s10
	v_bfe_i32 v4, v51, 0, 8
	s_delay_alu instid0(VALU_DEP_4) | instskip(NEXT) | instid1(VALU_DEP_4)
	v_bfe_i32 v52, v52, 0, 8
	v_and_or_b32 v53, 0xffff0000, v51, v53
	s_delay_alu instid0(VALU_DEP_4) | instskip(NEXT) | instid1(VALU_DEP_3)
	v_lshrrev_b32_e32 v54, 16, v3
	v_cmp_lt_i16_e64 s13, v52, v4
	s_delay_alu instid0(VALU_DEP_2) | instskip(SKIP_2) | instid1(VALU_DEP_3)
	v_bfe_i32 v52, v54, 0, 8
	v_perm_b32 v54, v3, v3, 0x7050604
	s_wait_alu 0xf1ff
	v_cndmask_b32_e64 v4, v51, v53, s13
	v_lshrrev_b32_e32 v51, 8, v3
	s_delay_alu instid0(VALU_DEP_2) | instskip(NEXT) | instid1(VALU_DEP_2)
	v_lshrrev_b32_e32 v53, 16, v4
	v_bfe_i32 v51, v51, 0, 8
	s_delay_alu instid0(VALU_DEP_2) | instskip(NEXT) | instid1(VALU_DEP_2)
	v_perm_b32 v55, 0, v53, 0xc0c0001
	v_cmp_lt_i16_e64 s14, v52, v51
	v_lshrrev_b32_e32 v51, 24, v4
	v_bfe_i32 v53, v53, 0, 8
	s_delay_alu instid0(VALU_DEP_4) | instskip(SKIP_3) | instid1(VALU_DEP_3)
	v_lshlrev_b32_e32 v52, 16, v55
	s_wait_alu 0xf1ff
	v_cndmask_b32_e64 v3, v3, v54, s14
	v_bfe_i32 v51, v51, 0, 8
	v_and_or_b32 v52, 0xffff, v4, v52
	s_delay_alu instid0(VALU_DEP_3) | instskip(SKIP_1) | instid1(VALU_DEP_4)
	v_lshrrev_b32_e32 v54, 8, v3
	v_bfe_i32 v55, v3, 0, 8
	v_cmp_lt_i16_e64 s15, v51, v53
	v_perm_b32 v56, v3, v3, 0x7060405
	s_delay_alu instid0(VALU_DEP_4) | instskip(SKIP_1) | instid1(VALU_DEP_3)
	v_bfe_i32 v54, v54, 0, 8
	s_wait_alu 0xf1ff
	v_cndmask_b32_e64 v4, v4, v52, s15
	s_delay_alu instid0(VALU_DEP_2) | instskip(NEXT) | instid1(VALU_DEP_2)
	v_cmp_lt_i16_e64 s16, v54, v55
	v_lshrrev_b32_e32 v51, 16, v4
	v_lshrrev_b32_e32 v52, 8, v4
	v_perm_b32 v55, v4, v4, 0x7050604
	s_wait_alu 0xf1ff
	v_cndmask_b32_e64 v3, v3, v56, s16
	v_bfe_i32 v51, v51, 0, 8
	v_bfe_i32 v52, v52, 0, 8
	s_delay_alu instid0(VALU_DEP_3) | instskip(SKIP_2) | instid1(VALU_DEP_4)
	v_lshrrev_b32_e32 v53, 24, v3
	v_lshrrev_b32_e32 v54, 16, v3
	v_perm_b32 v56, v3, v3, 0x6070504
	v_cmp_lt_i16_e64 s18, v51, v52
	s_delay_alu instid0(VALU_DEP_4) | instskip(NEXT) | instid1(VALU_DEP_4)
	v_bfe_i32 v53, v53, 0, 8
	v_bfe_i32 v54, v54, 0, 8
	s_wait_alu 0xf1ff
	s_delay_alu instid0(VALU_DEP_3) | instskip(NEXT) | instid1(VALU_DEP_2)
	v_cndmask_b32_e64 v4, v4, v55, s18
	v_cmp_lt_i16_e64 s19, v53, v54
	s_delay_alu instid0(VALU_DEP_2) | instskip(SKIP_1) | instid1(VALU_DEP_2)
	v_lshrrev_b32_e32 v51, 16, v4
	s_wait_alu 0xf1ff
	v_cndmask_b32_e64 v3, v3, v56, s19
	s_delay_alu instid0(VALU_DEP_2) | instskip(NEXT) | instid1(VALU_DEP_2)
	v_and_b32_e32 v51, 0xff, v51
	v_lshlrev_b16 v52, 8, v3
	v_bfe_i32 v53, v3, 0, 8
	s_delay_alu instid0(VALU_DEP_2) | instskip(SKIP_1) | instid1(VALU_DEP_2)
	v_or_b32_e32 v51, v51, v52
	v_lshrrev_b32_e32 v52, 24, v4
	v_lshlrev_b32_e32 v51, 16, v51
	s_delay_alu instid0(VALU_DEP_2) | instskip(NEXT) | instid1(VALU_DEP_2)
	v_bfe_i32 v52, v52, 0, 8
	v_and_or_b32 v51, 0xffff, v4, v51
	s_delay_alu instid0(VALU_DEP_2) | instskip(SKIP_1) | instid1(VALU_DEP_1)
	v_cmp_lt_i16_e64 s17, v53, v52
	s_wait_alu 0xf1ff
	v_cndmask_b32_e64 v51, v4, v51, s17
	v_perm_b32 v4, v4, v3, 0x3020107
	s_delay_alu instid0(VALU_DEP_2) | instskip(SKIP_1) | instid1(VALU_DEP_3)
	v_lshrrev_b32_e32 v52, 8, v51
	v_perm_b32 v53, 0, v51, 0xc0c0001
	v_cndmask_b32_e64 v3, v3, v4, s17
	v_bfe_i32 v4, v51, 0, 8
	s_delay_alu instid0(VALU_DEP_4) | instskip(NEXT) | instid1(VALU_DEP_4)
	v_bfe_i32 v52, v52, 0, 8
	v_and_or_b32 v53, 0xffff0000, v51, v53
	s_delay_alu instid0(VALU_DEP_4) | instskip(NEXT) | instid1(VALU_DEP_3)
	v_lshrrev_b32_e32 v54, 16, v3
	v_cmp_lt_i16_e64 s20, v52, v4
	s_delay_alu instid0(VALU_DEP_2) | instskip(SKIP_2) | instid1(VALU_DEP_3)
	v_bfe_i32 v52, v54, 0, 8
	v_perm_b32 v54, v3, v3, 0x7050604
	s_wait_alu 0xf1ff
	v_cndmask_b32_e64 v4, v51, v53, s20
	v_lshrrev_b32_e32 v51, 8, v3
	s_delay_alu instid0(VALU_DEP_2) | instskip(NEXT) | instid1(VALU_DEP_2)
	v_lshrrev_b32_e32 v53, 16, v4
	v_bfe_i32 v51, v51, 0, 8
	s_delay_alu instid0(VALU_DEP_2) | instskip(NEXT) | instid1(VALU_DEP_2)
	v_perm_b32 v55, 0, v53, 0xc0c0001
	v_cmp_lt_i16_e64 s21, v52, v51
	v_lshrrev_b32_e32 v51, 24, v4
	v_bfe_i32 v53, v53, 0, 8
	s_delay_alu instid0(VALU_DEP_4) | instskip(SKIP_3) | instid1(VALU_DEP_3)
	v_lshlrev_b32_e32 v52, 16, v55
	s_wait_alu 0xf1ff
	v_cndmask_b32_e64 v3, v3, v54, s21
	v_bfe_i32 v51, v51, 0, 8
	v_and_or_b32 v52, 0xffff, v4, v52
	s_delay_alu instid0(VALU_DEP_3) | instskip(SKIP_1) | instid1(VALU_DEP_4)
	v_lshrrev_b32_e32 v54, 8, v3
	v_bfe_i32 v55, v3, 0, 8
	v_cmp_lt_i16_e64 s23, v51, v53
	v_perm_b32 v56, v3, v3, 0x7060405
	s_delay_alu instid0(VALU_DEP_4) | instskip(SKIP_1) | instid1(VALU_DEP_3)
	v_bfe_i32 v54, v54, 0, 8
	s_wait_alu 0xf1ff
	v_cndmask_b32_e64 v4, v4, v52, s23
	s_delay_alu instid0(VALU_DEP_2) | instskip(NEXT) | instid1(VALU_DEP_2)
	v_cmp_lt_i16_e64 s24, v54, v55
	v_lshrrev_b32_e32 v51, 16, v4
	v_lshrrev_b32_e32 v52, 8, v4
	v_perm_b32 v55, v4, v4, 0x7050604
	s_wait_alu 0xf1ff
	v_cndmask_b32_e64 v3, v3, v56, s24
	v_bfe_i32 v51, v51, 0, 8
	v_bfe_i32 v52, v52, 0, 8
	s_delay_alu instid0(VALU_DEP_3) | instskip(SKIP_2) | instid1(VALU_DEP_4)
	v_lshrrev_b32_e32 v53, 24, v3
	v_lshrrev_b32_e32 v54, 16, v3
	v_perm_b32 v56, v3, v3, 0x6070504
	v_cmp_lt_i16_e64 s27, v51, v52
	s_delay_alu instid0(VALU_DEP_4) | instskip(NEXT) | instid1(VALU_DEP_4)
	v_bfe_i32 v53, v53, 0, 8
	v_bfe_i32 v54, v54, 0, 8
	s_wait_alu 0xf1ff
	s_delay_alu instid0(VALU_DEP_3) | instskip(NEXT) | instid1(VALU_DEP_2)
	v_cndmask_b32_e64 v4, v4, v55, s27
	v_cmp_lt_i16_e64 s28, v53, v54
	s_delay_alu instid0(VALU_DEP_2) | instskip(SKIP_1) | instid1(VALU_DEP_2)
	v_lshrrev_b32_e32 v51, 16, v4
	s_wait_alu 0xf1ff
	v_cndmask_b32_e64 v3, v3, v56, s28
	s_delay_alu instid0(VALU_DEP_2) | instskip(NEXT) | instid1(VALU_DEP_2)
	v_and_b32_e32 v51, 0xff, v51
	v_lshlrev_b16 v52, 8, v3
	v_bfe_i32 v53, v3, 0, 8
	s_delay_alu instid0(VALU_DEP_2) | instskip(SKIP_1) | instid1(VALU_DEP_2)
	v_or_b32_e32 v51, v51, v52
	v_lshrrev_b32_e32 v52, 24, v4
	v_lshlrev_b32_e32 v51, 16, v51
	s_delay_alu instid0(VALU_DEP_2) | instskip(NEXT) | instid1(VALU_DEP_2)
	v_bfe_i32 v52, v52, 0, 8
	v_and_or_b32 v51, 0xffff, v4, v51
	s_delay_alu instid0(VALU_DEP_2) | instskip(SKIP_1) | instid1(VALU_DEP_1)
	v_cmp_lt_i16_e64 s26, v53, v52
	s_wait_alu 0xf1ff
	v_cndmask_b32_e64 v51, v4, v51, s26
	v_perm_b32 v4, v4, v3, 0x3020107
	s_delay_alu instid0(VALU_DEP_2) | instskip(SKIP_1) | instid1(VALU_DEP_3)
	v_lshrrev_b32_e32 v52, 8, v51
	v_perm_b32 v53, 0, v51, 0xc0c0001
	v_cndmask_b32_e64 v3, v3, v4, s26
	v_bfe_i32 v4, v51, 0, 8
	s_delay_alu instid0(VALU_DEP_4) | instskip(NEXT) | instid1(VALU_DEP_4)
	v_bfe_i32 v52, v52, 0, 8
	v_and_or_b32 v53, 0xffff0000, v51, v53
	s_delay_alu instid0(VALU_DEP_4) | instskip(NEXT) | instid1(VALU_DEP_3)
	v_lshrrev_b32_e32 v54, 16, v3
	v_cmp_lt_i16_e64 s34, v52, v4
	s_delay_alu instid0(VALU_DEP_2) | instskip(SKIP_2) | instid1(VALU_DEP_3)
	v_bfe_i32 v52, v54, 0, 8
	v_perm_b32 v54, v3, v3, 0x7050604
	s_wait_alu 0xf1ff
	v_cndmask_b32_e64 v4, v51, v53, s34
	v_lshrrev_b32_e32 v51, 8, v3
	s_delay_alu instid0(VALU_DEP_2) | instskip(NEXT) | instid1(VALU_DEP_2)
	v_lshrrev_b32_e32 v53, 16, v4
	v_bfe_i32 v51, v51, 0, 8
	s_delay_alu instid0(VALU_DEP_2) | instskip(NEXT) | instid1(VALU_DEP_2)
	v_perm_b32 v55, 0, v53, 0xc0c0001
	v_cmp_lt_i16_e64 s33, v52, v51
	v_lshrrev_b32_e32 v51, 24, v4
	v_bfe_i32 v53, v53, 0, 8
	s_delay_alu instid0(VALU_DEP_4) | instskip(SKIP_3) | instid1(VALU_DEP_3)
	v_lshlrev_b32_e32 v52, 16, v55
	s_wait_alu 0xf1ff
	v_cndmask_b32_e64 v3, v3, v54, s33
	v_bfe_i32 v51, v51, 0, 8
	v_and_or_b32 v52, 0xffff, v4, v52
	s_delay_alu instid0(VALU_DEP_3) | instskip(SKIP_1) | instid1(VALU_DEP_4)
	v_lshrrev_b32_e32 v54, 8, v3
	v_bfe_i32 v55, v3, 0, 8
	v_cmp_lt_i16_e64 s35, v51, v53
	v_perm_b32 v56, v3, v3, 0x7060405
	s_delay_alu instid0(VALU_DEP_4) | instskip(SKIP_1) | instid1(VALU_DEP_3)
	v_bfe_i32 v54, v54, 0, 8
	s_wait_alu 0xf1ff
	v_cndmask_b32_e64 v4, v4, v52, s35
	s_delay_alu instid0(VALU_DEP_2) | instskip(NEXT) | instid1(VALU_DEP_2)
	v_cmp_lt_i16_e64 s29, v54, v55
	v_lshrrev_b32_e32 v51, 16, v4
	v_lshrrev_b32_e32 v52, 8, v4
	v_perm_b32 v55, v4, v4, 0x7050604
	s_wait_alu 0xf1ff
	v_cndmask_b32_e64 v3, v3, v56, s29
	v_bfe_i32 v51, v51, 0, 8
	v_bfe_i32 v52, v52, 0, 8
	s_delay_alu instid0(VALU_DEP_3) | instskip(SKIP_2) | instid1(VALU_DEP_4)
	v_lshrrev_b32_e32 v53, 24, v3
	v_lshrrev_b32_e32 v54, 16, v3
	v_perm_b32 v56, v3, v3, 0x6070504
	v_cmp_lt_i16_e64 s31, v51, v52
	s_delay_alu instid0(VALU_DEP_4) | instskip(NEXT) | instid1(VALU_DEP_4)
	v_bfe_i32 v53, v53, 0, 8
	v_bfe_i32 v54, v54, 0, 8
	s_wait_alu 0xf1ff
	s_delay_alu instid0(VALU_DEP_3) | instskip(NEXT) | instid1(VALU_DEP_2)
	v_cndmask_b32_e64 v4, v4, v55, s31
	v_cmp_lt_i16_e64 s30, v53, v54
	s_wait_alu 0xf1ff
	s_delay_alu instid0(VALU_DEP_1) | instskip(NEXT) | instid1(VALU_DEP_3)
	v_cndmask_b32_e64 v51, v3, v56, s30
	v_lshrrev_b32_e32 v3, 16, v4
	s_delay_alu instid0(VALU_DEP_2) | instskip(NEXT) | instid1(VALU_DEP_2)
	v_lshlrev_b16 v52, 8, v51
	v_and_b32_e32 v3, 0xff, v3
	v_bfe_i32 v53, v51, 0, 8
	v_perm_b32 v54, v4, v51, 0x3020107
	s_delay_alu instid0(VALU_DEP_3) | instskip(SKIP_1) | instid1(VALU_DEP_2)
	v_or_b32_e32 v3, v3, v52
	v_lshrrev_b32_e32 v52, 24, v4
	v_lshlrev_b32_e32 v3, 16, v3
	s_delay_alu instid0(VALU_DEP_2) | instskip(NEXT) | instid1(VALU_DEP_2)
	v_bfe_i32 v52, v52, 0, 8
	v_and_or_b32 v3, 0xffff, v4, v3
	s_delay_alu instid0(VALU_DEP_2) | instskip(SKIP_1) | instid1(VALU_DEP_1)
	v_cmp_lt_i16_e64 s22, v53, v52
	s_wait_alu 0xf1ff
	v_cndmask_b32_e64 v3, v4, v3, s22
	v_cndmask_b32_e64 v4, v51, v54, s22
	s_delay_alu instid0(VALU_DEP_1) | instskip(SKIP_2) | instid1(VALU_DEP_3)
	v_lshrrev_b32_e32 v51, 16, v4
	v_lshrrev_b32_e32 v52, 8, v4
	v_perm_b32 v53, v4, v4, 0x7050604
	v_bfe_i32 v51, v51, 0, 8
	s_delay_alu instid0(VALU_DEP_3) | instskip(NEXT) | instid1(VALU_DEP_1)
	v_bfe_i32 v52, v52, 0, 8
	v_cmp_lt_i16_e64 s25, v51, v52
	v_mov_b32_e32 v51, v44
	s_wait_alu 0xf1ff
	s_delay_alu instid0(VALU_DEP_2)
	v_cndmask_b32_e64 v4, v4, v53, s25
	ds_store_b64 v5, v[3:4]
	s_wait_loadcnt_dscnt 0x0
	s_barrier_signal -1
	s_barrier_wait -1
	global_inv scope:SCOPE_SE
	s_and_saveexec_b32 s37, s0
	s_cbranch_execz .LBB69_6
; %bb.3:                                ;   in Loop: Header=BB69_2 Depth=1
	v_mov_b32_e32 v51, v44
	v_mov_b32_e32 v3, v37
	s_mov_b32 s38, 0
.LBB69_4:                               ;   Parent Loop BB69_2 Depth=1
                                        ; =>  This Inner Loop Header: Depth=2
	s_delay_alu instid0(VALU_DEP_1) | instskip(NEXT) | instid1(VALU_DEP_1)
	v_sub_nc_u32_e32 v4, v3, v51
	v_lshrrev_b32_e32 v4, 1, v4
	s_delay_alu instid0(VALU_DEP_1) | instskip(NEXT) | instid1(VALU_DEP_1)
	v_add_nc_u32_e32 v4, v4, v51
	v_add_nc_u32_e32 v52, v6, v4
	v_xad_u32 v53, v4, -1, v30
	v_add_nc_u32_e32 v54, 1, v4
	ds_load_i8 v52, v52
	ds_load_i8 v53, v53
	s_wait_dscnt 0x0
	v_cmp_lt_i16_e64 s36, v53, v52
	s_wait_alu 0xf1ff
	s_delay_alu instid0(VALU_DEP_1) | instskip(SKIP_1) | instid1(VALU_DEP_1)
	v_cndmask_b32_e64 v3, v3, v4, s36
	v_cndmask_b32_e64 v51, v54, v51, s36
	v_cmp_ge_i32_e64 s36, v51, v3
	s_wait_alu 0xfffe
	s_or_b32 s38, s36, s38
	s_wait_alu 0xfffe
	s_and_not1_b32 exec_lo, exec_lo, s38
	s_cbranch_execnz .LBB69_4
; %bb.5:                                ;   in Loop: Header=BB69_2 Depth=1
	s_or_b32 exec_lo, exec_lo, s38
.LBB69_6:                               ;   in Loop: Header=BB69_2 Depth=1
	s_wait_alu 0xfffe
	s_or_b32 exec_lo, exec_lo, s37
	v_lshrrev_b64 v[3:4], 24, v[1:2]
	v_add_nc_u32_e32 v4, v51, v6
	v_sub_nc_u32_e32 v51, v30, v51
	v_lshrrev_b32_e32 v62, 8, v2
	v_lshrrev_b32_e32 v63, 16, v2
	;; [unrolled: 1-line block ×3, first 2 shown]
	ds_load_u8 v52, v4
	ds_load_u8 v53, v51
	v_cmp_le_i32_e64 s36, v16, v4
	v_cmp_gt_i32_e64 s38, v17, v51
	v_lshrrev_b32_e32 v65, 16, v1
	v_lshrrev_b32_e32 v67, 8, v1
                                        ; implicit-def: $vgpr54
	s_wait_dscnt 0x1
	v_bfe_i32 v52, v52, 0, 8
	s_wait_dscnt 0x0
	v_bfe_i32 v53, v53, 0, 8
	s_delay_alu instid0(VALU_DEP_1)
	v_cmp_lt_i16_e64 s37, v53, v52
	s_or_b32 s36, s36, s37
	s_wait_alu 0xfffe
	s_and_b32 s36, s38, s36
	s_wait_alu 0xfffe
	s_xor_b32 s37, s36, -1
	s_wait_alu 0xfffe
	s_and_saveexec_b32 s38, s37
	s_wait_alu 0xfffe
	s_xor_b32 s37, exec_lo, s38
; %bb.7:                                ;   in Loop: Header=BB69_2 Depth=1
	ds_load_u8 v54, v4 offset:1
; %bb.8:                                ;   in Loop: Header=BB69_2 Depth=1
	s_wait_alu 0xfffe
	s_or_saveexec_b32 s37, s37
	v_mov_b32_e32 v55, v53
	s_wait_alu 0xfffe
	s_xor_b32 exec_lo, exec_lo, s37
	s_cbranch_execz .LBB69_10
; %bb.9:                                ;   in Loop: Header=BB69_2 Depth=1
	ds_load_u8 v55, v51 offset:1
	s_wait_dscnt 0x1
	v_mov_b32_e32 v54, v52
.LBB69_10:                              ;   in Loop: Header=BB69_2 Depth=1
	s_or_b32 exec_lo, exec_lo, s37
	v_add_nc_u32_e32 v56, 1, v4
	v_add_nc_u32_e32 v57, 1, v51
	s_wait_dscnt 0x0
	v_bfe_i32 v58, v54, 0, 8
	v_bfe_i32 v59, v55, 0, 8
	v_cndmask_b32_e64 v56, v56, v4, s36
	v_cndmask_b32_e64 v57, v51, v57, s36
	s_delay_alu instid0(VALU_DEP_3) | instskip(NEXT) | instid1(VALU_DEP_3)
	v_cmp_lt_i16_e64 s38, v59, v58
                                        ; implicit-def: $vgpr58
	v_cmp_ge_i32_e64 s37, v56, v16
	s_delay_alu instid0(VALU_DEP_3)
	v_cmp_lt_i32_e64 s39, v57, v17
	s_or_b32 s37, s37, s38
	s_wait_alu 0xfffe
	s_and_b32 s37, s39, s37
	s_wait_alu 0xfffe
	s_xor_b32 s38, s37, -1
	s_wait_alu 0xfffe
	s_and_saveexec_b32 s39, s38
	s_wait_alu 0xfffe
	s_xor_b32 s38, exec_lo, s39
; %bb.11:                               ;   in Loop: Header=BB69_2 Depth=1
	ds_load_u8 v58, v56 offset:1
; %bb.12:                               ;   in Loop: Header=BB69_2 Depth=1
	s_wait_alu 0xfffe
	s_or_saveexec_b32 s38, s38
	v_mov_b32_e32 v59, v55
	s_wait_alu 0xfffe
	s_xor_b32 exec_lo, exec_lo, s38
	s_cbranch_execz .LBB69_14
; %bb.13:                               ;   in Loop: Header=BB69_2 Depth=1
	ds_load_u8 v59, v57 offset:1
	s_wait_dscnt 0x1
	v_mov_b32_e32 v58, v54
.LBB69_14:                              ;   in Loop: Header=BB69_2 Depth=1
	s_or_b32 exec_lo, exec_lo, s38
	v_add_nc_u32_e32 v60, 1, v56
	v_add_nc_u32_e32 v61, 1, v57
	s_wait_dscnt 0x0
	v_bfe_i32 v66, v58, 0, 8
	v_bfe_i32 v68, v59, 0, 8
	v_cndmask_b32_e64 v60, v60, v56, s37
	v_cndmask_b32_e64 v61, v57, v61, s37
	s_delay_alu instid0(VALU_DEP_3) | instskip(NEXT) | instid1(VALU_DEP_3)
	v_cmp_lt_i16_e64 s39, v68, v66
                                        ; implicit-def: $vgpr66
	v_cmp_ge_i32_e64 s38, v60, v16
	s_delay_alu instid0(VALU_DEP_3)
	v_cmp_lt_i32_e64 s40, v61, v17
	s_or_b32 s38, s38, s39
	s_wait_alu 0xfffe
	s_and_b32 s38, s40, s38
	s_wait_alu 0xfffe
	s_xor_b32 s39, s38, -1
	s_wait_alu 0xfffe
	s_and_saveexec_b32 s40, s39
	s_wait_alu 0xfffe
	s_xor_b32 s39, exec_lo, s40
; %bb.15:                               ;   in Loop: Header=BB69_2 Depth=1
	ds_load_u8 v66, v60 offset:1
; %bb.16:                               ;   in Loop: Header=BB69_2 Depth=1
	s_wait_alu 0xfffe
	s_or_saveexec_b32 s39, s39
	v_mov_b32_e32 v68, v59
	s_wait_alu 0xfffe
	s_xor_b32 exec_lo, exec_lo, s39
	s_cbranch_execz .LBB69_18
; %bb.17:                               ;   in Loop: Header=BB69_2 Depth=1
	ds_load_u8 v68, v61 offset:1
	s_wait_dscnt 0x1
	v_mov_b32_e32 v66, v58
.LBB69_18:                              ;   in Loop: Header=BB69_2 Depth=1
	s_or_b32 exec_lo, exec_lo, s39
	v_add_nc_u32_e32 v69, 1, v60
	v_add_nc_u32_e32 v70, 1, v61
	s_wait_dscnt 0x0
	v_bfe_i32 v71, v66, 0, 8
	v_bfe_i32 v72, v68, 0, 8
	v_cndmask_b32_e64 v69, v69, v60, s38
	v_cndmask_b32_e64 v70, v61, v70, s38
	s_delay_alu instid0(VALU_DEP_3) | instskip(NEXT) | instid1(VALU_DEP_3)
	v_cmp_lt_i16_e64 s40, v72, v71
                                        ; implicit-def: $vgpr71
	v_cmp_ge_i32_e64 s39, v69, v16
	s_delay_alu instid0(VALU_DEP_3)
	v_cmp_lt_i32_e64 s41, v70, v17
	s_or_b32 s39, s39, s40
	s_wait_alu 0xfffe
	s_and_b32 s39, s41, s39
	s_wait_alu 0xfffe
	s_xor_b32 s40, s39, -1
	s_wait_alu 0xfffe
	s_and_saveexec_b32 s41, s40
	s_wait_alu 0xfffe
	s_xor_b32 s40, exec_lo, s41
; %bb.19:                               ;   in Loop: Header=BB69_2 Depth=1
	ds_load_u8 v71, v69 offset:1
; %bb.20:                               ;   in Loop: Header=BB69_2 Depth=1
	s_wait_alu 0xfffe
	s_or_saveexec_b32 s40, s40
	v_mov_b32_e32 v72, v68
	s_wait_alu 0xfffe
	s_xor_b32 exec_lo, exec_lo, s40
	s_cbranch_execz .LBB69_22
; %bb.21:                               ;   in Loop: Header=BB69_2 Depth=1
	ds_load_u8 v72, v70 offset:1
	s_wait_dscnt 0x1
	v_mov_b32_e32 v71, v66
.LBB69_22:                              ;   in Loop: Header=BB69_2 Depth=1
	s_or_b32 exec_lo, exec_lo, s40
	v_add_nc_u32_e32 v73, 1, v69
	v_add_nc_u32_e32 v74, 1, v70
	s_wait_dscnt 0x0
	v_bfe_i32 v75, v71, 0, 8
	v_bfe_i32 v76, v72, 0, 8
	v_cndmask_b32_e64 v73, v73, v69, s39
	v_cndmask_b32_e64 v74, v70, v74, s39
	s_delay_alu instid0(VALU_DEP_3) | instskip(NEXT) | instid1(VALU_DEP_3)
	v_cmp_lt_i16_e64 s41, v76, v75
                                        ; implicit-def: $vgpr76
	v_cmp_ge_i32_e64 s40, v73, v16
	s_delay_alu instid0(VALU_DEP_3)
	v_cmp_lt_i32_e64 s42, v74, v17
	s_or_b32 s40, s40, s41
	s_wait_alu 0xfffe
	s_and_b32 s40, s42, s40
	s_wait_alu 0xfffe
	s_xor_b32 s41, s40, -1
	s_wait_alu 0xfffe
	s_and_saveexec_b32 s42, s41
	s_wait_alu 0xfffe
	s_xor_b32 s41, exec_lo, s42
; %bb.23:                               ;   in Loop: Header=BB69_2 Depth=1
	ds_load_u8 v76, v73 offset:1
; %bb.24:                               ;   in Loop: Header=BB69_2 Depth=1
	s_wait_alu 0xfffe
	s_or_saveexec_b32 s41, s41
	v_mov_b32_e32 v78, v72
	s_wait_alu 0xfffe
	s_xor_b32 exec_lo, exec_lo, s41
	s_cbranch_execz .LBB69_26
; %bb.25:                               ;   in Loop: Header=BB69_2 Depth=1
	ds_load_u8 v78, v74 offset:1
	s_wait_dscnt 0x1
	v_mov_b32_e32 v76, v71
.LBB69_26:                              ;   in Loop: Header=BB69_2 Depth=1
	s_or_b32 exec_lo, exec_lo, s41
	v_add_nc_u32_e32 v75, 1, v73
	v_add_nc_u32_e32 v77, 1, v74
	s_wait_dscnt 0x0
	v_bfe_i32 v79, v76, 0, 8
                                        ; implicit-def: $vgpr83
	s_delay_alu instid0(VALU_DEP_3) | instskip(SKIP_2) | instid1(VALU_DEP_3)
	v_cndmask_b32_e64 v81, v75, v73, s40
	v_bfe_i32 v75, v78, 0, 8
	v_cndmask_b32_e64 v82, v74, v77, s40
	v_cmp_ge_i32_e64 s41, v81, v16
	s_delay_alu instid0(VALU_DEP_3) | instskip(NEXT) | instid1(VALU_DEP_3)
	v_cmp_lt_i16_e64 s42, v75, v79
	v_cmp_lt_i32_e64 s43, v82, v17
	s_or_b32 s41, s41, s42
	s_wait_alu 0xfffe
	s_and_b32 s42, s43, s41
	s_wait_alu 0xfffe
	s_xor_b32 s41, s42, -1
	s_wait_alu 0xfffe
	s_and_saveexec_b32 s43, s41
	s_wait_alu 0xfffe
	s_xor_b32 s41, exec_lo, s43
; %bb.27:                               ;   in Loop: Header=BB69_2 Depth=1
	ds_load_u8 v83, v81 offset:1
; %bb.28:                               ;   in Loop: Header=BB69_2 Depth=1
	s_wait_alu 0xfffe
	s_or_saveexec_b32 s41, s41
	v_mov_b32_e32 v84, v78
	s_wait_alu 0xfffe
	s_xor_b32 exec_lo, exec_lo, s41
	s_cbranch_execz .LBB69_30
; %bb.29:                               ;   in Loop: Header=BB69_2 Depth=1
	ds_load_u8 v84, v82 offset:1
	s_wait_dscnt 0x1
	v_mov_b32_e32 v83, v76
.LBB69_30:                              ;   in Loop: Header=BB69_2 Depth=1
	s_or_b32 exec_lo, exec_lo, s41
	v_add_nc_u32_e32 v75, 1, v81
	v_add_nc_u32_e32 v77, 1, v82
	s_wait_dscnt 0x0
	v_bfe_i32 v85, v83, 0, 8
	s_delay_alu instid0(VALU_DEP_3) | instskip(SKIP_2) | instid1(VALU_DEP_3)
	v_cndmask_b32_e64 v79, v75, v81, s42
	v_bfe_i32 v75, v84, 0, 8
	v_cndmask_b32_e64 v80, v82, v77, s42
	v_cmp_ge_i32_e64 s41, v79, v16
	s_delay_alu instid0(VALU_DEP_3) | instskip(NEXT) | instid1(VALU_DEP_3)
	v_cmp_lt_i16_e64 s43, v75, v85
	v_cmp_lt_i32_e64 s44, v80, v17
                                        ; implicit-def: $vgpr75
	s_or_b32 s41, s41, s43
	s_wait_alu 0xfffe
	s_and_b32 s41, s44, s41
	s_wait_alu 0xfffe
	s_xor_b32 s43, s41, -1
	s_wait_alu 0xfffe
	s_and_saveexec_b32 s44, s43
	s_delay_alu instid0(SALU_CYCLE_1)
	s_xor_b32 s43, exec_lo, s44
; %bb.31:                               ;   in Loop: Header=BB69_2 Depth=1
	ds_load_u8 v75, v79 offset:1
; %bb.32:                               ;   in Loop: Header=BB69_2 Depth=1
	s_wait_alu 0xfffe
	s_or_saveexec_b32 s43, s43
	v_mov_b32_e32 v77, v84
	s_wait_alu 0xfffe
	s_xor_b32 exec_lo, exec_lo, s43
	s_cbranch_execz .LBB69_34
; %bb.33:                               ;   in Loop: Header=BB69_2 Depth=1
	ds_load_u8 v77, v80 offset:1
	s_wait_dscnt 0x1
	v_mov_b32_e32 v75, v83
.LBB69_34:                              ;   in Loop: Header=BB69_2 Depth=1
	s_or_b32 exec_lo, exec_lo, s43
	v_perm_b32 v85, v67, v1, 0xc0c0004
	v_perm_b32 v1, v1, v67, 0xc0c0004
	;; [unrolled: 1-line block ×5, first 2 shown]
	v_cndmask_b32_e64 v66, v66, v68, s39
	v_cndmask_b32_e64 v1, v1, v85, s7
	v_perm_b32 v65, 0, v3, 0xc0c0001
	v_cndmask_b32_e64 v52, v52, v53, s36
	v_lshl_or_b32 v2, v62, 16, v2
	v_cndmask_b32_e64 v54, v54, v55, s37
	v_lshl_or_b32 v1, v3, 16, v1
	v_lshlrev_b32_e32 v3, 16, v65
	v_cndmask_b32_e64 v55, v56, v57, s37
	v_perm_b32 v62, v2, v2, 0x7060405
	v_add_nc_u32_e32 v64, 1, v79
	v_add_nc_u32_e32 v63, 1, v80
	v_and_or_b32 v3, 0xffff, v1, v3
	v_cndmask_b32_e64 v58, v58, v59, s38
	v_cndmask_b32_e64 v2, v2, v62, s9
	;; [unrolled: 1-line block ×6, first 2 shown]
	v_perm_b32 v62, v2, v2, 0x6070504
	v_cndmask_b32_e64 v76, v76, v78, s42
	v_cmp_ge_i32_e64 s8, v60, v16
	v_perm_b32 v3, v1, v1, 0x7050604
	v_cmp_lt_i32_e64 s9, v57, v17
	v_cndmask_b32_e64 v2, v2, v62, s12
	v_cndmask_b32_e64 v69, v69, v70, s39
	;; [unrolled: 1-line block ×5, first 2 shown]
	v_lshlrev_b16 v62, 8, v2
	s_wait_loadcnt_dscnt 0x0
	s_barrier_signal -1
	v_lshrrev_b32_e32 v3, 16, v1
	s_barrier_wait -1
	global_inv scope:SCOPE_SE
	v_and_b32_e32 v3, 0xff, v3
	s_delay_alu instid0(VALU_DEP_1) | instskip(NEXT) | instid1(VALU_DEP_1)
	v_or_b32_e32 v3, v3, v62
	v_lshlrev_b32_e32 v3, 16, v3
	s_delay_alu instid0(VALU_DEP_1) | instskip(NEXT) | instid1(VALU_DEP_1)
	v_and_or_b32 v3, 0xffff, v1, v3
	v_cndmask_b32_e64 v3, v1, v3, s10
	v_perm_b32 v1, v1, v2, 0x3020107
	s_delay_alu instid0(VALU_DEP_2) | instskip(NEXT) | instid1(VALU_DEP_2)
	v_perm_b32 v62, 0, v3, 0xc0c0001
	v_cndmask_b32_e64 v1, v2, v1, s10
	s_delay_alu instid0(VALU_DEP_2) | instskip(NEXT) | instid1(VALU_DEP_1)
	v_and_or_b32 v62, 0xffff0000, v3, v62
	v_cndmask_b32_e64 v3, v3, v62, s13
	s_delay_alu instid0(VALU_DEP_1) | instskip(NEXT) | instid1(VALU_DEP_1)
	v_lshrrev_b32_e32 v62, 16, v3
	v_perm_b32 v2, 0, v62, 0xc0c0001
	v_perm_b32 v62, v1, v1, 0x7050604
	s_delay_alu instid0(VALU_DEP_2) | instskip(NEXT) | instid1(VALU_DEP_2)
	v_lshlrev_b32_e32 v2, 16, v2
	v_cndmask_b32_e64 v1, v1, v62, s14
	s_delay_alu instid0(VALU_DEP_2) | instskip(NEXT) | instid1(VALU_DEP_2)
	v_and_or_b32 v2, 0xffff, v3, v2
	v_perm_b32 v62, v1, v1, 0x7060405
	s_delay_alu instid0(VALU_DEP_2) | instskip(NEXT) | instid1(VALU_DEP_2)
	v_cndmask_b32_e64 v2, v3, v2, s15
	v_cndmask_b32_e64 v1, v1, v62, s16
	s_delay_alu instid0(VALU_DEP_2) | instskip(NEXT) | instid1(VALU_DEP_2)
	v_perm_b32 v3, v2, v2, 0x7050604
	v_perm_b32 v62, v1, v1, 0x6070504
	s_delay_alu instid0(VALU_DEP_2) | instskip(NEXT) | instid1(VALU_DEP_2)
	v_cndmask_b32_e64 v2, v2, v3, s18
	v_cndmask_b32_e64 v1, v1, v62, s19
	s_delay_alu instid0(VALU_DEP_2) | instskip(NEXT) | instid1(VALU_DEP_2)
	v_lshrrev_b32_e32 v3, 16, v2
	v_lshlrev_b16 v62, 8, v1
	s_delay_alu instid0(VALU_DEP_2) | instskip(NEXT) | instid1(VALU_DEP_1)
	v_and_b32_e32 v3, 0xff, v3
	v_or_b32_e32 v3, v3, v62
	s_delay_alu instid0(VALU_DEP_1) | instskip(NEXT) | instid1(VALU_DEP_1)
	v_lshlrev_b32_e32 v3, 16, v3
	v_and_or_b32 v3, 0xffff, v2, v3
	s_delay_alu instid0(VALU_DEP_1) | instskip(SKIP_1) | instid1(VALU_DEP_2)
	v_cndmask_b32_e64 v3, v2, v3, s17
	v_perm_b32 v2, v2, v1, 0x3020107
	v_perm_b32 v62, 0, v3, 0xc0c0001
	s_delay_alu instid0(VALU_DEP_2) | instskip(NEXT) | instid1(VALU_DEP_2)
	v_cndmask_b32_e64 v1, v1, v2, s17
	v_and_or_b32 v62, 0xffff0000, v3, v62
	s_delay_alu instid0(VALU_DEP_1) | instskip(NEXT) | instid1(VALU_DEP_1)
	v_cndmask_b32_e64 v3, v3, v62, s20
	v_lshrrev_b32_e32 v62, 16, v3
	s_delay_alu instid0(VALU_DEP_1) | instskip(SKIP_1) | instid1(VALU_DEP_2)
	v_perm_b32 v2, 0, v62, 0xc0c0001
	v_perm_b32 v62, v1, v1, 0x7050604
	v_lshlrev_b32_e32 v2, 16, v2
	s_delay_alu instid0(VALU_DEP_2) | instskip(NEXT) | instid1(VALU_DEP_2)
	v_cndmask_b32_e64 v1, v1, v62, s21
	v_and_or_b32 v2, 0xffff, v3, v2
	s_delay_alu instid0(VALU_DEP_2) | instskip(NEXT) | instid1(VALU_DEP_2)
	v_perm_b32 v62, v1, v1, 0x7060405
	v_cndmask_b32_e64 v2, v3, v2, s23
	s_delay_alu instid0(VALU_DEP_2) | instskip(NEXT) | instid1(VALU_DEP_2)
	v_cndmask_b32_e64 v1, v1, v62, s24
	v_perm_b32 v3, v2, v2, 0x7050604
	s_delay_alu instid0(VALU_DEP_2) | instskip(NEXT) | instid1(VALU_DEP_2)
	v_perm_b32 v62, v1, v1, 0x6070504
	v_cndmask_b32_e64 v2, v2, v3, s27
	s_delay_alu instid0(VALU_DEP_2) | instskip(NEXT) | instid1(VALU_DEP_2)
	v_cndmask_b32_e64 v1, v1, v62, s28
	v_lshrrev_b32_e32 v3, 16, v2
	s_delay_alu instid0(VALU_DEP_2) | instskip(NEXT) | instid1(VALU_DEP_2)
	v_lshlrev_b16 v62, 8, v1
	v_and_b32_e32 v3, 0xff, v3
	s_delay_alu instid0(VALU_DEP_1) | instskip(NEXT) | instid1(VALU_DEP_1)
	v_or_b32_e32 v3, v3, v62
	v_lshlrev_b32_e32 v3, 16, v3
	s_delay_alu instid0(VALU_DEP_1) | instskip(NEXT) | instid1(VALU_DEP_1)
	v_and_or_b32 v3, 0xffff, v2, v3
	v_cndmask_b32_e64 v3, v2, v3, s26
	v_perm_b32 v2, v2, v1, 0x3020107
	s_delay_alu instid0(VALU_DEP_2) | instskip(NEXT) | instid1(VALU_DEP_2)
	v_perm_b32 v62, 0, v3, 0xc0c0001
	v_cndmask_b32_e64 v1, v1, v2, s26
	s_delay_alu instid0(VALU_DEP_2) | instskip(NEXT) | instid1(VALU_DEP_2)
	v_and_or_b32 v62, 0xffff0000, v3, v62
	v_perm_b32 v68, v1, v1, 0x7050604
	s_delay_alu instid0(VALU_DEP_2) | instskip(NEXT) | instid1(VALU_DEP_2)
	v_cndmask_b32_e64 v3, v3, v62, s34
	v_cndmask_b32_e64 v1, v1, v68, s33
	;; [unrolled: 1-line block ×3, first 2 shown]
	s_delay_alu instid0(VALU_DEP_3) | instskip(NEXT) | instid1(VALU_DEP_3)
	v_lshrrev_b32_e32 v65, 16, v3
	v_perm_b32 v53, v1, v1, 0x7060405
	s_delay_alu instid0(VALU_DEP_3) | instskip(NEXT) | instid1(VALU_DEP_3)
	v_and_b32_e32 v62, 0xff, v62
	v_perm_b32 v2, 0, v65, 0xc0c0001
	s_delay_alu instid0(VALU_DEP_3) | instskip(SKIP_2) | instid1(VALU_DEP_4)
	v_cndmask_b32_e64 v1, v1, v53, s29
	v_cndmask_b32_e64 v65, v71, v72, s40
	;; [unrolled: 1-line block ×3, first 2 shown]
	v_lshlrev_b32_e32 v2, 16, v2
	s_delay_alu instid0(VALU_DEP_4) | instskip(NEXT) | instid1(VALU_DEP_2)
	v_perm_b32 v56, v1, v1, 0x6070504
	v_and_or_b32 v2, 0xffff, v3, v2
	s_delay_alu instid0(VALU_DEP_2) | instskip(SKIP_1) | instid1(VALU_DEP_3)
	v_cndmask_b32_e64 v1, v1, v56, s30
	v_and_b32_e32 v56, 0xff, v58
	v_cndmask_b32_e64 v2, v3, v2, s35
	v_cndmask_b32_e64 v3, v4, v51, s36
	v_bfe_i32 v4, v75, 0, 8
	v_bfe_i32 v51, v77, 0, 8
	s_delay_alu instid0(VALU_DEP_4) | instskip(NEXT) | instid1(VALU_DEP_2)
	v_perm_b32 v53, v2, v2, 0x7050604
	v_cmp_lt_i16_e64 s7, v51, v4
	v_and_b32_e32 v51, 0xff, v52
	s_delay_alu instid0(VALU_DEP_3)
	v_cndmask_b32_e64 v53, v2, v53, s31
	v_lshlrev_b16 v52, 8, v1
	v_lshlrev_b16 v4, 8, v54
	s_or_b32 s7, s8, s7
	v_lshlrev_b16 v54, 8, v66
	v_lshrrev_b32_e32 v2, 16, v53
	v_perm_b32 v58, v53, v1, 0x3020107
	s_wait_alu 0xfffe
	s_and_b32 s7, s9, s7
	s_wait_alu 0xfffe
	v_cndmask_b32_e64 v61, v75, v77, s7
	v_and_b32_e32 v2, 0xff, v2
	v_cndmask_b32_e64 v1, v1, v58, s22
	v_and_b32_e32 v58, 0xff, v65
	v_or_b32_e32 v65, v51, v4
	v_lshlrev_b16 v4, 8, v61
	v_or_b32_e32 v2, v2, v52
	v_perm_b32 v63, v1, v1, 0x7050604
	v_lshlrev_b16 v52, 8, v76
	v_cndmask_b32_e64 v51, v60, v57, s7
	v_or_b32_e32 v56, v56, v54
	v_lshlrev_b32_e32 v2, 16, v2
	v_or_b32_e32 v57, v62, v4
	v_or_b32_e32 v58, v58, v52
	s_delay_alu instid0(VALU_DEP_4) | instskip(NEXT) | instid1(VALU_DEP_4)
	v_lshlrev_b32_e32 v56, 16, v56
	v_and_or_b32 v64, 0xffff, v53, v2
	v_cndmask_b32_e64 v2, v1, v63, s25
	s_delay_alu instid0(VALU_DEP_4) | instskip(SKIP_1) | instid1(VALU_DEP_4)
	v_and_b32_e32 v58, 0xffff, v58
	v_lshlrev_b32_e32 v57, 16, v57
	v_cndmask_b32_e64 v1, v53, v64, s22
	ds_store_b64 v5, v[1:2]
	s_wait_loadcnt_dscnt 0x0
	s_barrier_signal -1
	s_barrier_wait -1
	global_inv scope:SCOPE_SE
	ds_load_u8 v1, v3
	ds_load_u8 v51, v51
	;; [unrolled: 1-line block ×8, first 2 shown]
	v_and_b32_e32 v55, 0xffff, v65
	s_wait_loadcnt_dscnt 0x0
	s_barrier_signal -1
	s_barrier_wait -1
	global_inv scope:SCOPE_SE
	v_or_b32_e32 v55, v55, v56
	v_or_b32_e32 v56, v58, v57
	ds_store_b64 v5, v[55:56]
	v_mov_b32_e32 v56, v45
	s_wait_loadcnt_dscnt 0x0
	s_barrier_signal -1
	s_barrier_wait -1
	global_inv scope:SCOPE_SE
	s_and_saveexec_b32 s8, s1
	s_cbranch_execz .LBB69_38
; %bb.35:                               ;   in Loop: Header=BB69_2 Depth=1
	v_dual_mov_b32 v56, v45 :: v_dual_mov_b32 v55, v38
	s_mov_b32 s9, 0
.LBB69_36:                              ;   Parent Loop BB69_2 Depth=1
                                        ; =>  This Inner Loop Header: Depth=2
	s_delay_alu instid0(VALU_DEP_1) | instskip(NEXT) | instid1(VALU_DEP_1)
	v_sub_nc_u32_e32 v57, v55, v56
	v_lshrrev_b32_e32 v57, 1, v57
	s_delay_alu instid0(VALU_DEP_1) | instskip(NEXT) | instid1(VALU_DEP_1)
	v_add_nc_u32_e32 v57, v57, v56
	v_add_nc_u32_e32 v58, v7, v57
	v_xad_u32 v59, v57, -1, v31
	v_add_nc_u32_e32 v60, 1, v57
	ds_load_i8 v58, v58
	ds_load_i8 v59, v59
	s_wait_dscnt 0x0
	v_cmp_lt_i16_e64 s7, v59, v58
	s_wait_alu 0xf1ff
	s_delay_alu instid0(VALU_DEP_1) | instskip(SKIP_1) | instid1(VALU_DEP_1)
	v_cndmask_b32_e64 v55, v55, v57, s7
	v_cndmask_b32_e64 v56, v60, v56, s7
	v_cmp_ge_i32_e64 s7, v56, v55
	s_wait_alu 0xfffe
	s_or_b32 s9, s7, s9
	s_wait_alu 0xfffe
	s_and_not1_b32 exec_lo, exec_lo, s9
	s_cbranch_execnz .LBB69_36
; %bb.37:                               ;   in Loop: Header=BB69_2 Depth=1
	s_or_b32 exec_lo, exec_lo, s9
.LBB69_38:                              ;   in Loop: Header=BB69_2 Depth=1
	s_wait_alu 0xfffe
	s_or_b32 exec_lo, exec_lo, s8
	v_add_nc_u32_e32 v55, v56, v7
	v_sub_nc_u32_e32 v56, v31, v56
                                        ; implicit-def: $vgpr59
	ds_load_u8 v57, v55
	ds_load_u8 v58, v56
	v_cmp_le_i32_e64 s7, v18, v55
	v_cmp_gt_i32_e64 s9, v19, v56
	s_wait_dscnt 0x1
	v_bfe_i32 v57, v57, 0, 8
	s_wait_dscnt 0x0
	v_bfe_i32 v58, v58, 0, 8
	s_delay_alu instid0(VALU_DEP_1)
	v_cmp_lt_i16_e64 s8, v58, v57
	s_or_b32 s7, s7, s8
	s_wait_alu 0xfffe
	s_and_b32 s7, s9, s7
	s_wait_alu 0xfffe
	s_xor_b32 s8, s7, -1
	s_wait_alu 0xfffe
	s_and_saveexec_b32 s9, s8
	s_wait_alu 0xfffe
	s_xor_b32 s8, exec_lo, s9
; %bb.39:                               ;   in Loop: Header=BB69_2 Depth=1
	ds_load_u8 v59, v55 offset:1
; %bb.40:                               ;   in Loop: Header=BB69_2 Depth=1
	s_wait_alu 0xfffe
	s_or_saveexec_b32 s8, s8
	v_mov_b32_e32 v60, v58
	s_wait_alu 0xfffe
	s_xor_b32 exec_lo, exec_lo, s8
	s_cbranch_execz .LBB69_42
; %bb.41:                               ;   in Loop: Header=BB69_2 Depth=1
	ds_load_u8 v60, v56 offset:1
	s_wait_dscnt 0x1
	v_mov_b32_e32 v59, v57
.LBB69_42:                              ;   in Loop: Header=BB69_2 Depth=1
	s_or_b32 exec_lo, exec_lo, s8
	v_add_nc_u32_e32 v61, 1, v55
	v_add_nc_u32_e32 v62, 1, v56
	s_wait_dscnt 0x0
	v_bfe_i32 v63, v59, 0, 8
	v_bfe_i32 v64, v60, 0, 8
	v_cndmask_b32_e64 v61, v61, v55, s7
	v_cndmask_b32_e64 v62, v56, v62, s7
	s_delay_alu instid0(VALU_DEP_3) | instskip(NEXT) | instid1(VALU_DEP_3)
	v_cmp_lt_i16_e64 s9, v64, v63
                                        ; implicit-def: $vgpr63
	v_cmp_ge_i32_e64 s8, v61, v18
	s_delay_alu instid0(VALU_DEP_3)
	v_cmp_lt_i32_e64 s10, v62, v19
	s_or_b32 s8, s8, s9
	s_wait_alu 0xfffe
	s_and_b32 s8, s10, s8
	s_wait_alu 0xfffe
	s_xor_b32 s9, s8, -1
	s_wait_alu 0xfffe
	s_and_saveexec_b32 s10, s9
	s_wait_alu 0xfffe
	s_xor_b32 s9, exec_lo, s10
; %bb.43:                               ;   in Loop: Header=BB69_2 Depth=1
	ds_load_u8 v63, v61 offset:1
; %bb.44:                               ;   in Loop: Header=BB69_2 Depth=1
	s_wait_alu 0xfffe
	s_or_saveexec_b32 s9, s9
	v_mov_b32_e32 v64, v60
	s_wait_alu 0xfffe
	s_xor_b32 exec_lo, exec_lo, s9
	s_cbranch_execz .LBB69_46
; %bb.45:                               ;   in Loop: Header=BB69_2 Depth=1
	ds_load_u8 v64, v62 offset:1
	s_wait_dscnt 0x1
	v_mov_b32_e32 v63, v59
.LBB69_46:                              ;   in Loop: Header=BB69_2 Depth=1
	s_or_b32 exec_lo, exec_lo, s9
	v_add_nc_u32_e32 v65, 1, v61
	v_add_nc_u32_e32 v66, 1, v62
	s_wait_dscnt 0x0
	v_bfe_i32 v67, v63, 0, 8
	v_bfe_i32 v68, v64, 0, 8
	v_cndmask_b32_e64 v65, v65, v61, s8
	v_cndmask_b32_e64 v66, v62, v66, s8
	s_delay_alu instid0(VALU_DEP_3) | instskip(NEXT) | instid1(VALU_DEP_3)
	v_cmp_lt_i16_e64 s10, v68, v67
                                        ; implicit-def: $vgpr67
	v_cmp_ge_i32_e64 s9, v65, v18
	s_delay_alu instid0(VALU_DEP_3)
	v_cmp_lt_i32_e64 s11, v66, v19
	s_or_b32 s9, s9, s10
	s_wait_alu 0xfffe
	s_and_b32 s9, s11, s9
	s_wait_alu 0xfffe
	s_xor_b32 s10, s9, -1
	s_wait_alu 0xfffe
	s_and_saveexec_b32 s11, s10
	s_wait_alu 0xfffe
	s_xor_b32 s10, exec_lo, s11
; %bb.47:                               ;   in Loop: Header=BB69_2 Depth=1
	ds_load_u8 v67, v65 offset:1
; %bb.48:                               ;   in Loop: Header=BB69_2 Depth=1
	s_wait_alu 0xfffe
	s_or_saveexec_b32 s10, s10
	v_mov_b32_e32 v68, v64
	s_wait_alu 0xfffe
	s_xor_b32 exec_lo, exec_lo, s10
	s_cbranch_execz .LBB69_50
; %bb.49:                               ;   in Loop: Header=BB69_2 Depth=1
	ds_load_u8 v68, v66 offset:1
	s_wait_dscnt 0x1
	v_mov_b32_e32 v67, v63
.LBB69_50:                              ;   in Loop: Header=BB69_2 Depth=1
	s_or_b32 exec_lo, exec_lo, s10
	v_add_nc_u32_e32 v69, 1, v65
	v_add_nc_u32_e32 v70, 1, v66
	s_wait_dscnt 0x0
	v_bfe_i32 v71, v67, 0, 8
	v_bfe_i32 v72, v68, 0, 8
	v_cndmask_b32_e64 v69, v69, v65, s9
	v_cndmask_b32_e64 v70, v66, v70, s9
	s_delay_alu instid0(VALU_DEP_3) | instskip(NEXT) | instid1(VALU_DEP_3)
	v_cmp_lt_i16_e64 s11, v72, v71
                                        ; implicit-def: $vgpr71
	v_cmp_ge_i32_e64 s10, v69, v18
	s_delay_alu instid0(VALU_DEP_3)
	v_cmp_lt_i32_e64 s12, v70, v19
	s_or_b32 s10, s10, s11
	s_wait_alu 0xfffe
	s_and_b32 s10, s12, s10
	s_wait_alu 0xfffe
	s_xor_b32 s11, s10, -1
	s_wait_alu 0xfffe
	s_and_saveexec_b32 s12, s11
	s_wait_alu 0xfffe
	s_xor_b32 s11, exec_lo, s12
; %bb.51:                               ;   in Loop: Header=BB69_2 Depth=1
	ds_load_u8 v71, v69 offset:1
; %bb.52:                               ;   in Loop: Header=BB69_2 Depth=1
	s_wait_alu 0xfffe
	s_or_saveexec_b32 s11, s11
	v_mov_b32_e32 v72, v68
	s_wait_alu 0xfffe
	s_xor_b32 exec_lo, exec_lo, s11
	s_cbranch_execz .LBB69_54
; %bb.53:                               ;   in Loop: Header=BB69_2 Depth=1
	ds_load_u8 v72, v70 offset:1
	s_wait_dscnt 0x1
	v_mov_b32_e32 v71, v67
.LBB69_54:                              ;   in Loop: Header=BB69_2 Depth=1
	s_or_b32 exec_lo, exec_lo, s11
	v_add_nc_u32_e32 v73, 1, v69
	v_add_nc_u32_e32 v74, 1, v70
	s_wait_dscnt 0x0
	v_bfe_i32 v75, v71, 0, 8
	v_bfe_i32 v76, v72, 0, 8
	v_cndmask_b32_e64 v73, v73, v69, s10
	v_cndmask_b32_e64 v74, v70, v74, s10
	s_delay_alu instid0(VALU_DEP_3) | instskip(NEXT) | instid1(VALU_DEP_3)
	v_cmp_lt_i16_e64 s12, v76, v75
                                        ; implicit-def: $vgpr75
	v_cmp_ge_i32_e64 s11, v73, v18
	s_delay_alu instid0(VALU_DEP_3)
	v_cmp_lt_i32_e64 s13, v74, v19
	s_or_b32 s11, s11, s12
	s_wait_alu 0xfffe
	s_and_b32 s11, s13, s11
	s_wait_alu 0xfffe
	s_xor_b32 s12, s11, -1
	s_wait_alu 0xfffe
	s_and_saveexec_b32 s13, s12
	s_wait_alu 0xfffe
	s_xor_b32 s12, exec_lo, s13
; %bb.55:                               ;   in Loop: Header=BB69_2 Depth=1
	ds_load_u8 v75, v73 offset:1
; %bb.56:                               ;   in Loop: Header=BB69_2 Depth=1
	s_wait_alu 0xfffe
	s_or_saveexec_b32 s12, s12
	v_mov_b32_e32 v76, v72
	s_wait_alu 0xfffe
	s_xor_b32 exec_lo, exec_lo, s12
	s_cbranch_execz .LBB69_58
; %bb.57:                               ;   in Loop: Header=BB69_2 Depth=1
	ds_load_u8 v76, v74 offset:1
	s_wait_dscnt 0x1
	v_mov_b32_e32 v75, v71
.LBB69_58:                              ;   in Loop: Header=BB69_2 Depth=1
	s_or_b32 exec_lo, exec_lo, s12
	v_add_nc_u32_e32 v77, 1, v73
	v_add_nc_u32_e32 v78, 1, v74
	s_wait_dscnt 0x0
	v_bfe_i32 v79, v75, 0, 8
	v_bfe_i32 v80, v76, 0, 8
	v_cndmask_b32_e64 v77, v77, v73, s11
	v_cndmask_b32_e64 v78, v74, v78, s11
	s_delay_alu instid0(VALU_DEP_3) | instskip(NEXT) | instid1(VALU_DEP_3)
	v_cmp_lt_i16_e64 s13, v80, v79
                                        ; implicit-def: $vgpr80
	v_cmp_ge_i32_e64 s12, v77, v18
	s_delay_alu instid0(VALU_DEP_3)
	v_cmp_lt_i32_e64 s14, v78, v19
	s_or_b32 s12, s12, s13
	s_wait_alu 0xfffe
	s_and_b32 s12, s14, s12
	s_wait_alu 0xfffe
	s_xor_b32 s13, s12, -1
	s_wait_alu 0xfffe
	s_and_saveexec_b32 s14, s13
	s_wait_alu 0xfffe
	s_xor_b32 s13, exec_lo, s14
; %bb.59:                               ;   in Loop: Header=BB69_2 Depth=1
	ds_load_u8 v80, v77 offset:1
; %bb.60:                               ;   in Loop: Header=BB69_2 Depth=1
	s_wait_alu 0xfffe
	s_or_saveexec_b32 s13, s13
	v_mov_b32_e32 v82, v76
	s_wait_alu 0xfffe
	s_xor_b32 exec_lo, exec_lo, s13
	s_cbranch_execz .LBB69_62
; %bb.61:                               ;   in Loop: Header=BB69_2 Depth=1
	ds_load_u8 v82, v78 offset:1
	s_wait_dscnt 0x1
	v_mov_b32_e32 v80, v75
.LBB69_62:                              ;   in Loop: Header=BB69_2 Depth=1
	s_or_b32 exec_lo, exec_lo, s13
	v_add_nc_u32_e32 v79, 1, v77
	v_add_nc_u32_e32 v81, 1, v78
	s_wait_dscnt 0x0
	v_bfe_i32 v85, v80, 0, 8
	s_delay_alu instid0(VALU_DEP_3) | instskip(SKIP_2) | instid1(VALU_DEP_3)
	v_cndmask_b32_e64 v83, v79, v77, s12
	v_bfe_i32 v79, v82, 0, 8
	v_cndmask_b32_e64 v84, v78, v81, s12
	v_cmp_ge_i32_e64 s13, v83, v18
	s_delay_alu instid0(VALU_DEP_3) | instskip(NEXT) | instid1(VALU_DEP_3)
	v_cmp_lt_i16_e64 s14, v79, v85
	v_cmp_lt_i32_e64 s15, v84, v19
                                        ; implicit-def: $vgpr79
	s_or_b32 s13, s13, s14
	s_wait_alu 0xfffe
	s_and_b32 s13, s15, s13
	s_wait_alu 0xfffe
	s_xor_b32 s14, s13, -1
	s_wait_alu 0xfffe
	s_and_saveexec_b32 s15, s14
	s_wait_alu 0xfffe
	s_xor_b32 s14, exec_lo, s15
; %bb.63:                               ;   in Loop: Header=BB69_2 Depth=1
	ds_load_u8 v79, v83 offset:1
; %bb.64:                               ;   in Loop: Header=BB69_2 Depth=1
	s_wait_alu 0xfffe
	s_or_saveexec_b32 s14, s14
	v_mov_b32_e32 v81, v82
	s_wait_alu 0xfffe
	s_xor_b32 exec_lo, exec_lo, s14
	s_cbranch_execz .LBB69_66
; %bb.65:                               ;   in Loop: Header=BB69_2 Depth=1
	ds_load_u8 v81, v84 offset:1
	s_wait_dscnt 0x1
	v_mov_b32_e32 v79, v80
.LBB69_66:                              ;   in Loop: Header=BB69_2 Depth=1
	s_or_b32 exec_lo, exec_lo, s14
	v_add_nc_u32_e32 v86, 1, v83
	v_add_nc_u32_e32 v85, 1, v84
	v_cndmask_b32_e64 v80, v80, v82, s13
	v_cndmask_b32_e64 v82, v83, v84, s13
	;; [unrolled: 1-line block ×5, first 2 shown]
	s_wait_dscnt 0x0
	v_bfe_i32 v69, v79, 0, 8
	v_bfe_i32 v70, v81, 0, 8
	v_cndmask_b32_e64 v84, v84, v85, s13
	v_cndmask_b32_e64 v63, v63, v64, s9
	;; [unrolled: 1-line block ×3, first 2 shown]
	v_cmp_ge_i32_e64 s9, v83, v18
	v_cmp_lt_i16_e64 s10, v70, v69
	v_cndmask_b32_e64 v57, v57, v58, s7
	v_cndmask_b32_e64 v55, v55, v56, s7
	v_cmp_lt_i32_e64 s7, v84, v19
	v_perm_b32 v52, v52, v53, 0xc0c0004
	v_perm_b32 v51, v54, v51, 0xc0c0004
	;; [unrolled: 1-line block ×4, first 2 shown]
	v_cndmask_b32_e64 v59, v59, v60, s8
	v_cndmask_b32_e64 v60, v61, v62, s8
	s_or_b32 s8, s9, s10
	v_cndmask_b32_e64 v75, v75, v76, s12
	s_wait_alu 0xfffe
	s_and_b32 s7, s7, s8
	v_cndmask_b32_e64 v71, v71, v72, s11
	s_wait_alu 0xfffe
	v_cndmask_b32_e64 v4, v79, v81, s7
	v_lshl_or_b32 v2, v51, 16, v52
	v_lshl_or_b32 v1, v3, 16, v1
	s_wait_loadcnt 0x0
	s_barrier_signal -1
	s_barrier_wait -1
	global_inv scope:SCOPE_SE
	ds_store_b64 v5, v[1:2]
	v_lshlrev_b16 v1, 8, v59
	v_and_b32_e32 v2, 0xff, v57
	v_lshlrev_b16 v3, 8, v67
	v_and_b32_e32 v51, 0xff, v63
	;; [unrolled: 2-line block ×3, first 2 shown]
	v_and_b32_e32 v56, 0xff, v80
	v_lshlrev_b16 v4, 8, v4
	v_cndmask_b32_e64 v53, v83, v84, s7
	v_cndmask_b32_e64 v76, v77, v78, s12
	;; [unrolled: 1-line block ×3, first 2 shown]
	s_wait_loadcnt_dscnt 0x0
	s_barrier_signal -1
	s_barrier_wait -1
	global_inv scope:SCOPE_SE
	v_or_b32_e32 v57, v2, v1
	v_or_b32_e32 v58, v51, v3
	;; [unrolled: 1-line block ×4, first 2 shown]
	ds_load_u8 v1, v55
	ds_load_u8 v51, v53
	ds_load_u8 v2, v60
	ds_load_u8 v3, v64
	ds_load_u8 v4, v68
	ds_load_u8 v52, v72
	ds_load_u8 v53, v76
	ds_load_u8 v54, v82
	v_and_b32_e32 v55, 0xffff, v57
	v_lshlrev_b32_e32 v57, 16, v58
	v_and_b32_e32 v58, 0xffff, v59
	v_lshlrev_b32_e32 v56, 16, v56
	s_wait_loadcnt_dscnt 0x0
	s_barrier_signal -1
	v_or_b32_e32 v55, v55, v57
	s_barrier_wait -1
	v_or_b32_e32 v56, v58, v56
	global_inv scope:SCOPE_SE
	ds_store_b64 v5, v[55:56]
	v_mov_b32_e32 v56, v46
	s_wait_loadcnt_dscnt 0x0
	s_barrier_signal -1
	s_barrier_wait -1
	global_inv scope:SCOPE_SE
	s_and_saveexec_b32 s8, s2
	s_cbranch_execz .LBB69_70
; %bb.67:                               ;   in Loop: Header=BB69_2 Depth=1
	v_dual_mov_b32 v56, v46 :: v_dual_mov_b32 v55, v39
	s_mov_b32 s9, 0
.LBB69_68:                              ;   Parent Loop BB69_2 Depth=1
                                        ; =>  This Inner Loop Header: Depth=2
	s_delay_alu instid0(VALU_DEP_1) | instskip(NEXT) | instid1(VALU_DEP_1)
	v_sub_nc_u32_e32 v57, v55, v56
	v_lshrrev_b32_e32 v57, 1, v57
	s_delay_alu instid0(VALU_DEP_1) | instskip(NEXT) | instid1(VALU_DEP_1)
	v_add_nc_u32_e32 v57, v57, v56
	v_add_nc_u32_e32 v58, v8, v57
	v_xad_u32 v59, v57, -1, v32
	v_add_nc_u32_e32 v60, 1, v57
	ds_load_i8 v58, v58
	ds_load_i8 v59, v59
	s_wait_dscnt 0x0
	v_cmp_lt_i16_e64 s7, v59, v58
	s_wait_alu 0xf1ff
	s_delay_alu instid0(VALU_DEP_1) | instskip(SKIP_1) | instid1(VALU_DEP_1)
	v_cndmask_b32_e64 v55, v55, v57, s7
	v_cndmask_b32_e64 v56, v60, v56, s7
	v_cmp_ge_i32_e64 s7, v56, v55
	s_wait_alu 0xfffe
	s_or_b32 s9, s7, s9
	s_wait_alu 0xfffe
	s_and_not1_b32 exec_lo, exec_lo, s9
	s_cbranch_execnz .LBB69_68
; %bb.69:                               ;   in Loop: Header=BB69_2 Depth=1
	s_or_b32 exec_lo, exec_lo, s9
.LBB69_70:                              ;   in Loop: Header=BB69_2 Depth=1
	s_wait_alu 0xfffe
	s_or_b32 exec_lo, exec_lo, s8
	v_add_nc_u32_e32 v55, v56, v8
	v_sub_nc_u32_e32 v56, v32, v56
                                        ; implicit-def: $vgpr59
	ds_load_u8 v57, v55
	ds_load_u8 v58, v56
	v_cmp_le_i32_e64 s7, v20, v55
	v_cmp_gt_i32_e64 s9, v21, v56
	s_wait_dscnt 0x1
	v_bfe_i32 v57, v57, 0, 8
	s_wait_dscnt 0x0
	v_bfe_i32 v58, v58, 0, 8
	s_delay_alu instid0(VALU_DEP_1)
	v_cmp_lt_i16_e64 s8, v58, v57
	s_or_b32 s7, s7, s8
	s_wait_alu 0xfffe
	s_and_b32 s7, s9, s7
	s_wait_alu 0xfffe
	s_xor_b32 s8, s7, -1
	s_wait_alu 0xfffe
	s_and_saveexec_b32 s9, s8
	s_wait_alu 0xfffe
	s_xor_b32 s8, exec_lo, s9
; %bb.71:                               ;   in Loop: Header=BB69_2 Depth=1
	ds_load_u8 v59, v55 offset:1
; %bb.72:                               ;   in Loop: Header=BB69_2 Depth=1
	s_wait_alu 0xfffe
	s_or_saveexec_b32 s8, s8
	v_mov_b32_e32 v60, v58
	s_wait_alu 0xfffe
	s_xor_b32 exec_lo, exec_lo, s8
	s_cbranch_execz .LBB69_74
; %bb.73:                               ;   in Loop: Header=BB69_2 Depth=1
	ds_load_u8 v60, v56 offset:1
	s_wait_dscnt 0x1
	v_mov_b32_e32 v59, v57
.LBB69_74:                              ;   in Loop: Header=BB69_2 Depth=1
	s_or_b32 exec_lo, exec_lo, s8
	v_add_nc_u32_e32 v61, 1, v55
	v_add_nc_u32_e32 v62, 1, v56
	s_wait_dscnt 0x0
	v_bfe_i32 v63, v59, 0, 8
	v_bfe_i32 v64, v60, 0, 8
	v_cndmask_b32_e64 v61, v61, v55, s7
	v_cndmask_b32_e64 v62, v56, v62, s7
	s_delay_alu instid0(VALU_DEP_3) | instskip(NEXT) | instid1(VALU_DEP_3)
	v_cmp_lt_i16_e64 s9, v64, v63
                                        ; implicit-def: $vgpr63
	v_cmp_ge_i32_e64 s8, v61, v20
	s_delay_alu instid0(VALU_DEP_3)
	v_cmp_lt_i32_e64 s10, v62, v21
	s_or_b32 s8, s8, s9
	s_wait_alu 0xfffe
	s_and_b32 s8, s10, s8
	s_wait_alu 0xfffe
	s_xor_b32 s9, s8, -1
	s_wait_alu 0xfffe
	s_and_saveexec_b32 s10, s9
	s_wait_alu 0xfffe
	s_xor_b32 s9, exec_lo, s10
; %bb.75:                               ;   in Loop: Header=BB69_2 Depth=1
	ds_load_u8 v63, v61 offset:1
; %bb.76:                               ;   in Loop: Header=BB69_2 Depth=1
	s_wait_alu 0xfffe
	s_or_saveexec_b32 s9, s9
	v_mov_b32_e32 v64, v60
	s_wait_alu 0xfffe
	s_xor_b32 exec_lo, exec_lo, s9
	s_cbranch_execz .LBB69_78
; %bb.77:                               ;   in Loop: Header=BB69_2 Depth=1
	ds_load_u8 v64, v62 offset:1
	s_wait_dscnt 0x1
	v_mov_b32_e32 v63, v59
.LBB69_78:                              ;   in Loop: Header=BB69_2 Depth=1
	s_or_b32 exec_lo, exec_lo, s9
	v_add_nc_u32_e32 v65, 1, v61
	v_add_nc_u32_e32 v66, 1, v62
	s_wait_dscnt 0x0
	v_bfe_i32 v67, v63, 0, 8
	v_bfe_i32 v68, v64, 0, 8
	v_cndmask_b32_e64 v65, v65, v61, s8
	v_cndmask_b32_e64 v66, v62, v66, s8
	s_delay_alu instid0(VALU_DEP_3) | instskip(NEXT) | instid1(VALU_DEP_3)
	v_cmp_lt_i16_e64 s10, v68, v67
                                        ; implicit-def: $vgpr67
	v_cmp_ge_i32_e64 s9, v65, v20
	s_delay_alu instid0(VALU_DEP_3)
	v_cmp_lt_i32_e64 s11, v66, v21
	s_or_b32 s9, s9, s10
	s_wait_alu 0xfffe
	s_and_b32 s9, s11, s9
	s_wait_alu 0xfffe
	s_xor_b32 s10, s9, -1
	s_wait_alu 0xfffe
	s_and_saveexec_b32 s11, s10
	s_wait_alu 0xfffe
	s_xor_b32 s10, exec_lo, s11
; %bb.79:                               ;   in Loop: Header=BB69_2 Depth=1
	ds_load_u8 v67, v65 offset:1
; %bb.80:                               ;   in Loop: Header=BB69_2 Depth=1
	s_wait_alu 0xfffe
	s_or_saveexec_b32 s10, s10
	v_mov_b32_e32 v68, v64
	s_wait_alu 0xfffe
	s_xor_b32 exec_lo, exec_lo, s10
	s_cbranch_execz .LBB69_82
; %bb.81:                               ;   in Loop: Header=BB69_2 Depth=1
	ds_load_u8 v68, v66 offset:1
	s_wait_dscnt 0x1
	v_mov_b32_e32 v67, v63
.LBB69_82:                              ;   in Loop: Header=BB69_2 Depth=1
	s_or_b32 exec_lo, exec_lo, s10
	v_add_nc_u32_e32 v69, 1, v65
	v_add_nc_u32_e32 v70, 1, v66
	s_wait_dscnt 0x0
	v_bfe_i32 v71, v67, 0, 8
	v_bfe_i32 v72, v68, 0, 8
	v_cndmask_b32_e64 v69, v69, v65, s9
	v_cndmask_b32_e64 v70, v66, v70, s9
	s_delay_alu instid0(VALU_DEP_3) | instskip(NEXT) | instid1(VALU_DEP_3)
	v_cmp_lt_i16_e64 s11, v72, v71
                                        ; implicit-def: $vgpr71
	v_cmp_ge_i32_e64 s10, v69, v20
	s_delay_alu instid0(VALU_DEP_3)
	v_cmp_lt_i32_e64 s12, v70, v21
	s_or_b32 s10, s10, s11
	s_wait_alu 0xfffe
	s_and_b32 s10, s12, s10
	s_wait_alu 0xfffe
	s_xor_b32 s11, s10, -1
	s_wait_alu 0xfffe
	s_and_saveexec_b32 s12, s11
	s_wait_alu 0xfffe
	s_xor_b32 s11, exec_lo, s12
; %bb.83:                               ;   in Loop: Header=BB69_2 Depth=1
	ds_load_u8 v71, v69 offset:1
; %bb.84:                               ;   in Loop: Header=BB69_2 Depth=1
	s_wait_alu 0xfffe
	s_or_saveexec_b32 s11, s11
	v_mov_b32_e32 v72, v68
	s_wait_alu 0xfffe
	s_xor_b32 exec_lo, exec_lo, s11
	s_cbranch_execz .LBB69_86
; %bb.85:                               ;   in Loop: Header=BB69_2 Depth=1
	ds_load_u8 v72, v70 offset:1
	s_wait_dscnt 0x1
	v_mov_b32_e32 v71, v67
.LBB69_86:                              ;   in Loop: Header=BB69_2 Depth=1
	s_or_b32 exec_lo, exec_lo, s11
	v_add_nc_u32_e32 v73, 1, v69
	v_add_nc_u32_e32 v74, 1, v70
	s_wait_dscnt 0x0
	v_bfe_i32 v75, v71, 0, 8
	v_bfe_i32 v76, v72, 0, 8
	v_cndmask_b32_e64 v73, v73, v69, s10
	v_cndmask_b32_e64 v74, v70, v74, s10
	s_delay_alu instid0(VALU_DEP_3) | instskip(NEXT) | instid1(VALU_DEP_3)
	v_cmp_lt_i16_e64 s12, v76, v75
                                        ; implicit-def: $vgpr75
	v_cmp_ge_i32_e64 s11, v73, v20
	s_delay_alu instid0(VALU_DEP_3)
	v_cmp_lt_i32_e64 s13, v74, v21
	s_or_b32 s11, s11, s12
	s_wait_alu 0xfffe
	s_and_b32 s11, s13, s11
	s_wait_alu 0xfffe
	s_xor_b32 s12, s11, -1
	s_wait_alu 0xfffe
	s_and_saveexec_b32 s13, s12
	s_wait_alu 0xfffe
	s_xor_b32 s12, exec_lo, s13
; %bb.87:                               ;   in Loop: Header=BB69_2 Depth=1
	ds_load_u8 v75, v73 offset:1
; %bb.88:                               ;   in Loop: Header=BB69_2 Depth=1
	s_wait_alu 0xfffe
	s_or_saveexec_b32 s12, s12
	v_mov_b32_e32 v76, v72
	s_wait_alu 0xfffe
	s_xor_b32 exec_lo, exec_lo, s12
	s_cbranch_execz .LBB69_90
; %bb.89:                               ;   in Loop: Header=BB69_2 Depth=1
	ds_load_u8 v76, v74 offset:1
	s_wait_dscnt 0x1
	v_mov_b32_e32 v75, v71
.LBB69_90:                              ;   in Loop: Header=BB69_2 Depth=1
	s_or_b32 exec_lo, exec_lo, s12
	v_add_nc_u32_e32 v77, 1, v73
	v_add_nc_u32_e32 v78, 1, v74
	s_wait_dscnt 0x0
	v_bfe_i32 v79, v75, 0, 8
	v_bfe_i32 v80, v76, 0, 8
	v_cndmask_b32_e64 v77, v77, v73, s11
	v_cndmask_b32_e64 v78, v74, v78, s11
	s_delay_alu instid0(VALU_DEP_3) | instskip(NEXT) | instid1(VALU_DEP_3)
	v_cmp_lt_i16_e64 s13, v80, v79
                                        ; implicit-def: $vgpr80
	v_cmp_ge_i32_e64 s12, v77, v20
	s_delay_alu instid0(VALU_DEP_3)
	v_cmp_lt_i32_e64 s14, v78, v21
	s_or_b32 s12, s12, s13
	s_wait_alu 0xfffe
	s_and_b32 s12, s14, s12
	s_wait_alu 0xfffe
	s_xor_b32 s13, s12, -1
	s_wait_alu 0xfffe
	s_and_saveexec_b32 s14, s13
	s_wait_alu 0xfffe
	s_xor_b32 s13, exec_lo, s14
; %bb.91:                               ;   in Loop: Header=BB69_2 Depth=1
	ds_load_u8 v80, v77 offset:1
; %bb.92:                               ;   in Loop: Header=BB69_2 Depth=1
	s_wait_alu 0xfffe
	s_or_saveexec_b32 s13, s13
	v_mov_b32_e32 v82, v76
	s_wait_alu 0xfffe
	s_xor_b32 exec_lo, exec_lo, s13
	s_cbranch_execz .LBB69_94
; %bb.93:                               ;   in Loop: Header=BB69_2 Depth=1
	ds_load_u8 v82, v78 offset:1
	s_wait_dscnt 0x1
	v_mov_b32_e32 v80, v75
.LBB69_94:                              ;   in Loop: Header=BB69_2 Depth=1
	s_or_b32 exec_lo, exec_lo, s13
	v_add_nc_u32_e32 v79, 1, v77
	v_add_nc_u32_e32 v81, 1, v78
	s_wait_dscnt 0x0
	v_bfe_i32 v85, v80, 0, 8
	s_delay_alu instid0(VALU_DEP_3) | instskip(SKIP_2) | instid1(VALU_DEP_3)
	v_cndmask_b32_e64 v83, v79, v77, s12
	v_bfe_i32 v79, v82, 0, 8
	v_cndmask_b32_e64 v84, v78, v81, s12
	v_cmp_ge_i32_e64 s13, v83, v20
	s_delay_alu instid0(VALU_DEP_3) | instskip(NEXT) | instid1(VALU_DEP_3)
	v_cmp_lt_i16_e64 s14, v79, v85
	v_cmp_lt_i32_e64 s15, v84, v21
                                        ; implicit-def: $vgpr79
	s_or_b32 s13, s13, s14
	s_wait_alu 0xfffe
	s_and_b32 s13, s15, s13
	s_wait_alu 0xfffe
	s_xor_b32 s14, s13, -1
	s_wait_alu 0xfffe
	s_and_saveexec_b32 s15, s14
	s_wait_alu 0xfffe
	s_xor_b32 s14, exec_lo, s15
; %bb.95:                               ;   in Loop: Header=BB69_2 Depth=1
	ds_load_u8 v79, v83 offset:1
; %bb.96:                               ;   in Loop: Header=BB69_2 Depth=1
	s_wait_alu 0xfffe
	s_or_saveexec_b32 s14, s14
	v_mov_b32_e32 v81, v82
	s_wait_alu 0xfffe
	s_xor_b32 exec_lo, exec_lo, s14
	s_cbranch_execz .LBB69_98
; %bb.97:                               ;   in Loop: Header=BB69_2 Depth=1
	ds_load_u8 v81, v84 offset:1
	s_wait_dscnt 0x1
	v_mov_b32_e32 v79, v80
.LBB69_98:                              ;   in Loop: Header=BB69_2 Depth=1
	s_or_b32 exec_lo, exec_lo, s14
	v_add_nc_u32_e32 v86, 1, v83
	v_add_nc_u32_e32 v85, 1, v84
	v_cndmask_b32_e64 v80, v80, v82, s13
	v_cndmask_b32_e64 v82, v83, v84, s13
	;; [unrolled: 1-line block ×5, first 2 shown]
	s_wait_dscnt 0x0
	v_bfe_i32 v69, v79, 0, 8
	v_bfe_i32 v70, v81, 0, 8
	v_cndmask_b32_e64 v84, v84, v85, s13
	v_cndmask_b32_e64 v63, v63, v64, s9
	;; [unrolled: 1-line block ×3, first 2 shown]
	v_cmp_ge_i32_e64 s9, v83, v20
	v_cmp_lt_i16_e64 s10, v70, v69
	v_cndmask_b32_e64 v57, v57, v58, s7
	v_cndmask_b32_e64 v55, v55, v56, s7
	v_cmp_lt_i32_e64 s7, v84, v21
	v_perm_b32 v52, v52, v53, 0xc0c0004
	v_perm_b32 v51, v54, v51, 0xc0c0004
	v_perm_b32 v1, v1, v2, 0xc0c0004
	v_perm_b32 v3, v3, v4, 0xc0c0004
	v_cndmask_b32_e64 v59, v59, v60, s8
	v_cndmask_b32_e64 v60, v61, v62, s8
	s_or_b32 s8, s9, s10
	v_cndmask_b32_e64 v75, v75, v76, s12
	s_wait_alu 0xfffe
	s_and_b32 s7, s7, s8
	v_cndmask_b32_e64 v71, v71, v72, s11
	s_wait_alu 0xfffe
	v_cndmask_b32_e64 v4, v79, v81, s7
	v_lshl_or_b32 v2, v51, 16, v52
	v_lshl_or_b32 v1, v3, 16, v1
	s_wait_loadcnt 0x0
	s_barrier_signal -1
	s_barrier_wait -1
	global_inv scope:SCOPE_SE
	ds_store_b64 v5, v[1:2]
	v_lshlrev_b16 v1, 8, v59
	v_and_b32_e32 v2, 0xff, v57
	v_lshlrev_b16 v3, 8, v67
	v_and_b32_e32 v51, 0xff, v63
	;; [unrolled: 2-line block ×3, first 2 shown]
	v_and_b32_e32 v56, 0xff, v80
	v_lshlrev_b16 v4, 8, v4
	v_cndmask_b32_e64 v53, v83, v84, s7
	v_cndmask_b32_e64 v76, v77, v78, s12
	;; [unrolled: 1-line block ×3, first 2 shown]
	s_wait_loadcnt_dscnt 0x0
	s_barrier_signal -1
	s_barrier_wait -1
	global_inv scope:SCOPE_SE
	v_or_b32_e32 v57, v2, v1
	v_or_b32_e32 v58, v51, v3
	;; [unrolled: 1-line block ×4, first 2 shown]
	ds_load_u8 v1, v55
	ds_load_u8 v51, v53
	;; [unrolled: 1-line block ×8, first 2 shown]
	v_and_b32_e32 v55, 0xffff, v57
	v_lshlrev_b32_e32 v57, 16, v58
	v_and_b32_e32 v58, 0xffff, v59
	v_lshlrev_b32_e32 v56, 16, v56
	s_wait_loadcnt_dscnt 0x0
	s_barrier_signal -1
	v_or_b32_e32 v55, v55, v57
	s_barrier_wait -1
	v_or_b32_e32 v56, v58, v56
	global_inv scope:SCOPE_SE
	ds_store_b64 v5, v[55:56]
	v_mov_b32_e32 v56, v47
	s_wait_loadcnt_dscnt 0x0
	s_barrier_signal -1
	s_barrier_wait -1
	global_inv scope:SCOPE_SE
	s_and_saveexec_b32 s8, s3
	s_cbranch_execz .LBB69_102
; %bb.99:                               ;   in Loop: Header=BB69_2 Depth=1
	v_dual_mov_b32 v56, v47 :: v_dual_mov_b32 v55, v40
	s_mov_b32 s9, 0
.LBB69_100:                             ;   Parent Loop BB69_2 Depth=1
                                        ; =>  This Inner Loop Header: Depth=2
	s_delay_alu instid0(VALU_DEP_1) | instskip(NEXT) | instid1(VALU_DEP_1)
	v_sub_nc_u32_e32 v57, v55, v56
	v_lshrrev_b32_e32 v57, 1, v57
	s_delay_alu instid0(VALU_DEP_1) | instskip(NEXT) | instid1(VALU_DEP_1)
	v_add_nc_u32_e32 v57, v57, v56
	v_add_nc_u32_e32 v58, v9, v57
	v_xad_u32 v59, v57, -1, v33
	v_add_nc_u32_e32 v60, 1, v57
	ds_load_i8 v58, v58
	ds_load_i8 v59, v59
	s_wait_dscnt 0x0
	v_cmp_lt_i16_e64 s7, v59, v58
	s_wait_alu 0xf1ff
	s_delay_alu instid0(VALU_DEP_1) | instskip(SKIP_1) | instid1(VALU_DEP_1)
	v_cndmask_b32_e64 v55, v55, v57, s7
	v_cndmask_b32_e64 v56, v60, v56, s7
	v_cmp_ge_i32_e64 s7, v56, v55
	s_wait_alu 0xfffe
	s_or_b32 s9, s7, s9
	s_wait_alu 0xfffe
	s_and_not1_b32 exec_lo, exec_lo, s9
	s_cbranch_execnz .LBB69_100
; %bb.101:                              ;   in Loop: Header=BB69_2 Depth=1
	s_or_b32 exec_lo, exec_lo, s9
.LBB69_102:                             ;   in Loop: Header=BB69_2 Depth=1
	s_wait_alu 0xfffe
	s_or_b32 exec_lo, exec_lo, s8
	v_add_nc_u32_e32 v55, v56, v9
	v_sub_nc_u32_e32 v56, v33, v56
                                        ; implicit-def: $vgpr59
	ds_load_u8 v57, v55
	ds_load_u8 v58, v56
	v_cmp_le_i32_e64 s7, v22, v55
	v_cmp_gt_i32_e64 s9, v23, v56
	s_wait_dscnt 0x1
	v_bfe_i32 v57, v57, 0, 8
	s_wait_dscnt 0x0
	v_bfe_i32 v58, v58, 0, 8
	s_delay_alu instid0(VALU_DEP_1)
	v_cmp_lt_i16_e64 s8, v58, v57
	s_or_b32 s7, s7, s8
	s_wait_alu 0xfffe
	s_and_b32 s7, s9, s7
	s_wait_alu 0xfffe
	s_xor_b32 s8, s7, -1
	s_wait_alu 0xfffe
	s_and_saveexec_b32 s9, s8
	s_wait_alu 0xfffe
	s_xor_b32 s8, exec_lo, s9
; %bb.103:                              ;   in Loop: Header=BB69_2 Depth=1
	ds_load_u8 v59, v55 offset:1
; %bb.104:                              ;   in Loop: Header=BB69_2 Depth=1
	s_wait_alu 0xfffe
	s_or_saveexec_b32 s8, s8
	v_mov_b32_e32 v60, v58
	s_wait_alu 0xfffe
	s_xor_b32 exec_lo, exec_lo, s8
	s_cbranch_execz .LBB69_106
; %bb.105:                              ;   in Loop: Header=BB69_2 Depth=1
	ds_load_u8 v60, v56 offset:1
	s_wait_dscnt 0x1
	v_mov_b32_e32 v59, v57
.LBB69_106:                             ;   in Loop: Header=BB69_2 Depth=1
	s_or_b32 exec_lo, exec_lo, s8
	v_add_nc_u32_e32 v61, 1, v55
	v_add_nc_u32_e32 v62, 1, v56
	s_wait_dscnt 0x0
	v_bfe_i32 v63, v59, 0, 8
	v_bfe_i32 v64, v60, 0, 8
	v_cndmask_b32_e64 v61, v61, v55, s7
	v_cndmask_b32_e64 v62, v56, v62, s7
	s_delay_alu instid0(VALU_DEP_3) | instskip(NEXT) | instid1(VALU_DEP_3)
	v_cmp_lt_i16_e64 s9, v64, v63
                                        ; implicit-def: $vgpr63
	v_cmp_ge_i32_e64 s8, v61, v22
	s_delay_alu instid0(VALU_DEP_3)
	v_cmp_lt_i32_e64 s10, v62, v23
	s_or_b32 s8, s8, s9
	s_wait_alu 0xfffe
	s_and_b32 s8, s10, s8
	s_wait_alu 0xfffe
	s_xor_b32 s9, s8, -1
	s_wait_alu 0xfffe
	s_and_saveexec_b32 s10, s9
	s_wait_alu 0xfffe
	s_xor_b32 s9, exec_lo, s10
; %bb.107:                              ;   in Loop: Header=BB69_2 Depth=1
	ds_load_u8 v63, v61 offset:1
; %bb.108:                              ;   in Loop: Header=BB69_2 Depth=1
	s_wait_alu 0xfffe
	s_or_saveexec_b32 s9, s9
	v_mov_b32_e32 v64, v60
	s_wait_alu 0xfffe
	s_xor_b32 exec_lo, exec_lo, s9
	s_cbranch_execz .LBB69_110
; %bb.109:                              ;   in Loop: Header=BB69_2 Depth=1
	ds_load_u8 v64, v62 offset:1
	s_wait_dscnt 0x1
	v_mov_b32_e32 v63, v59
.LBB69_110:                             ;   in Loop: Header=BB69_2 Depth=1
	s_or_b32 exec_lo, exec_lo, s9
	v_add_nc_u32_e32 v65, 1, v61
	v_add_nc_u32_e32 v66, 1, v62
	s_wait_dscnt 0x0
	v_bfe_i32 v67, v63, 0, 8
	v_bfe_i32 v68, v64, 0, 8
	v_cndmask_b32_e64 v65, v65, v61, s8
	v_cndmask_b32_e64 v66, v62, v66, s8
	s_delay_alu instid0(VALU_DEP_3) | instskip(NEXT) | instid1(VALU_DEP_3)
	v_cmp_lt_i16_e64 s10, v68, v67
                                        ; implicit-def: $vgpr67
	v_cmp_ge_i32_e64 s9, v65, v22
	s_delay_alu instid0(VALU_DEP_3)
	v_cmp_lt_i32_e64 s11, v66, v23
	s_or_b32 s9, s9, s10
	s_wait_alu 0xfffe
	s_and_b32 s9, s11, s9
	s_wait_alu 0xfffe
	s_xor_b32 s10, s9, -1
	s_wait_alu 0xfffe
	s_and_saveexec_b32 s11, s10
	s_wait_alu 0xfffe
	s_xor_b32 s10, exec_lo, s11
; %bb.111:                              ;   in Loop: Header=BB69_2 Depth=1
	ds_load_u8 v67, v65 offset:1
; %bb.112:                              ;   in Loop: Header=BB69_2 Depth=1
	s_wait_alu 0xfffe
	s_or_saveexec_b32 s10, s10
	v_mov_b32_e32 v68, v64
	s_wait_alu 0xfffe
	s_xor_b32 exec_lo, exec_lo, s10
	s_cbranch_execz .LBB69_114
; %bb.113:                              ;   in Loop: Header=BB69_2 Depth=1
	ds_load_u8 v68, v66 offset:1
	s_wait_dscnt 0x1
	v_mov_b32_e32 v67, v63
.LBB69_114:                             ;   in Loop: Header=BB69_2 Depth=1
	s_or_b32 exec_lo, exec_lo, s10
	v_add_nc_u32_e32 v69, 1, v65
	v_add_nc_u32_e32 v70, 1, v66
	s_wait_dscnt 0x0
	v_bfe_i32 v71, v67, 0, 8
	v_bfe_i32 v72, v68, 0, 8
	v_cndmask_b32_e64 v69, v69, v65, s9
	v_cndmask_b32_e64 v70, v66, v70, s9
	s_delay_alu instid0(VALU_DEP_3) | instskip(NEXT) | instid1(VALU_DEP_3)
	v_cmp_lt_i16_e64 s11, v72, v71
                                        ; implicit-def: $vgpr71
	v_cmp_ge_i32_e64 s10, v69, v22
	s_delay_alu instid0(VALU_DEP_3)
	v_cmp_lt_i32_e64 s12, v70, v23
	s_or_b32 s10, s10, s11
	s_wait_alu 0xfffe
	s_and_b32 s10, s12, s10
	s_wait_alu 0xfffe
	s_xor_b32 s11, s10, -1
	s_wait_alu 0xfffe
	s_and_saveexec_b32 s12, s11
	s_wait_alu 0xfffe
	s_xor_b32 s11, exec_lo, s12
; %bb.115:                              ;   in Loop: Header=BB69_2 Depth=1
	ds_load_u8 v71, v69 offset:1
; %bb.116:                              ;   in Loop: Header=BB69_2 Depth=1
	s_wait_alu 0xfffe
	s_or_saveexec_b32 s11, s11
	v_mov_b32_e32 v72, v68
	s_wait_alu 0xfffe
	s_xor_b32 exec_lo, exec_lo, s11
	s_cbranch_execz .LBB69_118
; %bb.117:                              ;   in Loop: Header=BB69_2 Depth=1
	ds_load_u8 v72, v70 offset:1
	s_wait_dscnt 0x1
	v_mov_b32_e32 v71, v67
.LBB69_118:                             ;   in Loop: Header=BB69_2 Depth=1
	s_or_b32 exec_lo, exec_lo, s11
	v_add_nc_u32_e32 v73, 1, v69
	v_add_nc_u32_e32 v74, 1, v70
	s_wait_dscnt 0x0
	v_bfe_i32 v75, v71, 0, 8
	v_bfe_i32 v76, v72, 0, 8
	v_cndmask_b32_e64 v73, v73, v69, s10
	v_cndmask_b32_e64 v74, v70, v74, s10
	s_delay_alu instid0(VALU_DEP_3) | instskip(NEXT) | instid1(VALU_DEP_3)
	v_cmp_lt_i16_e64 s12, v76, v75
                                        ; implicit-def: $vgpr75
	v_cmp_ge_i32_e64 s11, v73, v22
	s_delay_alu instid0(VALU_DEP_3)
	v_cmp_lt_i32_e64 s13, v74, v23
	s_or_b32 s11, s11, s12
	s_wait_alu 0xfffe
	s_and_b32 s11, s13, s11
	s_wait_alu 0xfffe
	s_xor_b32 s12, s11, -1
	s_wait_alu 0xfffe
	s_and_saveexec_b32 s13, s12
	s_wait_alu 0xfffe
	s_xor_b32 s12, exec_lo, s13
; %bb.119:                              ;   in Loop: Header=BB69_2 Depth=1
	ds_load_u8 v75, v73 offset:1
; %bb.120:                              ;   in Loop: Header=BB69_2 Depth=1
	s_wait_alu 0xfffe
	s_or_saveexec_b32 s12, s12
	v_mov_b32_e32 v76, v72
	s_wait_alu 0xfffe
	s_xor_b32 exec_lo, exec_lo, s12
	s_cbranch_execz .LBB69_122
; %bb.121:                              ;   in Loop: Header=BB69_2 Depth=1
	ds_load_u8 v76, v74 offset:1
	s_wait_dscnt 0x1
	v_mov_b32_e32 v75, v71
.LBB69_122:                             ;   in Loop: Header=BB69_2 Depth=1
	s_or_b32 exec_lo, exec_lo, s12
	v_add_nc_u32_e32 v77, 1, v73
	v_add_nc_u32_e32 v78, 1, v74
	s_wait_dscnt 0x0
	v_bfe_i32 v79, v75, 0, 8
	v_bfe_i32 v80, v76, 0, 8
	v_cndmask_b32_e64 v77, v77, v73, s11
	v_cndmask_b32_e64 v78, v74, v78, s11
	s_delay_alu instid0(VALU_DEP_3) | instskip(NEXT) | instid1(VALU_DEP_3)
	v_cmp_lt_i16_e64 s13, v80, v79
                                        ; implicit-def: $vgpr80
	v_cmp_ge_i32_e64 s12, v77, v22
	s_delay_alu instid0(VALU_DEP_3)
	v_cmp_lt_i32_e64 s14, v78, v23
	s_or_b32 s12, s12, s13
	s_wait_alu 0xfffe
	s_and_b32 s12, s14, s12
	s_wait_alu 0xfffe
	s_xor_b32 s13, s12, -1
	s_wait_alu 0xfffe
	s_and_saveexec_b32 s14, s13
	s_wait_alu 0xfffe
	s_xor_b32 s13, exec_lo, s14
; %bb.123:                              ;   in Loop: Header=BB69_2 Depth=1
	ds_load_u8 v80, v77 offset:1
; %bb.124:                              ;   in Loop: Header=BB69_2 Depth=1
	s_wait_alu 0xfffe
	s_or_saveexec_b32 s13, s13
	v_mov_b32_e32 v82, v76
	s_wait_alu 0xfffe
	s_xor_b32 exec_lo, exec_lo, s13
	s_cbranch_execz .LBB69_126
; %bb.125:                              ;   in Loop: Header=BB69_2 Depth=1
	ds_load_u8 v82, v78 offset:1
	s_wait_dscnt 0x1
	v_mov_b32_e32 v80, v75
.LBB69_126:                             ;   in Loop: Header=BB69_2 Depth=1
	s_or_b32 exec_lo, exec_lo, s13
	v_add_nc_u32_e32 v79, 1, v77
	v_add_nc_u32_e32 v81, 1, v78
	s_wait_dscnt 0x0
	v_bfe_i32 v85, v80, 0, 8
	s_delay_alu instid0(VALU_DEP_3) | instskip(SKIP_2) | instid1(VALU_DEP_3)
	v_cndmask_b32_e64 v83, v79, v77, s12
	v_bfe_i32 v79, v82, 0, 8
	v_cndmask_b32_e64 v84, v78, v81, s12
	v_cmp_ge_i32_e64 s13, v83, v22
	s_delay_alu instid0(VALU_DEP_3) | instskip(NEXT) | instid1(VALU_DEP_3)
	v_cmp_lt_i16_e64 s14, v79, v85
	v_cmp_lt_i32_e64 s15, v84, v23
                                        ; implicit-def: $vgpr79
	s_or_b32 s13, s13, s14
	s_wait_alu 0xfffe
	s_and_b32 s13, s15, s13
	s_wait_alu 0xfffe
	s_xor_b32 s14, s13, -1
	s_wait_alu 0xfffe
	s_and_saveexec_b32 s15, s14
	s_wait_alu 0xfffe
	s_xor_b32 s14, exec_lo, s15
; %bb.127:                              ;   in Loop: Header=BB69_2 Depth=1
	ds_load_u8 v79, v83 offset:1
; %bb.128:                              ;   in Loop: Header=BB69_2 Depth=1
	s_wait_alu 0xfffe
	s_or_saveexec_b32 s14, s14
	v_mov_b32_e32 v81, v82
	s_wait_alu 0xfffe
	s_xor_b32 exec_lo, exec_lo, s14
	s_cbranch_execz .LBB69_130
; %bb.129:                              ;   in Loop: Header=BB69_2 Depth=1
	ds_load_u8 v81, v84 offset:1
	s_wait_dscnt 0x1
	v_mov_b32_e32 v79, v80
.LBB69_130:                             ;   in Loop: Header=BB69_2 Depth=1
	s_or_b32 exec_lo, exec_lo, s14
	v_add_nc_u32_e32 v86, 1, v83
	v_add_nc_u32_e32 v85, 1, v84
	v_cndmask_b32_e64 v80, v80, v82, s13
	v_cndmask_b32_e64 v82, v83, v84, s13
	;; [unrolled: 1-line block ×5, first 2 shown]
	s_wait_dscnt 0x0
	v_bfe_i32 v69, v79, 0, 8
	v_bfe_i32 v70, v81, 0, 8
	v_cndmask_b32_e64 v84, v84, v85, s13
	v_cndmask_b32_e64 v63, v63, v64, s9
	;; [unrolled: 1-line block ×3, first 2 shown]
	v_cmp_ge_i32_e64 s9, v83, v22
	v_cmp_lt_i16_e64 s10, v70, v69
	v_cndmask_b32_e64 v57, v57, v58, s7
	v_cndmask_b32_e64 v55, v55, v56, s7
	v_cmp_lt_i32_e64 s7, v84, v23
	v_perm_b32 v52, v52, v53, 0xc0c0004
	v_perm_b32 v51, v54, v51, 0xc0c0004
	;; [unrolled: 1-line block ×4, first 2 shown]
	v_cndmask_b32_e64 v59, v59, v60, s8
	v_cndmask_b32_e64 v60, v61, v62, s8
	s_or_b32 s8, s9, s10
	v_cndmask_b32_e64 v75, v75, v76, s12
	s_wait_alu 0xfffe
	s_and_b32 s7, s7, s8
	v_cndmask_b32_e64 v71, v71, v72, s11
	s_wait_alu 0xfffe
	v_cndmask_b32_e64 v4, v79, v81, s7
	v_lshl_or_b32 v2, v51, 16, v52
	v_lshl_or_b32 v1, v3, 16, v1
	s_wait_loadcnt 0x0
	s_barrier_signal -1
	s_barrier_wait -1
	global_inv scope:SCOPE_SE
	ds_store_b64 v5, v[1:2]
	v_lshlrev_b16 v1, 8, v59
	v_and_b32_e32 v2, 0xff, v57
	v_lshlrev_b16 v3, 8, v67
	v_and_b32_e32 v51, 0xff, v63
	;; [unrolled: 2-line block ×3, first 2 shown]
	v_and_b32_e32 v56, 0xff, v80
	v_lshlrev_b16 v4, 8, v4
	v_cndmask_b32_e64 v53, v83, v84, s7
	v_cndmask_b32_e64 v76, v77, v78, s12
	;; [unrolled: 1-line block ×3, first 2 shown]
	s_wait_loadcnt_dscnt 0x0
	s_barrier_signal -1
	s_barrier_wait -1
	global_inv scope:SCOPE_SE
	v_or_b32_e32 v57, v2, v1
	v_or_b32_e32 v58, v51, v3
	;; [unrolled: 1-line block ×4, first 2 shown]
	ds_load_u8 v1, v55
	ds_load_u8 v51, v53
	ds_load_u8 v2, v60
	ds_load_u8 v3, v64
	ds_load_u8 v4, v68
	ds_load_u8 v52, v72
	ds_load_u8 v53, v76
	ds_load_u8 v54, v82
	v_and_b32_e32 v55, 0xffff, v57
	v_lshlrev_b32_e32 v57, 16, v58
	v_and_b32_e32 v58, 0xffff, v59
	v_lshlrev_b32_e32 v56, 16, v56
	s_wait_loadcnt_dscnt 0x0
	s_barrier_signal -1
	v_or_b32_e32 v55, v55, v57
	s_barrier_wait -1
	v_or_b32_e32 v56, v58, v56
	global_inv scope:SCOPE_SE
	ds_store_b64 v5, v[55:56]
	v_mov_b32_e32 v56, v48
	s_wait_loadcnt_dscnt 0x0
	s_barrier_signal -1
	s_barrier_wait -1
	global_inv scope:SCOPE_SE
	s_and_saveexec_b32 s8, s4
	s_cbranch_execz .LBB69_134
; %bb.131:                              ;   in Loop: Header=BB69_2 Depth=1
	v_dual_mov_b32 v56, v48 :: v_dual_mov_b32 v55, v41
	s_mov_b32 s9, 0
.LBB69_132:                             ;   Parent Loop BB69_2 Depth=1
                                        ; =>  This Inner Loop Header: Depth=2
	s_delay_alu instid0(VALU_DEP_1) | instskip(NEXT) | instid1(VALU_DEP_1)
	v_sub_nc_u32_e32 v57, v55, v56
	v_lshrrev_b32_e32 v57, 1, v57
	s_delay_alu instid0(VALU_DEP_1) | instskip(NEXT) | instid1(VALU_DEP_1)
	v_add_nc_u32_e32 v57, v57, v56
	v_add_nc_u32_e32 v58, v10, v57
	v_xad_u32 v59, v57, -1, v34
	v_add_nc_u32_e32 v60, 1, v57
	ds_load_i8 v58, v58
	ds_load_i8 v59, v59
	s_wait_dscnt 0x0
	v_cmp_lt_i16_e64 s7, v59, v58
	s_wait_alu 0xf1ff
	s_delay_alu instid0(VALU_DEP_1) | instskip(SKIP_1) | instid1(VALU_DEP_1)
	v_cndmask_b32_e64 v55, v55, v57, s7
	v_cndmask_b32_e64 v56, v60, v56, s7
	v_cmp_ge_i32_e64 s7, v56, v55
	s_wait_alu 0xfffe
	s_or_b32 s9, s7, s9
	s_wait_alu 0xfffe
	s_and_not1_b32 exec_lo, exec_lo, s9
	s_cbranch_execnz .LBB69_132
; %bb.133:                              ;   in Loop: Header=BB69_2 Depth=1
	s_or_b32 exec_lo, exec_lo, s9
.LBB69_134:                             ;   in Loop: Header=BB69_2 Depth=1
	s_wait_alu 0xfffe
	s_or_b32 exec_lo, exec_lo, s8
	v_add_nc_u32_e32 v55, v56, v10
	v_sub_nc_u32_e32 v56, v34, v56
                                        ; implicit-def: $vgpr59
	ds_load_u8 v57, v55
	ds_load_u8 v58, v56
	v_cmp_le_i32_e64 s7, v24, v55
	v_cmp_gt_i32_e64 s9, v25, v56
	s_wait_dscnt 0x1
	v_bfe_i32 v57, v57, 0, 8
	s_wait_dscnt 0x0
	v_bfe_i32 v58, v58, 0, 8
	s_delay_alu instid0(VALU_DEP_1)
	v_cmp_lt_i16_e64 s8, v58, v57
	s_or_b32 s7, s7, s8
	s_wait_alu 0xfffe
	s_and_b32 s7, s9, s7
	s_wait_alu 0xfffe
	s_xor_b32 s8, s7, -1
	s_wait_alu 0xfffe
	s_and_saveexec_b32 s9, s8
	s_wait_alu 0xfffe
	s_xor_b32 s8, exec_lo, s9
; %bb.135:                              ;   in Loop: Header=BB69_2 Depth=1
	ds_load_u8 v59, v55 offset:1
; %bb.136:                              ;   in Loop: Header=BB69_2 Depth=1
	s_wait_alu 0xfffe
	s_or_saveexec_b32 s8, s8
	v_mov_b32_e32 v60, v58
	s_wait_alu 0xfffe
	s_xor_b32 exec_lo, exec_lo, s8
	s_cbranch_execz .LBB69_138
; %bb.137:                              ;   in Loop: Header=BB69_2 Depth=1
	ds_load_u8 v60, v56 offset:1
	s_wait_dscnt 0x1
	v_mov_b32_e32 v59, v57
.LBB69_138:                             ;   in Loop: Header=BB69_2 Depth=1
	s_or_b32 exec_lo, exec_lo, s8
	v_add_nc_u32_e32 v61, 1, v55
	v_add_nc_u32_e32 v62, 1, v56
	s_wait_dscnt 0x0
	v_bfe_i32 v63, v59, 0, 8
	v_bfe_i32 v64, v60, 0, 8
	v_cndmask_b32_e64 v61, v61, v55, s7
	v_cndmask_b32_e64 v62, v56, v62, s7
	s_delay_alu instid0(VALU_DEP_3) | instskip(NEXT) | instid1(VALU_DEP_3)
	v_cmp_lt_i16_e64 s9, v64, v63
                                        ; implicit-def: $vgpr63
	v_cmp_ge_i32_e64 s8, v61, v24
	s_delay_alu instid0(VALU_DEP_3)
	v_cmp_lt_i32_e64 s10, v62, v25
	s_or_b32 s8, s8, s9
	s_wait_alu 0xfffe
	s_and_b32 s8, s10, s8
	s_wait_alu 0xfffe
	s_xor_b32 s9, s8, -1
	s_wait_alu 0xfffe
	s_and_saveexec_b32 s10, s9
	s_wait_alu 0xfffe
	s_xor_b32 s9, exec_lo, s10
; %bb.139:                              ;   in Loop: Header=BB69_2 Depth=1
	ds_load_u8 v63, v61 offset:1
; %bb.140:                              ;   in Loop: Header=BB69_2 Depth=1
	s_wait_alu 0xfffe
	s_or_saveexec_b32 s9, s9
	v_mov_b32_e32 v64, v60
	s_wait_alu 0xfffe
	s_xor_b32 exec_lo, exec_lo, s9
	s_cbranch_execz .LBB69_142
; %bb.141:                              ;   in Loop: Header=BB69_2 Depth=1
	ds_load_u8 v64, v62 offset:1
	s_wait_dscnt 0x1
	v_mov_b32_e32 v63, v59
.LBB69_142:                             ;   in Loop: Header=BB69_2 Depth=1
	s_or_b32 exec_lo, exec_lo, s9
	v_add_nc_u32_e32 v65, 1, v61
	v_add_nc_u32_e32 v66, 1, v62
	s_wait_dscnt 0x0
	v_bfe_i32 v67, v63, 0, 8
	v_bfe_i32 v68, v64, 0, 8
	v_cndmask_b32_e64 v65, v65, v61, s8
	v_cndmask_b32_e64 v66, v62, v66, s8
	s_delay_alu instid0(VALU_DEP_3) | instskip(NEXT) | instid1(VALU_DEP_3)
	v_cmp_lt_i16_e64 s10, v68, v67
                                        ; implicit-def: $vgpr67
	v_cmp_ge_i32_e64 s9, v65, v24
	s_delay_alu instid0(VALU_DEP_3)
	v_cmp_lt_i32_e64 s11, v66, v25
	s_or_b32 s9, s9, s10
	s_wait_alu 0xfffe
	s_and_b32 s9, s11, s9
	s_wait_alu 0xfffe
	s_xor_b32 s10, s9, -1
	s_wait_alu 0xfffe
	s_and_saveexec_b32 s11, s10
	s_wait_alu 0xfffe
	s_xor_b32 s10, exec_lo, s11
; %bb.143:                              ;   in Loop: Header=BB69_2 Depth=1
	ds_load_u8 v67, v65 offset:1
; %bb.144:                              ;   in Loop: Header=BB69_2 Depth=1
	s_wait_alu 0xfffe
	s_or_saveexec_b32 s10, s10
	v_mov_b32_e32 v68, v64
	s_wait_alu 0xfffe
	s_xor_b32 exec_lo, exec_lo, s10
	s_cbranch_execz .LBB69_146
; %bb.145:                              ;   in Loop: Header=BB69_2 Depth=1
	ds_load_u8 v68, v66 offset:1
	s_wait_dscnt 0x1
	v_mov_b32_e32 v67, v63
.LBB69_146:                             ;   in Loop: Header=BB69_2 Depth=1
	s_or_b32 exec_lo, exec_lo, s10
	v_add_nc_u32_e32 v69, 1, v65
	v_add_nc_u32_e32 v70, 1, v66
	s_wait_dscnt 0x0
	v_bfe_i32 v71, v67, 0, 8
	v_bfe_i32 v72, v68, 0, 8
	v_cndmask_b32_e64 v69, v69, v65, s9
	v_cndmask_b32_e64 v70, v66, v70, s9
	s_delay_alu instid0(VALU_DEP_3) | instskip(NEXT) | instid1(VALU_DEP_3)
	v_cmp_lt_i16_e64 s11, v72, v71
                                        ; implicit-def: $vgpr71
	v_cmp_ge_i32_e64 s10, v69, v24
	s_delay_alu instid0(VALU_DEP_3)
	v_cmp_lt_i32_e64 s12, v70, v25
	s_or_b32 s10, s10, s11
	s_wait_alu 0xfffe
	s_and_b32 s10, s12, s10
	s_wait_alu 0xfffe
	s_xor_b32 s11, s10, -1
	s_wait_alu 0xfffe
	s_and_saveexec_b32 s12, s11
	s_wait_alu 0xfffe
	s_xor_b32 s11, exec_lo, s12
; %bb.147:                              ;   in Loop: Header=BB69_2 Depth=1
	ds_load_u8 v71, v69 offset:1
; %bb.148:                              ;   in Loop: Header=BB69_2 Depth=1
	s_wait_alu 0xfffe
	s_or_saveexec_b32 s11, s11
	v_mov_b32_e32 v72, v68
	s_wait_alu 0xfffe
	s_xor_b32 exec_lo, exec_lo, s11
	s_cbranch_execz .LBB69_150
; %bb.149:                              ;   in Loop: Header=BB69_2 Depth=1
	ds_load_u8 v72, v70 offset:1
	s_wait_dscnt 0x1
	v_mov_b32_e32 v71, v67
.LBB69_150:                             ;   in Loop: Header=BB69_2 Depth=1
	s_or_b32 exec_lo, exec_lo, s11
	v_add_nc_u32_e32 v73, 1, v69
	v_add_nc_u32_e32 v74, 1, v70
	s_wait_dscnt 0x0
	v_bfe_i32 v75, v71, 0, 8
	v_bfe_i32 v76, v72, 0, 8
	v_cndmask_b32_e64 v73, v73, v69, s10
	v_cndmask_b32_e64 v74, v70, v74, s10
	s_delay_alu instid0(VALU_DEP_3) | instskip(NEXT) | instid1(VALU_DEP_3)
	v_cmp_lt_i16_e64 s12, v76, v75
                                        ; implicit-def: $vgpr75
	v_cmp_ge_i32_e64 s11, v73, v24
	s_delay_alu instid0(VALU_DEP_3)
	v_cmp_lt_i32_e64 s13, v74, v25
	s_or_b32 s11, s11, s12
	s_wait_alu 0xfffe
	s_and_b32 s11, s13, s11
	s_wait_alu 0xfffe
	s_xor_b32 s12, s11, -1
	s_wait_alu 0xfffe
	s_and_saveexec_b32 s13, s12
	s_wait_alu 0xfffe
	s_xor_b32 s12, exec_lo, s13
; %bb.151:                              ;   in Loop: Header=BB69_2 Depth=1
	ds_load_u8 v75, v73 offset:1
; %bb.152:                              ;   in Loop: Header=BB69_2 Depth=1
	s_wait_alu 0xfffe
	s_or_saveexec_b32 s12, s12
	v_mov_b32_e32 v76, v72
	s_wait_alu 0xfffe
	s_xor_b32 exec_lo, exec_lo, s12
	s_cbranch_execz .LBB69_154
; %bb.153:                              ;   in Loop: Header=BB69_2 Depth=1
	ds_load_u8 v76, v74 offset:1
	s_wait_dscnt 0x1
	v_mov_b32_e32 v75, v71
.LBB69_154:                             ;   in Loop: Header=BB69_2 Depth=1
	s_or_b32 exec_lo, exec_lo, s12
	v_add_nc_u32_e32 v77, 1, v73
	v_add_nc_u32_e32 v78, 1, v74
	s_wait_dscnt 0x0
	v_bfe_i32 v79, v75, 0, 8
	v_bfe_i32 v80, v76, 0, 8
	v_cndmask_b32_e64 v77, v77, v73, s11
	v_cndmask_b32_e64 v78, v74, v78, s11
	s_delay_alu instid0(VALU_DEP_3) | instskip(NEXT) | instid1(VALU_DEP_3)
	v_cmp_lt_i16_e64 s13, v80, v79
                                        ; implicit-def: $vgpr80
	v_cmp_ge_i32_e64 s12, v77, v24
	s_delay_alu instid0(VALU_DEP_3)
	v_cmp_lt_i32_e64 s14, v78, v25
	s_or_b32 s12, s12, s13
	s_wait_alu 0xfffe
	s_and_b32 s12, s14, s12
	s_wait_alu 0xfffe
	s_xor_b32 s13, s12, -1
	s_wait_alu 0xfffe
	s_and_saveexec_b32 s14, s13
	s_wait_alu 0xfffe
	s_xor_b32 s13, exec_lo, s14
; %bb.155:                              ;   in Loop: Header=BB69_2 Depth=1
	ds_load_u8 v80, v77 offset:1
; %bb.156:                              ;   in Loop: Header=BB69_2 Depth=1
	s_wait_alu 0xfffe
	s_or_saveexec_b32 s13, s13
	v_mov_b32_e32 v82, v76
	s_wait_alu 0xfffe
	s_xor_b32 exec_lo, exec_lo, s13
	s_cbranch_execz .LBB69_158
; %bb.157:                              ;   in Loop: Header=BB69_2 Depth=1
	ds_load_u8 v82, v78 offset:1
	s_wait_dscnt 0x1
	v_mov_b32_e32 v80, v75
.LBB69_158:                             ;   in Loop: Header=BB69_2 Depth=1
	s_or_b32 exec_lo, exec_lo, s13
	v_add_nc_u32_e32 v79, 1, v77
	v_add_nc_u32_e32 v81, 1, v78
	s_wait_dscnt 0x0
	v_bfe_i32 v85, v80, 0, 8
	s_delay_alu instid0(VALU_DEP_3) | instskip(SKIP_2) | instid1(VALU_DEP_3)
	v_cndmask_b32_e64 v83, v79, v77, s12
	v_bfe_i32 v79, v82, 0, 8
	v_cndmask_b32_e64 v84, v78, v81, s12
	v_cmp_ge_i32_e64 s13, v83, v24
	s_delay_alu instid0(VALU_DEP_3) | instskip(NEXT) | instid1(VALU_DEP_3)
	v_cmp_lt_i16_e64 s14, v79, v85
	v_cmp_lt_i32_e64 s15, v84, v25
                                        ; implicit-def: $vgpr79
	s_or_b32 s13, s13, s14
	s_wait_alu 0xfffe
	s_and_b32 s13, s15, s13
	s_wait_alu 0xfffe
	s_xor_b32 s14, s13, -1
	s_wait_alu 0xfffe
	s_and_saveexec_b32 s15, s14
	s_wait_alu 0xfffe
	s_xor_b32 s14, exec_lo, s15
; %bb.159:                              ;   in Loop: Header=BB69_2 Depth=1
	ds_load_u8 v79, v83 offset:1
; %bb.160:                              ;   in Loop: Header=BB69_2 Depth=1
	s_wait_alu 0xfffe
	s_or_saveexec_b32 s14, s14
	v_mov_b32_e32 v81, v82
	s_wait_alu 0xfffe
	s_xor_b32 exec_lo, exec_lo, s14
	s_cbranch_execz .LBB69_162
; %bb.161:                              ;   in Loop: Header=BB69_2 Depth=1
	ds_load_u8 v81, v84 offset:1
	s_wait_dscnt 0x1
	v_mov_b32_e32 v79, v80
.LBB69_162:                             ;   in Loop: Header=BB69_2 Depth=1
	s_or_b32 exec_lo, exec_lo, s14
	v_add_nc_u32_e32 v86, 1, v83
	v_add_nc_u32_e32 v85, 1, v84
	v_cndmask_b32_e64 v80, v80, v82, s13
	v_cndmask_b32_e64 v82, v83, v84, s13
	;; [unrolled: 1-line block ×5, first 2 shown]
	s_wait_dscnt 0x0
	v_bfe_i32 v69, v79, 0, 8
	v_bfe_i32 v70, v81, 0, 8
	v_cndmask_b32_e64 v84, v84, v85, s13
	v_cndmask_b32_e64 v63, v63, v64, s9
	v_cndmask_b32_e64 v64, v65, v66, s9
	v_cmp_ge_i32_e64 s9, v83, v24
	v_cmp_lt_i16_e64 s10, v70, v69
	v_cndmask_b32_e64 v57, v57, v58, s7
	v_cndmask_b32_e64 v55, v55, v56, s7
	v_cmp_lt_i32_e64 s7, v84, v25
	v_perm_b32 v52, v52, v53, 0xc0c0004
	v_perm_b32 v51, v54, v51, 0xc0c0004
	;; [unrolled: 1-line block ×4, first 2 shown]
	v_cndmask_b32_e64 v59, v59, v60, s8
	v_cndmask_b32_e64 v60, v61, v62, s8
	s_or_b32 s8, s9, s10
	v_cndmask_b32_e64 v75, v75, v76, s12
	s_wait_alu 0xfffe
	s_and_b32 s7, s7, s8
	v_cndmask_b32_e64 v71, v71, v72, s11
	s_wait_alu 0xfffe
	v_cndmask_b32_e64 v4, v79, v81, s7
	v_lshl_or_b32 v2, v51, 16, v52
	v_lshl_or_b32 v1, v3, 16, v1
	s_wait_loadcnt 0x0
	s_barrier_signal -1
	s_barrier_wait -1
	global_inv scope:SCOPE_SE
	ds_store_b64 v5, v[1:2]
	v_lshlrev_b16 v1, 8, v59
	v_and_b32_e32 v2, 0xff, v57
	v_lshlrev_b16 v3, 8, v67
	v_and_b32_e32 v51, 0xff, v63
	;; [unrolled: 2-line block ×3, first 2 shown]
	v_and_b32_e32 v56, 0xff, v80
	v_lshlrev_b16 v4, 8, v4
	v_cndmask_b32_e64 v53, v83, v84, s7
	v_cndmask_b32_e64 v76, v77, v78, s12
	;; [unrolled: 1-line block ×3, first 2 shown]
	s_wait_loadcnt_dscnt 0x0
	s_barrier_signal -1
	s_barrier_wait -1
	global_inv scope:SCOPE_SE
	v_or_b32_e32 v57, v2, v1
	v_or_b32_e32 v58, v51, v3
	;; [unrolled: 1-line block ×4, first 2 shown]
	ds_load_u8 v1, v55
	ds_load_u8 v51, v53
	;; [unrolled: 1-line block ×8, first 2 shown]
	v_and_b32_e32 v55, 0xffff, v57
	v_lshlrev_b32_e32 v57, 16, v58
	v_and_b32_e32 v58, 0xffff, v59
	v_lshlrev_b32_e32 v56, 16, v56
	s_wait_loadcnt_dscnt 0x0
	s_barrier_signal -1
	v_or_b32_e32 v55, v55, v57
	s_barrier_wait -1
	v_or_b32_e32 v56, v58, v56
	global_inv scope:SCOPE_SE
	ds_store_b64 v5, v[55:56]
	v_mov_b32_e32 v56, v49
	s_wait_loadcnt_dscnt 0x0
	s_barrier_signal -1
	s_barrier_wait -1
	global_inv scope:SCOPE_SE
	s_and_saveexec_b32 s8, s5
	s_cbranch_execz .LBB69_166
; %bb.163:                              ;   in Loop: Header=BB69_2 Depth=1
	v_dual_mov_b32 v56, v49 :: v_dual_mov_b32 v55, v42
	s_mov_b32 s9, 0
.LBB69_164:                             ;   Parent Loop BB69_2 Depth=1
                                        ; =>  This Inner Loop Header: Depth=2
	s_delay_alu instid0(VALU_DEP_1) | instskip(NEXT) | instid1(VALU_DEP_1)
	v_sub_nc_u32_e32 v57, v55, v56
	v_lshrrev_b32_e32 v57, 1, v57
	s_delay_alu instid0(VALU_DEP_1) | instskip(NEXT) | instid1(VALU_DEP_1)
	v_add_nc_u32_e32 v57, v57, v56
	v_add_nc_u32_e32 v58, v11, v57
	v_xad_u32 v59, v57, -1, v35
	v_add_nc_u32_e32 v60, 1, v57
	ds_load_i8 v58, v58
	ds_load_i8 v59, v59
	s_wait_dscnt 0x0
	v_cmp_lt_i16_e64 s7, v59, v58
	s_wait_alu 0xf1ff
	s_delay_alu instid0(VALU_DEP_1) | instskip(SKIP_1) | instid1(VALU_DEP_1)
	v_cndmask_b32_e64 v55, v55, v57, s7
	v_cndmask_b32_e64 v56, v60, v56, s7
	v_cmp_ge_i32_e64 s7, v56, v55
	s_wait_alu 0xfffe
	s_or_b32 s9, s7, s9
	s_wait_alu 0xfffe
	s_and_not1_b32 exec_lo, exec_lo, s9
	s_cbranch_execnz .LBB69_164
; %bb.165:                              ;   in Loop: Header=BB69_2 Depth=1
	s_or_b32 exec_lo, exec_lo, s9
.LBB69_166:                             ;   in Loop: Header=BB69_2 Depth=1
	s_wait_alu 0xfffe
	s_or_b32 exec_lo, exec_lo, s8
	v_add_nc_u32_e32 v55, v56, v11
	v_sub_nc_u32_e32 v56, v35, v56
                                        ; implicit-def: $vgpr59
	ds_load_u8 v57, v55
	ds_load_u8 v58, v56
	v_cmp_le_i32_e64 s7, v26, v55
	v_cmp_gt_i32_e64 s9, v27, v56
	s_wait_dscnt 0x1
	v_bfe_i32 v57, v57, 0, 8
	s_wait_dscnt 0x0
	v_bfe_i32 v58, v58, 0, 8
	s_delay_alu instid0(VALU_DEP_1)
	v_cmp_lt_i16_e64 s8, v58, v57
	s_or_b32 s7, s7, s8
	s_wait_alu 0xfffe
	s_and_b32 s7, s9, s7
	s_wait_alu 0xfffe
	s_xor_b32 s8, s7, -1
	s_wait_alu 0xfffe
	s_and_saveexec_b32 s9, s8
	s_wait_alu 0xfffe
	s_xor_b32 s8, exec_lo, s9
; %bb.167:                              ;   in Loop: Header=BB69_2 Depth=1
	ds_load_u8 v59, v55 offset:1
; %bb.168:                              ;   in Loop: Header=BB69_2 Depth=1
	s_wait_alu 0xfffe
	s_or_saveexec_b32 s8, s8
	v_mov_b32_e32 v60, v58
	s_wait_alu 0xfffe
	s_xor_b32 exec_lo, exec_lo, s8
	s_cbranch_execz .LBB69_170
; %bb.169:                              ;   in Loop: Header=BB69_2 Depth=1
	ds_load_u8 v60, v56 offset:1
	s_wait_dscnt 0x1
	v_mov_b32_e32 v59, v57
.LBB69_170:                             ;   in Loop: Header=BB69_2 Depth=1
	s_or_b32 exec_lo, exec_lo, s8
	v_add_nc_u32_e32 v61, 1, v55
	v_add_nc_u32_e32 v62, 1, v56
	s_wait_dscnt 0x0
	v_bfe_i32 v63, v59, 0, 8
	v_bfe_i32 v64, v60, 0, 8
	v_cndmask_b32_e64 v61, v61, v55, s7
	v_cndmask_b32_e64 v62, v56, v62, s7
	s_delay_alu instid0(VALU_DEP_3) | instskip(NEXT) | instid1(VALU_DEP_3)
	v_cmp_lt_i16_e64 s9, v64, v63
                                        ; implicit-def: $vgpr63
	v_cmp_ge_i32_e64 s8, v61, v26
	s_delay_alu instid0(VALU_DEP_3)
	v_cmp_lt_i32_e64 s10, v62, v27
	s_or_b32 s8, s8, s9
	s_wait_alu 0xfffe
	s_and_b32 s8, s10, s8
	s_wait_alu 0xfffe
	s_xor_b32 s9, s8, -1
	s_wait_alu 0xfffe
	s_and_saveexec_b32 s10, s9
	s_wait_alu 0xfffe
	s_xor_b32 s9, exec_lo, s10
; %bb.171:                              ;   in Loop: Header=BB69_2 Depth=1
	ds_load_u8 v63, v61 offset:1
; %bb.172:                              ;   in Loop: Header=BB69_2 Depth=1
	s_wait_alu 0xfffe
	s_or_saveexec_b32 s9, s9
	v_mov_b32_e32 v64, v60
	s_wait_alu 0xfffe
	s_xor_b32 exec_lo, exec_lo, s9
	s_cbranch_execz .LBB69_174
; %bb.173:                              ;   in Loop: Header=BB69_2 Depth=1
	ds_load_u8 v64, v62 offset:1
	s_wait_dscnt 0x1
	v_mov_b32_e32 v63, v59
.LBB69_174:                             ;   in Loop: Header=BB69_2 Depth=1
	s_or_b32 exec_lo, exec_lo, s9
	v_add_nc_u32_e32 v65, 1, v61
	v_add_nc_u32_e32 v66, 1, v62
	s_wait_dscnt 0x0
	v_bfe_i32 v67, v63, 0, 8
	v_bfe_i32 v68, v64, 0, 8
	v_cndmask_b32_e64 v65, v65, v61, s8
	v_cndmask_b32_e64 v66, v62, v66, s8
	s_delay_alu instid0(VALU_DEP_3) | instskip(NEXT) | instid1(VALU_DEP_3)
	v_cmp_lt_i16_e64 s10, v68, v67
                                        ; implicit-def: $vgpr67
	v_cmp_ge_i32_e64 s9, v65, v26
	s_delay_alu instid0(VALU_DEP_3)
	v_cmp_lt_i32_e64 s11, v66, v27
	s_or_b32 s9, s9, s10
	s_wait_alu 0xfffe
	s_and_b32 s9, s11, s9
	s_wait_alu 0xfffe
	s_xor_b32 s10, s9, -1
	s_wait_alu 0xfffe
	s_and_saveexec_b32 s11, s10
	s_wait_alu 0xfffe
	s_xor_b32 s10, exec_lo, s11
; %bb.175:                              ;   in Loop: Header=BB69_2 Depth=1
	ds_load_u8 v67, v65 offset:1
; %bb.176:                              ;   in Loop: Header=BB69_2 Depth=1
	s_wait_alu 0xfffe
	s_or_saveexec_b32 s10, s10
	v_mov_b32_e32 v68, v64
	s_wait_alu 0xfffe
	s_xor_b32 exec_lo, exec_lo, s10
	s_cbranch_execz .LBB69_178
; %bb.177:                              ;   in Loop: Header=BB69_2 Depth=1
	ds_load_u8 v68, v66 offset:1
	s_wait_dscnt 0x1
	v_mov_b32_e32 v67, v63
.LBB69_178:                             ;   in Loop: Header=BB69_2 Depth=1
	s_or_b32 exec_lo, exec_lo, s10
	v_add_nc_u32_e32 v69, 1, v65
	v_add_nc_u32_e32 v70, 1, v66
	s_wait_dscnt 0x0
	v_bfe_i32 v71, v67, 0, 8
	v_bfe_i32 v72, v68, 0, 8
	v_cndmask_b32_e64 v69, v69, v65, s9
	v_cndmask_b32_e64 v70, v66, v70, s9
	s_delay_alu instid0(VALU_DEP_3) | instskip(NEXT) | instid1(VALU_DEP_3)
	v_cmp_lt_i16_e64 s11, v72, v71
                                        ; implicit-def: $vgpr71
	v_cmp_ge_i32_e64 s10, v69, v26
	s_delay_alu instid0(VALU_DEP_3)
	v_cmp_lt_i32_e64 s12, v70, v27
	s_or_b32 s10, s10, s11
	s_wait_alu 0xfffe
	s_and_b32 s10, s12, s10
	s_wait_alu 0xfffe
	s_xor_b32 s11, s10, -1
	s_wait_alu 0xfffe
	s_and_saveexec_b32 s12, s11
	s_wait_alu 0xfffe
	s_xor_b32 s11, exec_lo, s12
; %bb.179:                              ;   in Loop: Header=BB69_2 Depth=1
	ds_load_u8 v71, v69 offset:1
; %bb.180:                              ;   in Loop: Header=BB69_2 Depth=1
	s_wait_alu 0xfffe
	s_or_saveexec_b32 s11, s11
	v_mov_b32_e32 v72, v68
	s_wait_alu 0xfffe
	s_xor_b32 exec_lo, exec_lo, s11
	s_cbranch_execz .LBB69_182
; %bb.181:                              ;   in Loop: Header=BB69_2 Depth=1
	ds_load_u8 v72, v70 offset:1
	s_wait_dscnt 0x1
	v_mov_b32_e32 v71, v67
.LBB69_182:                             ;   in Loop: Header=BB69_2 Depth=1
	s_or_b32 exec_lo, exec_lo, s11
	v_add_nc_u32_e32 v73, 1, v69
	v_add_nc_u32_e32 v74, 1, v70
	s_wait_dscnt 0x0
	v_bfe_i32 v75, v71, 0, 8
	v_bfe_i32 v76, v72, 0, 8
	v_cndmask_b32_e64 v73, v73, v69, s10
	v_cndmask_b32_e64 v74, v70, v74, s10
	s_delay_alu instid0(VALU_DEP_3) | instskip(NEXT) | instid1(VALU_DEP_3)
	v_cmp_lt_i16_e64 s12, v76, v75
                                        ; implicit-def: $vgpr75
	v_cmp_ge_i32_e64 s11, v73, v26
	s_delay_alu instid0(VALU_DEP_3)
	v_cmp_lt_i32_e64 s13, v74, v27
	s_or_b32 s11, s11, s12
	s_wait_alu 0xfffe
	s_and_b32 s11, s13, s11
	s_wait_alu 0xfffe
	s_xor_b32 s12, s11, -1
	s_wait_alu 0xfffe
	s_and_saveexec_b32 s13, s12
	s_wait_alu 0xfffe
	s_xor_b32 s12, exec_lo, s13
; %bb.183:                              ;   in Loop: Header=BB69_2 Depth=1
	ds_load_u8 v75, v73 offset:1
; %bb.184:                              ;   in Loop: Header=BB69_2 Depth=1
	s_wait_alu 0xfffe
	s_or_saveexec_b32 s12, s12
	v_mov_b32_e32 v76, v72
	s_wait_alu 0xfffe
	s_xor_b32 exec_lo, exec_lo, s12
	s_cbranch_execz .LBB69_186
; %bb.185:                              ;   in Loop: Header=BB69_2 Depth=1
	ds_load_u8 v76, v74 offset:1
	s_wait_dscnt 0x1
	v_mov_b32_e32 v75, v71
.LBB69_186:                             ;   in Loop: Header=BB69_2 Depth=1
	s_or_b32 exec_lo, exec_lo, s12
	v_add_nc_u32_e32 v77, 1, v73
	v_add_nc_u32_e32 v78, 1, v74
	s_wait_dscnt 0x0
	v_bfe_i32 v79, v75, 0, 8
	v_bfe_i32 v80, v76, 0, 8
	v_cndmask_b32_e64 v77, v77, v73, s11
	v_cndmask_b32_e64 v78, v74, v78, s11
	s_delay_alu instid0(VALU_DEP_3) | instskip(NEXT) | instid1(VALU_DEP_3)
	v_cmp_lt_i16_e64 s13, v80, v79
                                        ; implicit-def: $vgpr80
	v_cmp_ge_i32_e64 s12, v77, v26
	s_delay_alu instid0(VALU_DEP_3)
	v_cmp_lt_i32_e64 s14, v78, v27
	s_or_b32 s12, s12, s13
	s_wait_alu 0xfffe
	s_and_b32 s12, s14, s12
	s_wait_alu 0xfffe
	s_xor_b32 s13, s12, -1
	s_wait_alu 0xfffe
	s_and_saveexec_b32 s14, s13
	s_wait_alu 0xfffe
	s_xor_b32 s13, exec_lo, s14
; %bb.187:                              ;   in Loop: Header=BB69_2 Depth=1
	ds_load_u8 v80, v77 offset:1
; %bb.188:                              ;   in Loop: Header=BB69_2 Depth=1
	s_wait_alu 0xfffe
	s_or_saveexec_b32 s13, s13
	v_mov_b32_e32 v82, v76
	s_wait_alu 0xfffe
	s_xor_b32 exec_lo, exec_lo, s13
	s_cbranch_execz .LBB69_190
; %bb.189:                              ;   in Loop: Header=BB69_2 Depth=1
	ds_load_u8 v82, v78 offset:1
	s_wait_dscnt 0x1
	v_mov_b32_e32 v80, v75
.LBB69_190:                             ;   in Loop: Header=BB69_2 Depth=1
	s_or_b32 exec_lo, exec_lo, s13
	v_add_nc_u32_e32 v79, 1, v77
	v_add_nc_u32_e32 v81, 1, v78
	s_wait_dscnt 0x0
	v_bfe_i32 v85, v80, 0, 8
	s_delay_alu instid0(VALU_DEP_3) | instskip(SKIP_2) | instid1(VALU_DEP_3)
	v_cndmask_b32_e64 v83, v79, v77, s12
	v_bfe_i32 v79, v82, 0, 8
	v_cndmask_b32_e64 v84, v78, v81, s12
	v_cmp_ge_i32_e64 s13, v83, v26
	s_delay_alu instid0(VALU_DEP_3) | instskip(NEXT) | instid1(VALU_DEP_3)
	v_cmp_lt_i16_e64 s14, v79, v85
	v_cmp_lt_i32_e64 s15, v84, v27
                                        ; implicit-def: $vgpr79
	s_or_b32 s13, s13, s14
	s_wait_alu 0xfffe
	s_and_b32 s13, s15, s13
	s_wait_alu 0xfffe
	s_xor_b32 s14, s13, -1
	s_wait_alu 0xfffe
	s_and_saveexec_b32 s15, s14
	s_wait_alu 0xfffe
	s_xor_b32 s14, exec_lo, s15
; %bb.191:                              ;   in Loop: Header=BB69_2 Depth=1
	ds_load_u8 v79, v83 offset:1
; %bb.192:                              ;   in Loop: Header=BB69_2 Depth=1
	s_wait_alu 0xfffe
	s_or_saveexec_b32 s14, s14
	v_mov_b32_e32 v81, v82
	s_wait_alu 0xfffe
	s_xor_b32 exec_lo, exec_lo, s14
	s_cbranch_execz .LBB69_194
; %bb.193:                              ;   in Loop: Header=BB69_2 Depth=1
	ds_load_u8 v81, v84 offset:1
	s_wait_dscnt 0x1
	v_mov_b32_e32 v79, v80
.LBB69_194:                             ;   in Loop: Header=BB69_2 Depth=1
	s_or_b32 exec_lo, exec_lo, s14
	v_add_nc_u32_e32 v86, 1, v83
	v_add_nc_u32_e32 v85, 1, v84
	v_cndmask_b32_e64 v80, v80, v82, s13
	v_cndmask_b32_e64 v82, v83, v84, s13
	;; [unrolled: 1-line block ×5, first 2 shown]
	s_wait_dscnt 0x0
	v_bfe_i32 v69, v79, 0, 8
	v_bfe_i32 v70, v81, 0, 8
	v_cndmask_b32_e64 v84, v84, v85, s13
	v_cndmask_b32_e64 v63, v63, v64, s9
	;; [unrolled: 1-line block ×3, first 2 shown]
	v_cmp_ge_i32_e64 s9, v83, v26
	v_cmp_lt_i16_e64 s10, v70, v69
	v_cndmask_b32_e64 v57, v57, v58, s7
	v_cndmask_b32_e64 v55, v55, v56, s7
	v_cmp_lt_i32_e64 s7, v84, v27
	v_perm_b32 v52, v52, v53, 0xc0c0004
	v_perm_b32 v51, v54, v51, 0xc0c0004
	;; [unrolled: 1-line block ×4, first 2 shown]
	v_cndmask_b32_e64 v59, v59, v60, s8
	v_cndmask_b32_e64 v60, v61, v62, s8
	s_or_b32 s8, s9, s10
	v_cndmask_b32_e64 v75, v75, v76, s12
	s_wait_alu 0xfffe
	s_and_b32 s7, s7, s8
	v_cndmask_b32_e64 v71, v71, v72, s11
	s_wait_alu 0xfffe
	v_cndmask_b32_e64 v4, v79, v81, s7
	v_lshl_or_b32 v2, v51, 16, v52
	v_lshl_or_b32 v1, v3, 16, v1
	s_wait_loadcnt 0x0
	s_barrier_signal -1
	s_barrier_wait -1
	global_inv scope:SCOPE_SE
	ds_store_b64 v5, v[1:2]
	v_lshlrev_b16 v1, 8, v59
	v_and_b32_e32 v2, 0xff, v57
	v_lshlrev_b16 v3, 8, v67
	v_and_b32_e32 v51, 0xff, v63
	;; [unrolled: 2-line block ×3, first 2 shown]
	v_and_b32_e32 v56, 0xff, v80
	v_lshlrev_b16 v4, 8, v4
	v_cndmask_b32_e64 v53, v83, v84, s7
	v_cndmask_b32_e64 v76, v77, v78, s12
	;; [unrolled: 1-line block ×3, first 2 shown]
	s_wait_loadcnt_dscnt 0x0
	s_barrier_signal -1
	s_barrier_wait -1
	global_inv scope:SCOPE_SE
	v_or_b32_e32 v57, v2, v1
	v_or_b32_e32 v58, v51, v3
	;; [unrolled: 1-line block ×4, first 2 shown]
	ds_load_u8 v1, v55
	ds_load_u8 v51, v53
	ds_load_u8 v2, v60
	ds_load_u8 v3, v64
	ds_load_u8 v4, v68
	ds_load_u8 v52, v72
	ds_load_u8 v53, v76
	ds_load_u8 v54, v82
	v_and_b32_e32 v55, 0xffff, v57
	v_lshlrev_b32_e32 v57, 16, v58
	v_and_b32_e32 v58, 0xffff, v59
	v_lshlrev_b32_e32 v56, 16, v56
	s_wait_loadcnt_dscnt 0x0
	s_barrier_signal -1
	v_or_b32_e32 v55, v55, v57
	s_barrier_wait -1
	v_or_b32_e32 v56, v58, v56
	global_inv scope:SCOPE_SE
	ds_store_b64 v5, v[55:56]
	v_mov_b32_e32 v56, v50
	s_wait_loadcnt_dscnt 0x0
	s_barrier_signal -1
	s_barrier_wait -1
	global_inv scope:SCOPE_SE
	s_and_saveexec_b32 s8, s6
	s_cbranch_execz .LBB69_198
; %bb.195:                              ;   in Loop: Header=BB69_2 Depth=1
	v_dual_mov_b32 v56, v50 :: v_dual_mov_b32 v55, v43
	s_mov_b32 s9, 0
.LBB69_196:                             ;   Parent Loop BB69_2 Depth=1
                                        ; =>  This Inner Loop Header: Depth=2
	s_delay_alu instid0(VALU_DEP_1) | instskip(NEXT) | instid1(VALU_DEP_1)
	v_sub_nc_u32_e32 v57, v55, v56
	v_lshrrev_b32_e32 v57, 1, v57
	s_delay_alu instid0(VALU_DEP_1) | instskip(NEXT) | instid1(VALU_DEP_1)
	v_add_nc_u32_e32 v57, v57, v56
	v_add_nc_u32_e32 v58, v12, v57
	v_xad_u32 v59, v57, -1, v36
	v_add_nc_u32_e32 v60, 1, v57
	ds_load_i8 v58, v58
	ds_load_i8 v59, v59
	s_wait_dscnt 0x0
	v_cmp_lt_i16_e64 s7, v59, v58
	s_wait_alu 0xf1ff
	s_delay_alu instid0(VALU_DEP_1) | instskip(SKIP_1) | instid1(VALU_DEP_1)
	v_cndmask_b32_e64 v55, v55, v57, s7
	v_cndmask_b32_e64 v56, v60, v56, s7
	v_cmp_ge_i32_e64 s7, v56, v55
	s_wait_alu 0xfffe
	s_or_b32 s9, s7, s9
	s_wait_alu 0xfffe
	s_and_not1_b32 exec_lo, exec_lo, s9
	s_cbranch_execnz .LBB69_196
; %bb.197:                              ;   in Loop: Header=BB69_2 Depth=1
	s_or_b32 exec_lo, exec_lo, s9
.LBB69_198:                             ;   in Loop: Header=BB69_2 Depth=1
	s_wait_alu 0xfffe
	s_or_b32 exec_lo, exec_lo, s8
	v_add_nc_u32_e32 v55, v56, v12
	v_sub_nc_u32_e32 v56, v36, v56
                                        ; implicit-def: $vgpr59
	ds_load_u8 v57, v55
	ds_load_u8 v58, v56
	v_cmp_le_i32_e64 s7, v28, v55
	v_cmp_gt_i32_e64 s9, v29, v56
	s_wait_dscnt 0x1
	v_bfe_i32 v57, v57, 0, 8
	s_wait_dscnt 0x0
	v_bfe_i32 v58, v58, 0, 8
	s_delay_alu instid0(VALU_DEP_1)
	v_cmp_lt_i16_e64 s8, v58, v57
	s_or_b32 s7, s7, s8
	s_wait_alu 0xfffe
	s_and_b32 s7, s9, s7
	s_wait_alu 0xfffe
	s_xor_b32 s8, s7, -1
	s_wait_alu 0xfffe
	s_and_saveexec_b32 s9, s8
	s_wait_alu 0xfffe
	s_xor_b32 s8, exec_lo, s9
; %bb.199:                              ;   in Loop: Header=BB69_2 Depth=1
	ds_load_u8 v59, v55 offset:1
; %bb.200:                              ;   in Loop: Header=BB69_2 Depth=1
	s_wait_alu 0xfffe
	s_or_saveexec_b32 s8, s8
	v_mov_b32_e32 v60, v58
	s_wait_alu 0xfffe
	s_xor_b32 exec_lo, exec_lo, s8
	s_cbranch_execz .LBB69_202
; %bb.201:                              ;   in Loop: Header=BB69_2 Depth=1
	ds_load_u8 v60, v56 offset:1
	s_wait_dscnt 0x1
	v_mov_b32_e32 v59, v57
.LBB69_202:                             ;   in Loop: Header=BB69_2 Depth=1
	s_or_b32 exec_lo, exec_lo, s8
	v_add_nc_u32_e32 v61, 1, v55
	v_add_nc_u32_e32 v62, 1, v56
	s_wait_dscnt 0x0
	v_bfe_i32 v63, v59, 0, 8
	v_bfe_i32 v64, v60, 0, 8
	v_cndmask_b32_e64 v61, v61, v55, s7
	v_cndmask_b32_e64 v62, v56, v62, s7
	s_delay_alu instid0(VALU_DEP_3) | instskip(NEXT) | instid1(VALU_DEP_3)
	v_cmp_lt_i16_e64 s9, v64, v63
                                        ; implicit-def: $vgpr63
	v_cmp_ge_i32_e64 s8, v61, v28
	s_delay_alu instid0(VALU_DEP_3)
	v_cmp_lt_i32_e64 s10, v62, v29
	s_or_b32 s8, s8, s9
	s_wait_alu 0xfffe
	s_and_b32 s8, s10, s8
	s_wait_alu 0xfffe
	s_xor_b32 s9, s8, -1
	s_wait_alu 0xfffe
	s_and_saveexec_b32 s10, s9
	s_wait_alu 0xfffe
	s_xor_b32 s9, exec_lo, s10
; %bb.203:                              ;   in Loop: Header=BB69_2 Depth=1
	ds_load_u8 v63, v61 offset:1
; %bb.204:                              ;   in Loop: Header=BB69_2 Depth=1
	s_wait_alu 0xfffe
	s_or_saveexec_b32 s9, s9
	v_mov_b32_e32 v64, v60
	s_wait_alu 0xfffe
	s_xor_b32 exec_lo, exec_lo, s9
	s_cbranch_execz .LBB69_206
; %bb.205:                              ;   in Loop: Header=BB69_2 Depth=1
	ds_load_u8 v64, v62 offset:1
	s_wait_dscnt 0x1
	v_mov_b32_e32 v63, v59
.LBB69_206:                             ;   in Loop: Header=BB69_2 Depth=1
	s_or_b32 exec_lo, exec_lo, s9
	v_add_nc_u32_e32 v65, 1, v61
	v_add_nc_u32_e32 v66, 1, v62
	s_wait_dscnt 0x0
	v_bfe_i32 v67, v63, 0, 8
	v_bfe_i32 v68, v64, 0, 8
	v_cndmask_b32_e64 v65, v65, v61, s8
	v_cndmask_b32_e64 v66, v62, v66, s8
	s_delay_alu instid0(VALU_DEP_3) | instskip(NEXT) | instid1(VALU_DEP_3)
	v_cmp_lt_i16_e64 s10, v68, v67
                                        ; implicit-def: $vgpr67
	v_cmp_ge_i32_e64 s9, v65, v28
	s_delay_alu instid0(VALU_DEP_3)
	v_cmp_lt_i32_e64 s11, v66, v29
	s_or_b32 s9, s9, s10
	s_wait_alu 0xfffe
	s_and_b32 s9, s11, s9
	s_wait_alu 0xfffe
	s_xor_b32 s10, s9, -1
	s_wait_alu 0xfffe
	s_and_saveexec_b32 s11, s10
	s_wait_alu 0xfffe
	s_xor_b32 s10, exec_lo, s11
; %bb.207:                              ;   in Loop: Header=BB69_2 Depth=1
	ds_load_u8 v67, v65 offset:1
; %bb.208:                              ;   in Loop: Header=BB69_2 Depth=1
	s_wait_alu 0xfffe
	s_or_saveexec_b32 s10, s10
	v_mov_b32_e32 v68, v64
	s_wait_alu 0xfffe
	s_xor_b32 exec_lo, exec_lo, s10
	s_cbranch_execz .LBB69_210
; %bb.209:                              ;   in Loop: Header=BB69_2 Depth=1
	ds_load_u8 v68, v66 offset:1
	s_wait_dscnt 0x1
	v_mov_b32_e32 v67, v63
.LBB69_210:                             ;   in Loop: Header=BB69_2 Depth=1
	s_or_b32 exec_lo, exec_lo, s10
	v_add_nc_u32_e32 v69, 1, v65
	v_add_nc_u32_e32 v70, 1, v66
	s_wait_dscnt 0x0
	v_bfe_i32 v71, v67, 0, 8
	v_bfe_i32 v72, v68, 0, 8
	v_cndmask_b32_e64 v69, v69, v65, s9
	v_cndmask_b32_e64 v70, v66, v70, s9
	s_delay_alu instid0(VALU_DEP_3) | instskip(NEXT) | instid1(VALU_DEP_3)
	v_cmp_lt_i16_e64 s11, v72, v71
                                        ; implicit-def: $vgpr71
	v_cmp_ge_i32_e64 s10, v69, v28
	s_delay_alu instid0(VALU_DEP_3)
	v_cmp_lt_i32_e64 s12, v70, v29
	s_or_b32 s10, s10, s11
	s_wait_alu 0xfffe
	s_and_b32 s10, s12, s10
	s_wait_alu 0xfffe
	s_xor_b32 s11, s10, -1
	s_wait_alu 0xfffe
	s_and_saveexec_b32 s12, s11
	s_wait_alu 0xfffe
	s_xor_b32 s11, exec_lo, s12
; %bb.211:                              ;   in Loop: Header=BB69_2 Depth=1
	ds_load_u8 v71, v69 offset:1
; %bb.212:                              ;   in Loop: Header=BB69_2 Depth=1
	s_wait_alu 0xfffe
	s_or_saveexec_b32 s11, s11
	v_mov_b32_e32 v72, v68
	s_wait_alu 0xfffe
	s_xor_b32 exec_lo, exec_lo, s11
	s_cbranch_execz .LBB69_214
; %bb.213:                              ;   in Loop: Header=BB69_2 Depth=1
	ds_load_u8 v72, v70 offset:1
	s_wait_dscnt 0x1
	v_mov_b32_e32 v71, v67
.LBB69_214:                             ;   in Loop: Header=BB69_2 Depth=1
	s_or_b32 exec_lo, exec_lo, s11
	v_add_nc_u32_e32 v73, 1, v69
	v_add_nc_u32_e32 v74, 1, v70
	s_wait_dscnt 0x0
	v_bfe_i32 v75, v71, 0, 8
	v_bfe_i32 v76, v72, 0, 8
	v_cndmask_b32_e64 v73, v73, v69, s10
	v_cndmask_b32_e64 v74, v70, v74, s10
	s_delay_alu instid0(VALU_DEP_3) | instskip(NEXT) | instid1(VALU_DEP_3)
	v_cmp_lt_i16_e64 s12, v76, v75
                                        ; implicit-def: $vgpr75
	v_cmp_ge_i32_e64 s11, v73, v28
	s_delay_alu instid0(VALU_DEP_3)
	v_cmp_lt_i32_e64 s13, v74, v29
	s_or_b32 s11, s11, s12
	s_wait_alu 0xfffe
	s_and_b32 s11, s13, s11
	s_wait_alu 0xfffe
	s_xor_b32 s12, s11, -1
	s_wait_alu 0xfffe
	s_and_saveexec_b32 s13, s12
	s_wait_alu 0xfffe
	s_xor_b32 s12, exec_lo, s13
; %bb.215:                              ;   in Loop: Header=BB69_2 Depth=1
	ds_load_u8 v75, v73 offset:1
; %bb.216:                              ;   in Loop: Header=BB69_2 Depth=1
	s_wait_alu 0xfffe
	s_or_saveexec_b32 s12, s12
	v_mov_b32_e32 v76, v72
	s_wait_alu 0xfffe
	s_xor_b32 exec_lo, exec_lo, s12
	s_cbranch_execz .LBB69_218
; %bb.217:                              ;   in Loop: Header=BB69_2 Depth=1
	ds_load_u8 v76, v74 offset:1
	s_wait_dscnt 0x1
	v_mov_b32_e32 v75, v71
.LBB69_218:                             ;   in Loop: Header=BB69_2 Depth=1
	s_or_b32 exec_lo, exec_lo, s12
	v_add_nc_u32_e32 v77, 1, v73
	v_add_nc_u32_e32 v78, 1, v74
	s_wait_dscnt 0x0
	v_bfe_i32 v79, v75, 0, 8
	v_bfe_i32 v80, v76, 0, 8
	v_cndmask_b32_e64 v77, v77, v73, s11
	v_cndmask_b32_e64 v78, v74, v78, s11
	s_delay_alu instid0(VALU_DEP_3) | instskip(NEXT) | instid1(VALU_DEP_3)
	v_cmp_lt_i16_e64 s13, v80, v79
                                        ; implicit-def: $vgpr80
	v_cmp_ge_i32_e64 s12, v77, v28
	s_delay_alu instid0(VALU_DEP_3)
	v_cmp_lt_i32_e64 s14, v78, v29
	s_or_b32 s12, s12, s13
	s_wait_alu 0xfffe
	s_and_b32 s12, s14, s12
	s_wait_alu 0xfffe
	s_xor_b32 s13, s12, -1
	s_wait_alu 0xfffe
	s_and_saveexec_b32 s14, s13
	s_wait_alu 0xfffe
	s_xor_b32 s13, exec_lo, s14
; %bb.219:                              ;   in Loop: Header=BB69_2 Depth=1
	ds_load_u8 v80, v77 offset:1
; %bb.220:                              ;   in Loop: Header=BB69_2 Depth=1
	s_wait_alu 0xfffe
	s_or_saveexec_b32 s13, s13
	v_mov_b32_e32 v82, v76
	s_wait_alu 0xfffe
	s_xor_b32 exec_lo, exec_lo, s13
	s_cbranch_execz .LBB69_222
; %bb.221:                              ;   in Loop: Header=BB69_2 Depth=1
	ds_load_u8 v82, v78 offset:1
	s_wait_dscnt 0x1
	v_mov_b32_e32 v80, v75
.LBB69_222:                             ;   in Loop: Header=BB69_2 Depth=1
	s_or_b32 exec_lo, exec_lo, s13
	v_add_nc_u32_e32 v79, 1, v77
	v_add_nc_u32_e32 v81, 1, v78
	s_wait_dscnt 0x0
	v_bfe_i32 v85, v80, 0, 8
	s_delay_alu instid0(VALU_DEP_3) | instskip(SKIP_2) | instid1(VALU_DEP_3)
	v_cndmask_b32_e64 v83, v79, v77, s12
	v_bfe_i32 v79, v82, 0, 8
	v_cndmask_b32_e64 v84, v78, v81, s12
	v_cmp_ge_i32_e64 s13, v83, v28
	s_delay_alu instid0(VALU_DEP_3) | instskip(NEXT) | instid1(VALU_DEP_3)
	v_cmp_lt_i16_e64 s14, v79, v85
	v_cmp_lt_i32_e64 s15, v84, v29
                                        ; implicit-def: $vgpr79
	s_or_b32 s13, s13, s14
	s_wait_alu 0xfffe
	s_and_b32 s13, s15, s13
	s_wait_alu 0xfffe
	s_xor_b32 s14, s13, -1
	s_wait_alu 0xfffe
	s_and_saveexec_b32 s15, s14
	s_wait_alu 0xfffe
	s_xor_b32 s14, exec_lo, s15
; %bb.223:                              ;   in Loop: Header=BB69_2 Depth=1
	ds_load_u8 v79, v83 offset:1
; %bb.224:                              ;   in Loop: Header=BB69_2 Depth=1
	s_wait_alu 0xfffe
	s_or_saveexec_b32 s14, s14
	v_mov_b32_e32 v81, v82
	s_wait_alu 0xfffe
	s_xor_b32 exec_lo, exec_lo, s14
	s_cbranch_execz .LBB69_226
; %bb.225:                              ;   in Loop: Header=BB69_2 Depth=1
	ds_load_u8 v81, v84 offset:1
	s_wait_dscnt 0x1
	v_mov_b32_e32 v79, v80
.LBB69_226:                             ;   in Loop: Header=BB69_2 Depth=1
	s_or_b32 exec_lo, exec_lo, s14
	v_add_nc_u32_e32 v86, 1, v83
	v_add_nc_u32_e32 v85, 1, v84
	v_cndmask_b32_e64 v80, v80, v82, s13
	v_cndmask_b32_e64 v82, v83, v84, s13
	;; [unrolled: 1-line block ×5, first 2 shown]
	s_wait_dscnt 0x0
	v_bfe_i32 v69, v79, 0, 8
	v_bfe_i32 v70, v81, 0, 8
	v_cndmask_b32_e64 v84, v84, v85, s13
	v_cndmask_b32_e64 v63, v63, v64, s9
	;; [unrolled: 1-line block ×3, first 2 shown]
	v_cmp_ge_i32_e64 s9, v83, v28
	v_cmp_lt_i16_e64 s10, v70, v69
	v_cndmask_b32_e64 v57, v57, v58, s7
	v_cndmask_b32_e64 v55, v55, v56, s7
	v_cmp_lt_i32_e64 s7, v84, v29
	v_perm_b32 v52, v52, v53, 0xc0c0004
	v_perm_b32 v51, v54, v51, 0xc0c0004
	;; [unrolled: 1-line block ×4, first 2 shown]
	v_cndmask_b32_e64 v59, v59, v60, s8
	v_cndmask_b32_e64 v60, v61, v62, s8
	s_or_b32 s8, s9, s10
	v_cndmask_b32_e64 v75, v75, v76, s12
	s_wait_alu 0xfffe
	s_and_b32 s7, s7, s8
	v_cndmask_b32_e64 v71, v71, v72, s11
	s_wait_alu 0xfffe
	v_cndmask_b32_e64 v4, v79, v81, s7
	v_lshl_or_b32 v2, v51, 16, v52
	v_lshl_or_b32 v1, v3, 16, v1
	s_wait_loadcnt 0x0
	s_barrier_signal -1
	s_barrier_wait -1
	global_inv scope:SCOPE_SE
	ds_store_b64 v5, v[1:2]
	v_lshlrev_b16 v1, 8, v59
	v_and_b32_e32 v2, 0xff, v57
	v_lshlrev_b16 v3, 8, v67
	v_and_b32_e32 v51, 0xff, v63
	;; [unrolled: 2-line block ×3, first 2 shown]
	v_and_b32_e32 v56, 0xff, v80
	v_lshlrev_b16 v4, 8, v4
	v_cndmask_b32_e64 v53, v83, v84, s7
	v_cndmask_b32_e64 v76, v77, v78, s12
	;; [unrolled: 1-line block ×3, first 2 shown]
	s_wait_loadcnt_dscnt 0x0
	s_barrier_signal -1
	s_barrier_wait -1
	global_inv scope:SCOPE_SE
	v_or_b32_e32 v57, v2, v1
	v_or_b32_e32 v58, v51, v3
	;; [unrolled: 1-line block ×4, first 2 shown]
	ds_load_u8 v1, v55
	ds_load_u8 v51, v53
	;; [unrolled: 1-line block ×8, first 2 shown]
	v_and_b32_e32 v55, 0xffff, v57
	v_lshlrev_b32_e32 v57, 16, v58
	v_and_b32_e32 v58, 0xffff, v59
	v_lshlrev_b32_e32 v56, 16, v56
	s_wait_loadcnt_dscnt 0x0
	s_barrier_signal -1
	v_or_b32_e32 v55, v55, v57
	s_barrier_wait -1
	v_or_b32_e32 v56, v58, v56
	global_inv scope:SCOPE_SE
	ds_store_b64 v5, v[55:56]
	v_mov_b32_e32 v55, v13
	s_wait_loadcnt_dscnt 0x0
	s_barrier_signal -1
	s_barrier_wait -1
	global_inv scope:SCOPE_SE
	s_and_saveexec_b32 s8, vcc_lo
	s_cbranch_execz .LBB69_230
; %bb.227:                              ;   in Loop: Header=BB69_2 Depth=1
	v_dual_mov_b32 v55, v13 :: v_dual_mov_b32 v56, v14
	s_mov_b32 s9, 0
.LBB69_228:                             ;   Parent Loop BB69_2 Depth=1
                                        ; =>  This Inner Loop Header: Depth=2
	s_delay_alu instid0(VALU_DEP_1) | instskip(NEXT) | instid1(VALU_DEP_1)
	v_sub_nc_u32_e32 v57, v56, v55
	v_lshrrev_b32_e32 v57, 1, v57
	s_delay_alu instid0(VALU_DEP_1) | instskip(NEXT) | instid1(VALU_DEP_1)
	v_add_nc_u32_e32 v57, v57, v55
	v_xad_u32 v58, v57, -1, v15
	v_add_nc_u32_e32 v60, 1, v57
	ds_load_i8 v59, v57
	ds_load_i8 v58, v58
	s_wait_dscnt 0x0
	v_cmp_lt_i16_e64 s7, v58, v59
	s_wait_alu 0xf1ff
	s_delay_alu instid0(VALU_DEP_1) | instskip(SKIP_1) | instid1(VALU_DEP_1)
	v_cndmask_b32_e64 v56, v56, v57, s7
	v_cndmask_b32_e64 v55, v60, v55, s7
	v_cmp_ge_i32_e64 s7, v55, v56
	s_wait_alu 0xfffe
	s_or_b32 s9, s7, s9
	s_wait_alu 0xfffe
	s_and_not1_b32 exec_lo, exec_lo, s9
	s_cbranch_execnz .LBB69_228
; %bb.229:                              ;   in Loop: Header=BB69_2 Depth=1
	s_or_b32 exec_lo, exec_lo, s9
.LBB69_230:                             ;   in Loop: Header=BB69_2 Depth=1
	s_wait_alu 0xfffe
	s_or_b32 exec_lo, exec_lo, s8
	v_sub_nc_u32_e32 v56, v15, v55
	v_cmp_le_i32_e64 s7, 0x400, v55
                                        ; implicit-def: $vgpr59
	ds_load_u8 v57, v55
	ds_load_u8 v58, v56
	v_cmp_gt_i32_e64 s9, 0x800, v56
	s_wait_dscnt 0x1
	v_bfe_i32 v57, v57, 0, 8
	s_wait_dscnt 0x0
	v_bfe_i32 v58, v58, 0, 8
	s_delay_alu instid0(VALU_DEP_1)
	v_cmp_lt_i16_e64 s8, v58, v57
	s_or_b32 s7, s7, s8
	s_wait_alu 0xfffe
	s_and_b32 s7, s9, s7
	s_wait_alu 0xfffe
	s_xor_b32 s8, s7, -1
	s_wait_alu 0xfffe
	s_and_saveexec_b32 s9, s8
	s_wait_alu 0xfffe
	s_xor_b32 s8, exec_lo, s9
; %bb.231:                              ;   in Loop: Header=BB69_2 Depth=1
	ds_load_u8 v59, v55 offset:1
; %bb.232:                              ;   in Loop: Header=BB69_2 Depth=1
	s_wait_alu 0xfffe
	s_or_saveexec_b32 s8, s8
	v_mov_b32_e32 v62, v58
	s_wait_alu 0xfffe
	s_xor_b32 exec_lo, exec_lo, s8
	s_cbranch_execz .LBB69_234
; %bb.233:                              ;   in Loop: Header=BB69_2 Depth=1
	ds_load_u8 v62, v56 offset:1
	s_wait_dscnt 0x1
	v_mov_b32_e32 v59, v57
.LBB69_234:                             ;   in Loop: Header=BB69_2 Depth=1
	s_or_b32 exec_lo, exec_lo, s8
	v_add_nc_u32_e32 v60, 1, v55
	v_add_nc_u32_e32 v61, 1, v56
	s_wait_dscnt 0x0
	v_bfe_i32 v63, v59, 0, 8
	v_bfe_i32 v64, v62, 0, 8
	v_cndmask_b32_e64 v60, v60, v55, s7
	v_cndmask_b32_e64 v61, v56, v61, s7
	s_delay_alu instid0(VALU_DEP_3) | instskip(NEXT) | instid1(VALU_DEP_3)
	v_cmp_lt_i16_e64 s9, v64, v63
                                        ; implicit-def: $vgpr63
	v_cmp_le_i32_e64 s8, 0x400, v60
	s_delay_alu instid0(VALU_DEP_3)
	v_cmp_gt_i32_e64 s10, 0x800, v61
	s_or_b32 s8, s8, s9
	s_wait_alu 0xfffe
	s_and_b32 s8, s10, s8
	s_wait_alu 0xfffe
	s_xor_b32 s9, s8, -1
	s_wait_alu 0xfffe
	s_and_saveexec_b32 s10, s9
	s_wait_alu 0xfffe
	s_xor_b32 s9, exec_lo, s10
; %bb.235:                              ;   in Loop: Header=BB69_2 Depth=1
	ds_load_u8 v63, v60 offset:1
; %bb.236:                              ;   in Loop: Header=BB69_2 Depth=1
	s_wait_alu 0xfffe
	s_or_saveexec_b32 s9, s9
	v_mov_b32_e32 v65, v62
	s_wait_alu 0xfffe
	s_xor_b32 exec_lo, exec_lo, s9
	s_cbranch_execz .LBB69_238
; %bb.237:                              ;   in Loop: Header=BB69_2 Depth=1
	ds_load_u8 v65, v61 offset:1
	s_wait_dscnt 0x1
	v_mov_b32_e32 v63, v59
.LBB69_238:                             ;   in Loop: Header=BB69_2 Depth=1
	s_or_b32 exec_lo, exec_lo, s9
	v_add_nc_u32_e32 v64, 1, v60
	v_add_nc_u32_e32 v66, 1, v61
	s_wait_dscnt 0x0
	v_bfe_i32 v67, v63, 0, 8
	v_bfe_i32 v68, v65, 0, 8
	v_cndmask_b32_e64 v64, v64, v60, s8
	v_cndmask_b32_e64 v66, v61, v66, s8
	s_delay_alu instid0(VALU_DEP_3) | instskip(NEXT) | instid1(VALU_DEP_3)
	v_cmp_lt_i16_e64 s10, v68, v67
                                        ; implicit-def: $vgpr67
	v_cmp_le_i32_e64 s9, 0x400, v64
	s_delay_alu instid0(VALU_DEP_3)
	v_cmp_gt_i32_e64 s11, 0x800, v66
	s_or_b32 s9, s9, s10
	s_wait_alu 0xfffe
	s_and_b32 s9, s11, s9
	s_wait_alu 0xfffe
	s_xor_b32 s10, s9, -1
	s_wait_alu 0xfffe
	s_and_saveexec_b32 s11, s10
	s_wait_alu 0xfffe
	s_xor_b32 s10, exec_lo, s11
; %bb.239:                              ;   in Loop: Header=BB69_2 Depth=1
	ds_load_u8 v67, v64 offset:1
; %bb.240:                              ;   in Loop: Header=BB69_2 Depth=1
	s_wait_alu 0xfffe
	s_or_saveexec_b32 s10, s10
	v_mov_b32_e32 v68, v65
	s_wait_alu 0xfffe
	s_xor_b32 exec_lo, exec_lo, s10
	s_cbranch_execz .LBB69_242
; %bb.241:                              ;   in Loop: Header=BB69_2 Depth=1
	ds_load_u8 v68, v66 offset:1
	s_wait_dscnt 0x1
	v_mov_b32_e32 v67, v63
.LBB69_242:                             ;   in Loop: Header=BB69_2 Depth=1
	s_or_b32 exec_lo, exec_lo, s10
	v_add_nc_u32_e32 v69, 1, v64
	v_add_nc_u32_e32 v70, 1, v66
	s_wait_dscnt 0x0
	v_bfe_i32 v71, v67, 0, 8
	v_bfe_i32 v72, v68, 0, 8
	v_cndmask_b32_e64 v69, v69, v64, s9
	v_cndmask_b32_e64 v70, v66, v70, s9
	s_delay_alu instid0(VALU_DEP_3) | instskip(NEXT) | instid1(VALU_DEP_3)
	v_cmp_lt_i16_e64 s11, v72, v71
                                        ; implicit-def: $vgpr71
	v_cmp_le_i32_e64 s10, 0x400, v69
	s_delay_alu instid0(VALU_DEP_3)
	v_cmp_gt_i32_e64 s12, 0x800, v70
	s_or_b32 s10, s10, s11
	s_wait_alu 0xfffe
	s_and_b32 s10, s12, s10
	s_wait_alu 0xfffe
	s_xor_b32 s11, s10, -1
	s_wait_alu 0xfffe
	s_and_saveexec_b32 s12, s11
	s_wait_alu 0xfffe
	s_xor_b32 s11, exec_lo, s12
; %bb.243:                              ;   in Loop: Header=BB69_2 Depth=1
	ds_load_u8 v71, v69 offset:1
; %bb.244:                              ;   in Loop: Header=BB69_2 Depth=1
	s_wait_alu 0xfffe
	s_or_saveexec_b32 s11, s11
	v_mov_b32_e32 v72, v68
	s_wait_alu 0xfffe
	s_xor_b32 exec_lo, exec_lo, s11
	s_cbranch_execz .LBB69_246
; %bb.245:                              ;   in Loop: Header=BB69_2 Depth=1
	ds_load_u8 v72, v70 offset:1
	s_wait_dscnt 0x1
	v_mov_b32_e32 v71, v67
.LBB69_246:                             ;   in Loop: Header=BB69_2 Depth=1
	s_or_b32 exec_lo, exec_lo, s11
	v_add_nc_u32_e32 v73, 1, v69
	v_add_nc_u32_e32 v74, 1, v70
	s_wait_dscnt 0x0
	v_bfe_i32 v75, v71, 0, 8
	v_bfe_i32 v76, v72, 0, 8
	v_cndmask_b32_e64 v73, v73, v69, s10
	v_cndmask_b32_e64 v74, v70, v74, s10
	s_delay_alu instid0(VALU_DEP_3) | instskip(NEXT) | instid1(VALU_DEP_3)
	v_cmp_lt_i16_e64 s12, v76, v75
                                        ; implicit-def: $vgpr75
	v_cmp_le_i32_e64 s11, 0x400, v73
	s_delay_alu instid0(VALU_DEP_3)
	v_cmp_gt_i32_e64 s13, 0x800, v74
	s_or_b32 s11, s11, s12
	s_wait_alu 0xfffe
	s_and_b32 s11, s13, s11
	s_wait_alu 0xfffe
	s_xor_b32 s12, s11, -1
	s_wait_alu 0xfffe
	s_and_saveexec_b32 s13, s12
	s_wait_alu 0xfffe
	s_xor_b32 s12, exec_lo, s13
; %bb.247:                              ;   in Loop: Header=BB69_2 Depth=1
	ds_load_u8 v75, v73 offset:1
; %bb.248:                              ;   in Loop: Header=BB69_2 Depth=1
	s_wait_alu 0xfffe
	s_or_saveexec_b32 s12, s12
	v_mov_b32_e32 v76, v72
	s_wait_alu 0xfffe
	s_xor_b32 exec_lo, exec_lo, s12
	s_cbranch_execz .LBB69_250
; %bb.249:                              ;   in Loop: Header=BB69_2 Depth=1
	ds_load_u8 v76, v74 offset:1
	s_wait_dscnt 0x1
	v_mov_b32_e32 v75, v71
.LBB69_250:                             ;   in Loop: Header=BB69_2 Depth=1
	s_or_b32 exec_lo, exec_lo, s12
	v_add_nc_u32_e32 v77, 1, v73
	v_add_nc_u32_e32 v79, 1, v74
	s_wait_dscnt 0x0
	v_bfe_i32 v80, v75, 0, 8
	s_delay_alu instid0(VALU_DEP_3) | instskip(SKIP_2) | instid1(VALU_DEP_3)
	v_cndmask_b32_e64 v78, v77, v73, s11
	v_bfe_i32 v77, v76, 0, 8
	v_cndmask_b32_e64 v79, v74, v79, s11
	v_cmp_le_i32_e64 s12, 0x400, v78
	s_delay_alu instid0(VALU_DEP_3) | instskip(NEXT) | instid1(VALU_DEP_3)
	v_cmp_lt_i16_e64 s13, v77, v80
	v_cmp_gt_i32_e64 s14, 0x800, v79
                                        ; implicit-def: $vgpr80
	s_or_b32 s12, s12, s13
	s_wait_alu 0xfffe
	s_and_b32 s12, s14, s12
	s_wait_alu 0xfffe
	s_xor_b32 s13, s12, -1
	s_wait_alu 0xfffe
	s_and_saveexec_b32 s14, s13
	s_wait_alu 0xfffe
	s_xor_b32 s13, exec_lo, s14
; %bb.251:                              ;   in Loop: Header=BB69_2 Depth=1
	ds_load_u8 v80, v78 offset:1
; %bb.252:                              ;   in Loop: Header=BB69_2 Depth=1
	s_wait_alu 0xfffe
	s_or_saveexec_b32 s13, s13
	v_mov_b32_e32 v83, v76
	s_wait_alu 0xfffe
	s_xor_b32 exec_lo, exec_lo, s13
	s_cbranch_execz .LBB69_254
; %bb.253:                              ;   in Loop: Header=BB69_2 Depth=1
	ds_load_u8 v83, v79 offset:1
	s_wait_dscnt 0x1
	v_mov_b32_e32 v80, v75
.LBB69_254:                             ;   in Loop: Header=BB69_2 Depth=1
	s_or_b32 exec_lo, exec_lo, s13
	v_add_nc_u32_e32 v77, 1, v78
	v_add_nc_u32_e32 v81, 1, v79
	s_wait_dscnt 0x0
	v_bfe_i32 v82, v80, 0, 8
	v_bfe_i32 v84, v83, 0, 8
                                        ; implicit-def: $vgpr85
	v_cndmask_b32_e64 v77, v77, v78, s12
	v_cndmask_b32_e64 v81, v79, v81, s12
	s_delay_alu instid0(VALU_DEP_3) | instskip(NEXT) | instid1(VALU_DEP_3)
	v_cmp_lt_i16_e64 s14, v84, v82
                                        ; implicit-def: $vgpr84
	v_cmp_le_i32_e64 s13, 0x400, v77
	s_delay_alu instid0(VALU_DEP_3)
	v_cmp_gt_i32_e64 s15, 0x800, v81
	s_or_b32 s13, s13, s14
	s_wait_alu 0xfffe
	s_and_b32 s13, s15, s13
	s_wait_alu 0xfffe
	s_xor_b32 s14, s13, -1
	s_wait_alu 0xfffe
	s_and_saveexec_b32 s15, s14
	s_wait_alu 0xfffe
	s_xor_b32 s14, exec_lo, s15
; %bb.255:                              ;   in Loop: Header=BB69_2 Depth=1
	ds_load_u8 v85, v77 offset:1
	v_add_nc_u32_e32 v84, 1, v77
; %bb.256:                              ;   in Loop: Header=BB69_2 Depth=1
	s_wait_alu 0xfffe
	s_or_saveexec_b32 s14, s14
	v_mov_b32_e32 v82, v77
	v_mov_b32_e32 v86, v83
	s_wait_alu 0xfffe
	s_xor_b32 exec_lo, exec_lo, s14
	s_cbranch_execz .LBB69_1
; %bb.257:                              ;   in Loop: Header=BB69_2 Depth=1
	ds_load_u8 v86, v81 offset:1
	s_wait_dscnt 0x1
	v_dual_mov_b32 v82, v81 :: v_dual_add_nc_u32 v85, 1, v81
	s_delay_alu instid0(VALU_DEP_1)
	v_dual_mov_b32 v84, v77 :: v_dual_mov_b32 v81, v85
	v_mov_b32_e32 v85, v80
	s_branch .LBB69_1
.LBB69_258:
	s_add_nc_u64 s[0:1], s[46:47], s[48:49]
	v_add_nc_u16 v2, v77, v52
	s_wait_alu 0xfffe
	v_add_co_u32 v0, s0, s0, v0
	s_wait_alu 0xf1ff
	v_add_co_ci_u32_e64 v1, null, s1, 0, s0
	v_add_nc_u16 v5, v62, v56
	v_add_nc_u16 v6, v63, v60
	;; [unrolled: 1-line block ×7, first 2 shown]
	s_clause 0x7
	global_store_b8 v[0:1], v2, off
	global_store_b8 v[0:1], v5, off offset:256
	global_store_b8 v[0:1], v6, off offset:512
	;; [unrolled: 1-line block ×7, first 2 shown]
	s_endpgm
	.section	.rodata,"a",@progbits
	.p2align	6, 0x0
	.amdhsa_kernel _Z17sort_pairs_kernelIaLj256ELj8EN10test_utils4lessELj10EEvPKT_PS2_T2_
		.amdhsa_group_segment_fixed_size 2049
		.amdhsa_private_segment_fixed_size 0
		.amdhsa_kernarg_size 20
		.amdhsa_user_sgpr_count 2
		.amdhsa_user_sgpr_dispatch_ptr 0
		.amdhsa_user_sgpr_queue_ptr 0
		.amdhsa_user_sgpr_kernarg_segment_ptr 1
		.amdhsa_user_sgpr_dispatch_id 0
		.amdhsa_user_sgpr_private_segment_size 0
		.amdhsa_wavefront_size32 1
		.amdhsa_uses_dynamic_stack 0
		.amdhsa_enable_private_segment 0
		.amdhsa_system_sgpr_workgroup_id_x 1
		.amdhsa_system_sgpr_workgroup_id_y 0
		.amdhsa_system_sgpr_workgroup_id_z 0
		.amdhsa_system_sgpr_workgroup_info 0
		.amdhsa_system_vgpr_workitem_id 0
		.amdhsa_next_free_vgpr 87
		.amdhsa_next_free_sgpr 50
		.amdhsa_reserve_vcc 1
		.amdhsa_float_round_mode_32 0
		.amdhsa_float_round_mode_16_64 0
		.amdhsa_float_denorm_mode_32 3
		.amdhsa_float_denorm_mode_16_64 3
		.amdhsa_fp16_overflow 0
		.amdhsa_workgroup_processor_mode 1
		.amdhsa_memory_ordered 1
		.amdhsa_forward_progress 1
		.amdhsa_inst_pref_size 152
		.amdhsa_round_robin_scheduling 0
		.amdhsa_exception_fp_ieee_invalid_op 0
		.amdhsa_exception_fp_denorm_src 0
		.amdhsa_exception_fp_ieee_div_zero 0
		.amdhsa_exception_fp_ieee_overflow 0
		.amdhsa_exception_fp_ieee_underflow 0
		.amdhsa_exception_fp_ieee_inexact 0
		.amdhsa_exception_int_div_zero 0
	.end_amdhsa_kernel
	.section	.text._Z17sort_pairs_kernelIaLj256ELj8EN10test_utils4lessELj10EEvPKT_PS2_T2_,"axG",@progbits,_Z17sort_pairs_kernelIaLj256ELj8EN10test_utils4lessELj10EEvPKT_PS2_T2_,comdat
.Lfunc_end69:
	.size	_Z17sort_pairs_kernelIaLj256ELj8EN10test_utils4lessELj10EEvPKT_PS2_T2_, .Lfunc_end69-_Z17sort_pairs_kernelIaLj256ELj8EN10test_utils4lessELj10EEvPKT_PS2_T2_
                                        ; -- End function
	.set _Z17sort_pairs_kernelIaLj256ELj8EN10test_utils4lessELj10EEvPKT_PS2_T2_.num_vgpr, 87
	.set _Z17sort_pairs_kernelIaLj256ELj8EN10test_utils4lessELj10EEvPKT_PS2_T2_.num_agpr, 0
	.set _Z17sort_pairs_kernelIaLj256ELj8EN10test_utils4lessELj10EEvPKT_PS2_T2_.numbered_sgpr, 50
	.set _Z17sort_pairs_kernelIaLj256ELj8EN10test_utils4lessELj10EEvPKT_PS2_T2_.num_named_barrier, 0
	.set _Z17sort_pairs_kernelIaLj256ELj8EN10test_utils4lessELj10EEvPKT_PS2_T2_.private_seg_size, 0
	.set _Z17sort_pairs_kernelIaLj256ELj8EN10test_utils4lessELj10EEvPKT_PS2_T2_.uses_vcc, 1
	.set _Z17sort_pairs_kernelIaLj256ELj8EN10test_utils4lessELj10EEvPKT_PS2_T2_.uses_flat_scratch, 0
	.set _Z17sort_pairs_kernelIaLj256ELj8EN10test_utils4lessELj10EEvPKT_PS2_T2_.has_dyn_sized_stack, 0
	.set _Z17sort_pairs_kernelIaLj256ELj8EN10test_utils4lessELj10EEvPKT_PS2_T2_.has_recursion, 0
	.set _Z17sort_pairs_kernelIaLj256ELj8EN10test_utils4lessELj10EEvPKT_PS2_T2_.has_indirect_call, 0
	.section	.AMDGPU.csdata,"",@progbits
; Kernel info:
; codeLenInByte = 19356
; TotalNumSgprs: 52
; NumVgprs: 87
; ScratchSize: 0
; MemoryBound: 0
; FloatMode: 240
; IeeeMode: 1
; LDSByteSize: 2049 bytes/workgroup (compile time only)
; SGPRBlocks: 0
; VGPRBlocks: 10
; NumSGPRsForWavesPerEU: 52
; NumVGPRsForWavesPerEU: 87
; Occupancy: 16
; WaveLimiterHint : 1
; COMPUTE_PGM_RSRC2:SCRATCH_EN: 0
; COMPUTE_PGM_RSRC2:USER_SGPR: 2
; COMPUTE_PGM_RSRC2:TRAP_HANDLER: 0
; COMPUTE_PGM_RSRC2:TGID_X_EN: 1
; COMPUTE_PGM_RSRC2:TGID_Y_EN: 0
; COMPUTE_PGM_RSRC2:TGID_Z_EN: 0
; COMPUTE_PGM_RSRC2:TIDIG_COMP_CNT: 0
	.section	.text._Z16sort_keys_kernelIaLj512ELj1EN10test_utils4lessELj10EEvPKT_PS2_T2_,"axG",@progbits,_Z16sort_keys_kernelIaLj512ELj1EN10test_utils4lessELj10EEvPKT_PS2_T2_,comdat
	.protected	_Z16sort_keys_kernelIaLj512ELj1EN10test_utils4lessELj10EEvPKT_PS2_T2_ ; -- Begin function _Z16sort_keys_kernelIaLj512ELj1EN10test_utils4lessELj10EEvPKT_PS2_T2_
	.globl	_Z16sort_keys_kernelIaLj512ELj1EN10test_utils4lessELj10EEvPKT_PS2_T2_
	.p2align	8
	.type	_Z16sort_keys_kernelIaLj512ELj1EN10test_utils4lessELj10EEvPKT_PS2_T2_,@function
_Z16sort_keys_kernelIaLj512ELj1EN10test_utils4lessELj10EEvPKT_PS2_T2_: ; @_Z16sort_keys_kernelIaLj512ELj1EN10test_utils4lessELj10EEvPKT_PS2_T2_
; %bb.0:
	s_load_b128 s[12:15], s[0:1], 0x0
	s_lshl_b32 s16, ttmp9, 9
	s_mov_b32 s17, 0
	v_and_b32_e32 v3, 0x1fc, v0
	v_and_b32_e32 v7, 0x1f8, v0
	;; [unrolled: 1-line block ×5, first 2 shown]
	v_or_b32_e32 v20, 2, v3
	v_add_nc_u32_e32 v5, 4, v3
	v_or_b32_e32 v22, 4, v7
	v_add_nc_u32_e32 v9, 8, v7
	;; [unrolled: 2-line block ×3, first 2 shown]
	v_sub_nc_u32_e32 v11, v5, v20
	v_and_b32_e32 v24, 0x1c0, v0
	v_sub_nc_u32_e32 v16, v9, v22
	v_sub_nc_u32_e32 v10, v20, v3
	;; [unrolled: 1-line block ×4, first 2 shown]
	s_wait_kmcnt 0x0
	s_add_nc_u64 s[0:1], s[12:13], s[16:17]
	v_sub_nc_u32_e32 v17, v23, v16
	global_load_u8 v52, v0, s[0:1]
	v_cmp_ge_i32_e64 s0, v21, v11
	v_cmp_ge_i32_e64 s1, v23, v16
	v_and_b32_e32 v19, 0x1e0, v0
	v_and_b32_e32 v32, 15, v0
	v_sub_nc_u32_e32 v25, v18, v31
	v_or_b32_e32 v40, 32, v24
	v_add_nc_u32_e32 v28, 64, v24
	v_cndmask_b32_e64 v11, 0, v12, s0
	v_min_i32_e32 v12, v21, v10
	v_cndmask_b32_e64 v16, 0, v17, s1
	v_min_i32_e32 v17, v23, v14
	v_add_nc_u32_e32 v20, v20, v21
	v_or_b32_e32 v33, 16, v19
	v_add_nc_u32_e32 v21, 32, v19
	v_add_nc_u32_e32 v22, v22, v23
	v_sub_nc_u32_e32 v23, v31, v15
	v_sub_nc_u32_e32 v26, v32, v25
	v_and_b32_e32 v34, 31, v0
	v_cmp_ge_i32_e64 s2, v32, v25
	v_and_b32_e32 v41, 63, v0
	v_sub_nc_u32_e32 v36, v28, v40
	v_sub_nc_u32_e32 v29, v21, v33
	;; [unrolled: 1-line block ×3, first 2 shown]
	v_cndmask_b32_e64 v25, 0, v26, s2
	v_min_i32_e32 v26, v32, v23
	v_add_nc_u32_e32 v31, v31, v32
	v_add_nc_u32_e32 v32, v33, v34
	v_sub_nc_u32_e32 v37, v41, v36
	v_and_b32_e32 v33, 0x180, v0
	v_cmp_ge_i32_e64 s4, v41, v36
	v_and_b32_e32 v35, 0x100, v0
	v_and_b32_e32 v13, 1, v0
	v_sub_nc_u32_e32 v30, v34, v29
	v_or_b32_e32 v49, 64, v33
	v_cndmask_b32_e64 v36, 0, v37, s4
	v_add_nc_u32_e32 v37, 0x80, v33
	v_cmp_ge_i32_e64 s2, v34, v29
	v_or_b32_e32 v50, 0x80, v35
	v_add_nc_u32_e32 v39, 0x100, v35
	v_and_b32_e32 v51, 0x7f, v0
	v_sub_nc_u32_e32 v43, v37, v49
	v_add_nc_u32_e32 v6, -1, v13
	v_cmp_lt_i32_e32 vcc_lo, 0, v13
	v_and_b32_e32 v1, 0x1fe, v0
	s_wait_alu 0xf1ff
	v_cndmask_b32_e64 v29, 0, v30, s2
	v_min_i32_e32 v30, v34, v27
	v_sub_nc_u32_e32 v34, v40, v24
	v_and_b32_e32 v53, 0xff, v0
	v_sub_nc_u32_e32 v45, v39, v50
	v_sub_nc_u32_e32 v44, v51, v43
	v_cmp_ge_i32_e64 s5, v51, v43
	v_cndmask_b32_e32 v6, 0, v6, vcc_lo
	v_or_b32_e32 v2, 1, v1
	v_min_i32_e32 v38, v41, v34
	v_add_nc_u32_e32 v40, v40, v41
	v_sub_nc_u32_e32 v41, v49, v33
	v_sub_nc_u32_e32 v42, v50, v35
	;; [unrolled: 1-line block ×3, first 2 shown]
	s_wait_alu 0xf1ff
	v_cndmask_b32_e64 v43, 0, v44, s5
	v_cmp_ge_i32_e64 s5, v53, v45
	v_sub_nc_u32_e32 v4, v2, v1
	v_min_i32_e32 v44, v51, v41
	v_subrev_nc_u32_e64 v47, 0x100, v0 clamp
	v_min_i32_e32 v48, 0x100, v0
	s_wait_alu 0xf1ff
	v_cndmask_b32_e64 v45, 0, v46, s5
	v_min_i32_e32 v46, v53, v42
	v_min_i32_e32 v8, v13, v4
	v_add_nc_u32_e32 v13, v2, v13
	v_cmp_lt_i32_e64 s0, v11, v12
	v_cmp_lt_i32_e64 s1, v16, v17
	;; [unrolled: 1-line block ×6, first 2 shown]
	v_add_nc_u32_e32 v49, v49, v51
	v_cmp_lt_i32_e64 s6, v45, v46
	v_add_nc_u32_e32 v50, v50, v53
	v_cmp_lt_i32_e64 s7, v47, v48
	v_add_nc_u32_e32 v51, 0x100, v0
	s_mov_b32 s11, s17
	v_cmp_lt_i32_e32 vcc_lo, v6, v8
	s_branch .LBB70_2
.LBB70_1:                               ;   in Loop: Header=BB70_2 Depth=1
	s_wait_alu 0xfffe
	s_or_b32 exec_lo, exec_lo, s9
	v_sub_nc_u32_e32 v53, v51, v52
	v_cmp_le_i32_e64 s8, 0x100, v52
	s_add_co_i32 s11, s11, 1
	ds_load_u8 v54, v52
	ds_load_u8 v55, v53
	v_cmp_gt_i32_e64 s10, 0x200, v53
	s_wait_dscnt 0x1
	v_bfe_i32 v56, v54, 0, 8
	s_wait_dscnt 0x0
	v_bfe_i32 v57, v55, 0, 8
	s_delay_alu instid0(VALU_DEP_1)
	v_cmp_lt_i16_e64 s9, v57, v56
	s_or_b32 s8, s8, s9
	s_wait_alu 0xfffe
	s_and_b32 s8, s10, s8
	s_cmp_eq_u32 s11, 10
	s_wait_alu 0xfffe
	v_cndmask_b32_e64 v52, v54, v55, s8
	s_cbranch_scc1 .LBB70_38
.LBB70_2:                               ; =>This Loop Header: Depth=1
                                        ;     Child Loop BB70_4 Depth 2
                                        ;     Child Loop BB70_8 Depth 2
	;; [unrolled: 1-line block ×9, first 2 shown]
	s_wait_loadcnt 0x0
	s_barrier_signal -1
	s_barrier_wait -1
	global_inv scope:SCOPE_SE
	ds_store_b8 v0, v52
	v_mov_b32_e32 v52, v6
	s_wait_loadcnt_dscnt 0x0
	s_barrier_signal -1
	s_barrier_wait -1
	global_inv scope:SCOPE_SE
	s_and_saveexec_b32 s9, vcc_lo
	s_cbranch_execz .LBB70_6
; %bb.3:                                ;   in Loop: Header=BB70_2 Depth=1
	v_dual_mov_b32 v52, v6 :: v_dual_mov_b32 v53, v8
	s_mov_b32 s10, 0
.LBB70_4:                               ;   Parent Loop BB70_2 Depth=1
                                        ; =>  This Inner Loop Header: Depth=2
	s_delay_alu instid0(VALU_DEP_1) | instskip(NEXT) | instid1(VALU_DEP_1)
	v_sub_nc_u32_e32 v54, v53, v52
	v_lshrrev_b32_e32 v54, 1, v54
	s_delay_alu instid0(VALU_DEP_1) | instskip(NEXT) | instid1(VALU_DEP_1)
	v_add_nc_u32_e32 v54, v54, v52
	v_add_nc_u32_e32 v55, v1, v54
	v_xad_u32 v56, v54, -1, v13
	v_add_nc_u32_e32 v57, 1, v54
	ds_load_i8 v55, v55
	ds_load_i8 v56, v56
	s_wait_dscnt 0x0
	v_cmp_lt_i16_e64 s8, v56, v55
	s_wait_alu 0xf1ff
	s_delay_alu instid0(VALU_DEP_1) | instskip(SKIP_1) | instid1(VALU_DEP_1)
	v_cndmask_b32_e64 v53, v53, v54, s8
	v_cndmask_b32_e64 v52, v57, v52, s8
	v_cmp_ge_i32_e64 s8, v52, v53
	s_or_b32 s10, s8, s10
	s_delay_alu instid0(SALU_CYCLE_1)
	s_and_not1_b32 exec_lo, exec_lo, s10
	s_cbranch_execnz .LBB70_4
; %bb.5:                                ;   in Loop: Header=BB70_2 Depth=1
	s_or_b32 exec_lo, exec_lo, s10
.LBB70_6:                               ;   in Loop: Header=BB70_2 Depth=1
	s_wait_alu 0xfffe
	s_or_b32 exec_lo, exec_lo, s9
	v_add_nc_u32_e32 v53, v1, v52
	v_sub_nc_u32_e32 v54, v13, v52
	v_cmp_ge_i32_e64 s8, v52, v4
	v_mov_b32_e32 v52, v11
	ds_load_u8 v53, v53
	ds_load_u8 v55, v54
	v_cmp_ge_i32_e64 s10, v2, v54
	s_wait_loadcnt_dscnt 0x0
	s_barrier_signal -1
	s_barrier_wait -1
	global_inv scope:SCOPE_SE
	v_bfe_i32 v56, v53, 0, 8
	v_bfe_i32 v57, v55, 0, 8
	s_delay_alu instid0(VALU_DEP_1)
	v_cmp_lt_i16_e64 s9, v57, v56
	s_or_b32 s8, s8, s9
	s_wait_alu 0xfffe
	s_and_b32 s8, s10, s8
	s_wait_alu 0xfffe
	v_cndmask_b32_e64 v53, v53, v55, s8
	ds_store_b8 v0, v53
	s_wait_loadcnt_dscnt 0x0
	s_barrier_signal -1
	s_barrier_wait -1
	global_inv scope:SCOPE_SE
	s_and_saveexec_b32 s9, s0
	s_cbranch_execz .LBB70_10
; %bb.7:                                ;   in Loop: Header=BB70_2 Depth=1
	v_dual_mov_b32 v52, v11 :: v_dual_mov_b32 v53, v12
	s_mov_b32 s10, 0
.LBB70_8:                               ;   Parent Loop BB70_2 Depth=1
                                        ; =>  This Inner Loop Header: Depth=2
	s_delay_alu instid0(VALU_DEP_1) | instskip(NEXT) | instid1(VALU_DEP_1)
	v_sub_nc_u32_e32 v54, v53, v52
	v_lshrrev_b32_e32 v54, 1, v54
	s_delay_alu instid0(VALU_DEP_1) | instskip(NEXT) | instid1(VALU_DEP_1)
	v_add_nc_u32_e32 v54, v54, v52
	v_add_nc_u32_e32 v55, v3, v54
	v_xad_u32 v56, v54, -1, v20
	v_add_nc_u32_e32 v57, 1, v54
	ds_load_i8 v55, v55
	ds_load_i8 v56, v56
	s_wait_dscnt 0x0
	v_cmp_lt_i16_e64 s8, v56, v55
	s_wait_alu 0xf1ff
	s_delay_alu instid0(VALU_DEP_1) | instskip(SKIP_1) | instid1(VALU_DEP_1)
	v_cndmask_b32_e64 v53, v53, v54, s8
	v_cndmask_b32_e64 v52, v57, v52, s8
	v_cmp_ge_i32_e64 s8, v52, v53
	s_or_b32 s10, s8, s10
	s_delay_alu instid0(SALU_CYCLE_1)
	s_and_not1_b32 exec_lo, exec_lo, s10
	s_cbranch_execnz .LBB70_8
; %bb.9:                                ;   in Loop: Header=BB70_2 Depth=1
	s_or_b32 exec_lo, exec_lo, s10
.LBB70_10:                              ;   in Loop: Header=BB70_2 Depth=1
	s_wait_alu 0xfffe
	s_or_b32 exec_lo, exec_lo, s9
	v_add_nc_u32_e32 v53, v3, v52
	v_sub_nc_u32_e32 v54, v20, v52
	v_cmp_ge_i32_e64 s8, v52, v10
	v_mov_b32_e32 v52, v16
	ds_load_u8 v53, v53
	ds_load_u8 v55, v54
	v_cmp_gt_i32_e64 s10, v5, v54
	s_wait_loadcnt_dscnt 0x0
	s_barrier_signal -1
	s_barrier_wait -1
	global_inv scope:SCOPE_SE
	v_bfe_i32 v56, v53, 0, 8
	v_bfe_i32 v57, v55, 0, 8
	s_delay_alu instid0(VALU_DEP_1)
	v_cmp_lt_i16_e64 s9, v57, v56
	s_or_b32 s8, s8, s9
	s_wait_alu 0xfffe
	s_and_b32 s8, s10, s8
	s_wait_alu 0xfffe
	v_cndmask_b32_e64 v53, v53, v55, s8
	ds_store_b8 v0, v53
	s_wait_loadcnt_dscnt 0x0
	s_barrier_signal -1
	s_barrier_wait -1
	global_inv scope:SCOPE_SE
	s_and_saveexec_b32 s9, s1
	s_cbranch_execz .LBB70_14
; %bb.11:                               ;   in Loop: Header=BB70_2 Depth=1
	v_dual_mov_b32 v52, v16 :: v_dual_mov_b32 v53, v17
	s_mov_b32 s10, 0
.LBB70_12:                              ;   Parent Loop BB70_2 Depth=1
                                        ; =>  This Inner Loop Header: Depth=2
	s_delay_alu instid0(VALU_DEP_1) | instskip(NEXT) | instid1(VALU_DEP_1)
	v_sub_nc_u32_e32 v54, v53, v52
	v_lshrrev_b32_e32 v54, 1, v54
	s_delay_alu instid0(VALU_DEP_1) | instskip(NEXT) | instid1(VALU_DEP_1)
	v_add_nc_u32_e32 v54, v54, v52
	v_add_nc_u32_e32 v55, v7, v54
	v_xad_u32 v56, v54, -1, v22
	v_add_nc_u32_e32 v57, 1, v54
	ds_load_i8 v55, v55
	ds_load_i8 v56, v56
	s_wait_dscnt 0x0
	v_cmp_lt_i16_e64 s8, v56, v55
	s_wait_alu 0xf1ff
	s_delay_alu instid0(VALU_DEP_1) | instskip(SKIP_1) | instid1(VALU_DEP_1)
	v_cndmask_b32_e64 v53, v53, v54, s8
	v_cndmask_b32_e64 v52, v57, v52, s8
	v_cmp_ge_i32_e64 s8, v52, v53
	s_or_b32 s10, s8, s10
	s_delay_alu instid0(SALU_CYCLE_1)
	s_and_not1_b32 exec_lo, exec_lo, s10
	s_cbranch_execnz .LBB70_12
; %bb.13:                               ;   in Loop: Header=BB70_2 Depth=1
	s_or_b32 exec_lo, exec_lo, s10
.LBB70_14:                              ;   in Loop: Header=BB70_2 Depth=1
	s_wait_alu 0xfffe
	s_or_b32 exec_lo, exec_lo, s9
	v_add_nc_u32_e32 v53, v7, v52
	v_sub_nc_u32_e32 v54, v22, v52
	v_cmp_ge_i32_e64 s8, v52, v14
	v_mov_b32_e32 v52, v25
	ds_load_u8 v53, v53
	ds_load_u8 v55, v54
	v_cmp_gt_i32_e64 s10, v9, v54
	s_wait_loadcnt_dscnt 0x0
	s_barrier_signal -1
	s_barrier_wait -1
	global_inv scope:SCOPE_SE
	v_bfe_i32 v56, v53, 0, 8
	v_bfe_i32 v57, v55, 0, 8
	s_delay_alu instid0(VALU_DEP_1)
	v_cmp_lt_i16_e64 s9, v57, v56
	s_or_b32 s8, s8, s9
	s_wait_alu 0xfffe
	s_and_b32 s8, s10, s8
	s_wait_alu 0xfffe
	v_cndmask_b32_e64 v53, v53, v55, s8
	ds_store_b8 v0, v53
	s_wait_loadcnt_dscnt 0x0
	s_barrier_signal -1
	s_barrier_wait -1
	global_inv scope:SCOPE_SE
	s_and_saveexec_b32 s9, s2
	s_cbranch_execz .LBB70_18
; %bb.15:                               ;   in Loop: Header=BB70_2 Depth=1
	v_dual_mov_b32 v52, v25 :: v_dual_mov_b32 v53, v26
	s_mov_b32 s10, 0
.LBB70_16:                              ;   Parent Loop BB70_2 Depth=1
                                        ; =>  This Inner Loop Header: Depth=2
	s_delay_alu instid0(VALU_DEP_1) | instskip(NEXT) | instid1(VALU_DEP_1)
	v_sub_nc_u32_e32 v54, v53, v52
	v_lshrrev_b32_e32 v54, 1, v54
	s_delay_alu instid0(VALU_DEP_1) | instskip(NEXT) | instid1(VALU_DEP_1)
	v_add_nc_u32_e32 v54, v54, v52
	v_add_nc_u32_e32 v55, v15, v54
	v_xad_u32 v56, v54, -1, v31
	v_add_nc_u32_e32 v57, 1, v54
	ds_load_i8 v55, v55
	ds_load_i8 v56, v56
	s_wait_dscnt 0x0
	v_cmp_lt_i16_e64 s8, v56, v55
	s_wait_alu 0xf1ff
	s_delay_alu instid0(VALU_DEP_1) | instskip(SKIP_1) | instid1(VALU_DEP_1)
	v_cndmask_b32_e64 v53, v53, v54, s8
	v_cndmask_b32_e64 v52, v57, v52, s8
	v_cmp_ge_i32_e64 s8, v52, v53
	s_or_b32 s10, s8, s10
	s_delay_alu instid0(SALU_CYCLE_1)
	s_and_not1_b32 exec_lo, exec_lo, s10
	s_cbranch_execnz .LBB70_16
; %bb.17:                               ;   in Loop: Header=BB70_2 Depth=1
	s_or_b32 exec_lo, exec_lo, s10
.LBB70_18:                              ;   in Loop: Header=BB70_2 Depth=1
	;; [unrolled: 58-line block ×6, first 2 shown]
	s_wait_alu 0xfffe
	s_or_b32 exec_lo, exec_lo, s9
	v_add_nc_u32_e32 v53, v35, v52
	v_sub_nc_u32_e32 v54, v50, v52
	v_cmp_ge_i32_e64 s8, v52, v42
	v_mov_b32_e32 v52, v47
	ds_load_u8 v53, v53
	ds_load_u8 v55, v54
	v_cmp_gt_i32_e64 s10, v39, v54
	s_wait_loadcnt_dscnt 0x0
	s_barrier_signal -1
	s_barrier_wait -1
	global_inv scope:SCOPE_SE
	v_bfe_i32 v56, v53, 0, 8
	v_bfe_i32 v57, v55, 0, 8
	s_delay_alu instid0(VALU_DEP_1)
	v_cmp_lt_i16_e64 s9, v57, v56
	s_or_b32 s8, s8, s9
	s_wait_alu 0xfffe
	s_and_b32 s8, s10, s8
	s_wait_alu 0xfffe
	v_cndmask_b32_e64 v53, v53, v55, s8
	ds_store_b8 v0, v53
	s_wait_loadcnt_dscnt 0x0
	s_barrier_signal -1
	s_barrier_wait -1
	global_inv scope:SCOPE_SE
	s_and_saveexec_b32 s9, s7
	s_cbranch_execz .LBB70_1
; %bb.35:                               ;   in Loop: Header=BB70_2 Depth=1
	v_dual_mov_b32 v52, v47 :: v_dual_mov_b32 v53, v48
	s_mov_b32 s10, 0
.LBB70_36:                              ;   Parent Loop BB70_2 Depth=1
                                        ; =>  This Inner Loop Header: Depth=2
	s_delay_alu instid0(VALU_DEP_1) | instskip(NEXT) | instid1(VALU_DEP_1)
	v_sub_nc_u32_e32 v54, v53, v52
	v_lshrrev_b32_e32 v54, 1, v54
	s_delay_alu instid0(VALU_DEP_1) | instskip(NEXT) | instid1(VALU_DEP_1)
	v_add_nc_u32_e32 v54, v54, v52
	v_xad_u32 v55, v54, -1, v51
	v_add_nc_u32_e32 v57, 1, v54
	ds_load_i8 v56, v54
	ds_load_i8 v55, v55
	s_wait_dscnt 0x0
	v_cmp_lt_i16_e64 s8, v55, v56
	s_wait_alu 0xf1ff
	s_delay_alu instid0(VALU_DEP_1) | instskip(SKIP_1) | instid1(VALU_DEP_1)
	v_cndmask_b32_e64 v53, v53, v54, s8
	v_cndmask_b32_e64 v52, v57, v52, s8
	v_cmp_ge_i32_e64 s8, v52, v53
	s_or_b32 s10, s8, s10
	s_delay_alu instid0(SALU_CYCLE_1)
	s_and_not1_b32 exec_lo, exec_lo, s10
	s_cbranch_execnz .LBB70_36
; %bb.37:                               ;   in Loop: Header=BB70_2 Depth=1
	s_or_b32 exec_lo, exec_lo, s10
	s_branch .LBB70_1
.LBB70_38:
	s_add_nc_u64 s[0:1], s[14:15], s[16:17]
	s_wait_alu 0xfffe
	v_add_co_u32 v0, s0, s0, v0
	s_wait_alu 0xf1ff
	v_add_co_ci_u32_e64 v1, null, s1, 0, s0
	global_store_b8 v[0:1], v52, off
	s_endpgm
	.section	.rodata,"a",@progbits
	.p2align	6, 0x0
	.amdhsa_kernel _Z16sort_keys_kernelIaLj512ELj1EN10test_utils4lessELj10EEvPKT_PS2_T2_
		.amdhsa_group_segment_fixed_size 513
		.amdhsa_private_segment_fixed_size 0
		.amdhsa_kernarg_size 20
		.amdhsa_user_sgpr_count 2
		.amdhsa_user_sgpr_dispatch_ptr 0
		.amdhsa_user_sgpr_queue_ptr 0
		.amdhsa_user_sgpr_kernarg_segment_ptr 1
		.amdhsa_user_sgpr_dispatch_id 0
		.amdhsa_user_sgpr_private_segment_size 0
		.amdhsa_wavefront_size32 1
		.amdhsa_uses_dynamic_stack 0
		.amdhsa_enable_private_segment 0
		.amdhsa_system_sgpr_workgroup_id_x 1
		.amdhsa_system_sgpr_workgroup_id_y 0
		.amdhsa_system_sgpr_workgroup_id_z 0
		.amdhsa_system_sgpr_workgroup_info 0
		.amdhsa_system_vgpr_workitem_id 0
		.amdhsa_next_free_vgpr 58
		.amdhsa_next_free_sgpr 18
		.amdhsa_reserve_vcc 1
		.amdhsa_float_round_mode_32 0
		.amdhsa_float_round_mode_16_64 0
		.amdhsa_float_denorm_mode_32 3
		.amdhsa_float_denorm_mode_16_64 3
		.amdhsa_fp16_overflow 0
		.amdhsa_workgroup_processor_mode 1
		.amdhsa_memory_ordered 1
		.amdhsa_forward_progress 1
		.amdhsa_inst_pref_size 27
		.amdhsa_round_robin_scheduling 0
		.amdhsa_exception_fp_ieee_invalid_op 0
		.amdhsa_exception_fp_denorm_src 0
		.amdhsa_exception_fp_ieee_div_zero 0
		.amdhsa_exception_fp_ieee_overflow 0
		.amdhsa_exception_fp_ieee_underflow 0
		.amdhsa_exception_fp_ieee_inexact 0
		.amdhsa_exception_int_div_zero 0
	.end_amdhsa_kernel
	.section	.text._Z16sort_keys_kernelIaLj512ELj1EN10test_utils4lessELj10EEvPKT_PS2_T2_,"axG",@progbits,_Z16sort_keys_kernelIaLj512ELj1EN10test_utils4lessELj10EEvPKT_PS2_T2_,comdat
.Lfunc_end70:
	.size	_Z16sort_keys_kernelIaLj512ELj1EN10test_utils4lessELj10EEvPKT_PS2_T2_, .Lfunc_end70-_Z16sort_keys_kernelIaLj512ELj1EN10test_utils4lessELj10EEvPKT_PS2_T2_
                                        ; -- End function
	.set _Z16sort_keys_kernelIaLj512ELj1EN10test_utils4lessELj10EEvPKT_PS2_T2_.num_vgpr, 58
	.set _Z16sort_keys_kernelIaLj512ELj1EN10test_utils4lessELj10EEvPKT_PS2_T2_.num_agpr, 0
	.set _Z16sort_keys_kernelIaLj512ELj1EN10test_utils4lessELj10EEvPKT_PS2_T2_.numbered_sgpr, 18
	.set _Z16sort_keys_kernelIaLj512ELj1EN10test_utils4lessELj10EEvPKT_PS2_T2_.num_named_barrier, 0
	.set _Z16sort_keys_kernelIaLj512ELj1EN10test_utils4lessELj10EEvPKT_PS2_T2_.private_seg_size, 0
	.set _Z16sort_keys_kernelIaLj512ELj1EN10test_utils4lessELj10EEvPKT_PS2_T2_.uses_vcc, 1
	.set _Z16sort_keys_kernelIaLj512ELj1EN10test_utils4lessELj10EEvPKT_PS2_T2_.uses_flat_scratch, 0
	.set _Z16sort_keys_kernelIaLj512ELj1EN10test_utils4lessELj10EEvPKT_PS2_T2_.has_dyn_sized_stack, 0
	.set _Z16sort_keys_kernelIaLj512ELj1EN10test_utils4lessELj10EEvPKT_PS2_T2_.has_recursion, 0
	.set _Z16sort_keys_kernelIaLj512ELj1EN10test_utils4lessELj10EEvPKT_PS2_T2_.has_indirect_call, 0
	.section	.AMDGPU.csdata,"",@progbits
; Kernel info:
; codeLenInByte = 3336
; TotalNumSgprs: 20
; NumVgprs: 58
; ScratchSize: 0
; MemoryBound: 0
; FloatMode: 240
; IeeeMode: 1
; LDSByteSize: 513 bytes/workgroup (compile time only)
; SGPRBlocks: 0
; VGPRBlocks: 7
; NumSGPRsForWavesPerEU: 20
; NumVGPRsForWavesPerEU: 58
; Occupancy: 16
; WaveLimiterHint : 0
; COMPUTE_PGM_RSRC2:SCRATCH_EN: 0
; COMPUTE_PGM_RSRC2:USER_SGPR: 2
; COMPUTE_PGM_RSRC2:TRAP_HANDLER: 0
; COMPUTE_PGM_RSRC2:TGID_X_EN: 1
; COMPUTE_PGM_RSRC2:TGID_Y_EN: 0
; COMPUTE_PGM_RSRC2:TGID_Z_EN: 0
; COMPUTE_PGM_RSRC2:TIDIG_COMP_CNT: 0
	.section	.text._Z17sort_pairs_kernelIaLj512ELj1EN10test_utils4lessELj10EEvPKT_PS2_T2_,"axG",@progbits,_Z17sort_pairs_kernelIaLj512ELj1EN10test_utils4lessELj10EEvPKT_PS2_T2_,comdat
	.protected	_Z17sort_pairs_kernelIaLj512ELj1EN10test_utils4lessELj10EEvPKT_PS2_T2_ ; -- Begin function _Z17sort_pairs_kernelIaLj512ELj1EN10test_utils4lessELj10EEvPKT_PS2_T2_
	.globl	_Z17sort_pairs_kernelIaLj512ELj1EN10test_utils4lessELj10EEvPKT_PS2_T2_
	.p2align	8
	.type	_Z17sort_pairs_kernelIaLj512ELj1EN10test_utils4lessELj10EEvPKT_PS2_T2_,@function
_Z17sort_pairs_kernelIaLj512ELj1EN10test_utils4lessELj10EEvPKT_PS2_T2_: ; @_Z17sort_pairs_kernelIaLj512ELj1EN10test_utils4lessELj10EEvPKT_PS2_T2_
; %bb.0:
	s_load_b128 s[12:15], s[0:1], 0x0
	s_lshl_b32 s16, ttmp9, 9
	s_mov_b32 s17, 0
	v_and_b32_e32 v2, 0x1fc, v0
	v_and_b32_e32 v1, 0x1fe, v0
	v_and_b32_e32 v3, 0x1f8, v0
	v_and_b32_e32 v43, 3, v0
	v_and_b32_e32 v4, 0x1f0, v0
	v_or_b32_e32 v12, 2, v2
	v_add_nc_u32_e32 v13, 4, v2
	v_or_b32_e32 v11, 1, v1
	v_or_b32_e32 v14, 4, v3
	v_add_nc_u32_e32 v15, 8, v3
	v_and_b32_e32 v35, 1, v0
	v_sub_nc_u32_e32 v50, v13, v12
	v_and_b32_e32 v44, 7, v0
	v_and_b32_e32 v5, 0x1e0, v0
	v_or_b32_e32 v16, 8, v4
	v_add_nc_u32_e32 v17, 16, v4
	v_sub_nc_u32_e32 v36, v11, v1
	s_wait_kmcnt 0x0
	s_add_nc_u64 s[0:1], s[12:13], s[16:17]
	v_sub_nc_u32_e32 v37, v12, v2
	global_load_u8 v51, v0, s[0:1]
	v_sub_nc_u32_e32 v52, v15, v14
	v_sub_nc_u32_e32 v59, v43, v50
	v_cmp_ge_i32_e64 s1, v43, v50
	v_and_b32_e32 v45, 15, v0
	v_and_b32_e32 v6, 0x1c0, v0
	v_add_nc_u32_e32 v26, -1, v35
	v_or_b32_e32 v18, 16, v5
	v_add_nc_u32_e32 v19, 32, v5
	v_cmp_lt_i32_e64 s0, 0, v35
	v_add_nc_u32_e32 v27, v11, v35
	v_add_nc_u32_e32 v28, v12, v43
	v_sub_nc_u32_e32 v38, v14, v3
	v_sub_nc_u32_e32 v53, v17, v16
	v_min_i32_e32 v35, v35, v36
	v_min_i32_e32 v36, v43, v37
	v_sub_nc_u32_e32 v60, v44, v52
	v_cndmask_b32_e64 v43, 0, v59, s1
	v_cmp_ge_i32_e64 s1, v44, v52
	v_and_b32_e32 v46, 31, v0
	v_and_b32_e32 v7, 0x180, v0
	v_or_b32_e32 v20, 32, v6
	v_add_nc_u32_e32 v21, 64, v6
	v_add_nc_u32_e32 v29, v14, v44
	v_sub_nc_u32_e32 v39, v16, v4
	v_sub_nc_u32_e32 v54, v19, v18
	v_min_i32_e32 v37, v44, v38
	v_sub_nc_u32_e32 v61, v45, v53
	s_wait_alu 0xf1ff
	v_cndmask_b32_e64 v44, 0, v60, s1
	v_cmp_ge_i32_e64 s1, v45, v53
	v_and_b32_e32 v47, 63, v0
	v_and_b32_e32 v8, 0x100, v0
	v_or_b32_e32 v22, 64, v7
	v_add_nc_u32_e32 v23, 0x80, v7
	v_add_nc_u32_e32 v30, v16, v45
	v_sub_nc_u32_e32 v40, v18, v5
	v_sub_nc_u32_e32 v55, v21, v20
	v_min_i32_e32 v38, v45, v39
	v_sub_nc_u32_e32 v62, v46, v54
	s_wait_alu 0xf1ff
	v_cndmask_b32_e64 v45, 0, v61, s1
	v_cmp_ge_i32_e64 s1, v46, v54
	v_and_b32_e32 v48, 0x7f, v0
	v_or_b32_e32 v24, 0x80, v8
	v_add_nc_u32_e32 v25, 0x100, v8
	v_add_nc_u32_e32 v31, v18, v46
	v_sub_nc_u32_e32 v41, v20, v6
	v_sub_nc_u32_e32 v56, v23, v22
	v_min_i32_e32 v39, v46, v40
	v_sub_nc_u32_e32 v63, v47, v55
	s_wait_alu 0xf1ff
	v_cndmask_b32_e64 v46, 0, v62, s1
	v_cmp_ge_i32_e64 s1, v47, v55
	v_and_b32_e32 v49, 0xff, v0
	v_add_nc_u32_e32 v32, v20, v47
	v_sub_nc_u32_e32 v42, v22, v7
	v_sub_nc_u32_e32 v58, v25, v24
	v_min_i32_e32 v40, v47, v41
	v_sub_nc_u32_e32 v64, v48, v56
	s_wait_alu 0xf1ff
	v_cndmask_b32_e64 v47, 0, v63, s1
	v_cmp_ge_i32_e64 s1, v48, v56
	v_add_nc_u32_e32 v33, v22, v48
	v_sub_nc_u32_e32 v57, v24, v8
	v_min_i32_e32 v41, v48, v42
	v_sub_nc_u32_e32 v65, v49, v58
	s_wait_alu 0xf1ff
	v_cndmask_b32_e64 v48, 0, v64, s1
	v_cmp_ge_i32_e64 s1, v49, v58
	v_cndmask_b32_e64 v26, 0, v26, s0
	v_add_nc_u32_e32 v34, v24, v49
	v_min_i32_e32 v42, v49, v57
	v_subrev_nc_u32_e64 v9, 0x100, v0 clamp
	s_wait_alu 0xf1ff
	v_cndmask_b32_e64 v49, 0, v65, s1
	v_min_i32_e32 v10, 0x100, v0
	v_cmp_lt_i32_e64 s0, v26, v35
	v_cmp_lt_i32_e64 s1, v43, v36
	;; [unrolled: 1-line block ×8, first 2 shown]
	v_add_nc_u32_e32 v50, 0x100, v0
	s_mov_b32 s11, s17
	v_cmp_lt_i32_e32 vcc_lo, v9, v10
	s_wait_loadcnt 0x0
	v_add_nc_u16 v52, v51, 1
	s_branch .LBB71_2
.LBB71_1:                               ;   in Loop: Header=BB71_2 Depth=1
	s_wait_alu 0xfffe
	s_or_b32 exec_lo, exec_lo, s9
	v_sub_nc_u32_e32 v54, v50, v53
	v_cmp_le_i32_e64 s8, 0x100, v53
	s_add_co_i32 s11, s11, 1
	ds_load_u8 v51, v53
	ds_load_u8 v55, v54
	v_cmp_gt_i32_e64 s10, 0x200, v54
	s_wait_loadcnt_dscnt 0x0
	s_barrier_signal -1
	s_barrier_wait -1
	global_inv scope:SCOPE_SE
	ds_store_b8 v0, v52
	s_wait_loadcnt_dscnt 0x0
	s_barrier_signal -1
	s_barrier_wait -1
	global_inv scope:SCOPE_SE
	v_bfe_i32 v56, v51, 0, 8
	v_bfe_i32 v57, v55, 0, 8
	s_delay_alu instid0(VALU_DEP_1)
	v_cmp_lt_i16_e64 s9, v57, v56
	s_or_b32 s8, s8, s9
	s_wait_alu 0xfffe
	s_and_b32 s8, s10, s8
	s_cmp_eq_u32 s11, 10
	s_wait_alu 0xfffe
	v_cndmask_b32_e64 v53, v53, v54, s8
	v_cndmask_b32_e64 v51, v51, v55, s8
	ds_load_u8 v52, v53
	s_cbranch_scc1 .LBB71_38
.LBB71_2:                               ; =>This Loop Header: Depth=1
                                        ;     Child Loop BB71_4 Depth 2
                                        ;     Child Loop BB71_8 Depth 2
	;; [unrolled: 1-line block ×9, first 2 shown]
	s_barrier_signal -1
	s_barrier_wait -1
	global_inv scope:SCOPE_SE
	ds_store_b8 v0, v51
	v_mov_b32_e32 v51, v26
	s_wait_loadcnt_dscnt 0x0
	s_barrier_signal -1
	s_barrier_wait -1
	global_inv scope:SCOPE_SE
	s_and_saveexec_b32 s9, s0
	s_cbranch_execz .LBB71_6
; %bb.3:                                ;   in Loop: Header=BB71_2 Depth=1
	v_mov_b32_e32 v51, v26
	v_mov_b32_e32 v53, v35
	s_mov_b32 s10, 0
.LBB71_4:                               ;   Parent Loop BB71_2 Depth=1
                                        ; =>  This Inner Loop Header: Depth=2
	s_delay_alu instid0(VALU_DEP_1) | instskip(NEXT) | instid1(VALU_DEP_1)
	v_sub_nc_u32_e32 v54, v53, v51
	v_lshrrev_b32_e32 v54, 1, v54
	s_delay_alu instid0(VALU_DEP_1) | instskip(NEXT) | instid1(VALU_DEP_1)
	v_add_nc_u32_e32 v54, v54, v51
	v_add_nc_u32_e32 v55, v1, v54
	v_xad_u32 v56, v54, -1, v27
	v_add_nc_u32_e32 v57, 1, v54
	ds_load_i8 v55, v55
	ds_load_i8 v56, v56
	s_wait_dscnt 0x0
	v_cmp_lt_i16_e64 s8, v56, v55
	s_wait_alu 0xf1ff
	s_delay_alu instid0(VALU_DEP_1) | instskip(SKIP_1) | instid1(VALU_DEP_1)
	v_cndmask_b32_e64 v53, v53, v54, s8
	v_cndmask_b32_e64 v51, v57, v51, s8
	v_cmp_ge_i32_e64 s8, v51, v53
	s_or_b32 s10, s8, s10
	s_delay_alu instid0(SALU_CYCLE_1)
	s_and_not1_b32 exec_lo, exec_lo, s10
	s_cbranch_execnz .LBB71_4
; %bb.5:                                ;   in Loop: Header=BB71_2 Depth=1
	s_or_b32 exec_lo, exec_lo, s10
.LBB71_6:                               ;   in Loop: Header=BB71_2 Depth=1
	s_wait_alu 0xfffe
	s_or_b32 exec_lo, exec_lo, s9
	v_add_nc_u32_e32 v53, v51, v1
	v_sub_nc_u32_e32 v51, v27, v51
	ds_load_u8 v54, v53
	ds_load_u8 v55, v51
	v_cmp_le_i32_e64 s8, v11, v53
	v_cmp_ge_i32_e64 s10, v11, v51
	s_wait_loadcnt_dscnt 0x0
	s_barrier_signal -1
	s_barrier_wait -1
	global_inv scope:SCOPE_SE
	ds_store_b8 v0, v52
	s_wait_loadcnt_dscnt 0x0
	s_barrier_signal -1
	s_barrier_wait -1
	global_inv scope:SCOPE_SE
	v_mov_b32_e32 v52, v43
	v_bfe_i32 v56, v54, 0, 8
	v_bfe_i32 v57, v55, 0, 8
	s_delay_alu instid0(VALU_DEP_1)
	v_cmp_lt_i16_e64 s9, v57, v56
	s_or_b32 s8, s8, s9
	s_wait_alu 0xfffe
	s_and_b32 s8, s10, s8
	s_wait_alu 0xfffe
	v_cndmask_b32_e64 v51, v53, v51, s8
	v_cndmask_b32_e64 v54, v54, v55, s8
	ds_load_u8 v51, v51
	s_wait_loadcnt_dscnt 0x0
	s_barrier_signal -1
	s_barrier_wait -1
	global_inv scope:SCOPE_SE
	ds_store_b8 v0, v54
	s_wait_loadcnt_dscnt 0x0
	s_barrier_signal -1
	s_barrier_wait -1
	global_inv scope:SCOPE_SE
	s_and_saveexec_b32 s9, s1
	s_cbranch_execz .LBB71_10
; %bb.7:                                ;   in Loop: Header=BB71_2 Depth=1
	v_dual_mov_b32 v52, v43 :: v_dual_mov_b32 v53, v36
	s_mov_b32 s10, 0
.LBB71_8:                               ;   Parent Loop BB71_2 Depth=1
                                        ; =>  This Inner Loop Header: Depth=2
	s_delay_alu instid0(VALU_DEP_1) | instskip(NEXT) | instid1(VALU_DEP_1)
	v_sub_nc_u32_e32 v54, v53, v52
	v_lshrrev_b32_e32 v54, 1, v54
	s_delay_alu instid0(VALU_DEP_1) | instskip(NEXT) | instid1(VALU_DEP_1)
	v_add_nc_u32_e32 v54, v54, v52
	v_add_nc_u32_e32 v55, v2, v54
	v_xad_u32 v56, v54, -1, v28
	v_add_nc_u32_e32 v57, 1, v54
	ds_load_i8 v55, v55
	ds_load_i8 v56, v56
	s_wait_dscnt 0x0
	v_cmp_lt_i16_e64 s8, v56, v55
	s_wait_alu 0xf1ff
	s_delay_alu instid0(VALU_DEP_1) | instskip(SKIP_1) | instid1(VALU_DEP_1)
	v_cndmask_b32_e64 v53, v53, v54, s8
	v_cndmask_b32_e64 v52, v57, v52, s8
	v_cmp_ge_i32_e64 s8, v52, v53
	s_or_b32 s10, s8, s10
	s_delay_alu instid0(SALU_CYCLE_1)
	s_and_not1_b32 exec_lo, exec_lo, s10
	s_cbranch_execnz .LBB71_8
; %bb.9:                                ;   in Loop: Header=BB71_2 Depth=1
	s_or_b32 exec_lo, exec_lo, s10
.LBB71_10:                              ;   in Loop: Header=BB71_2 Depth=1
	s_wait_alu 0xfffe
	s_or_b32 exec_lo, exec_lo, s9
	v_add_nc_u32_e32 v53, v52, v2
	v_sub_nc_u32_e32 v52, v28, v52
	ds_load_u8 v54, v53
	ds_load_u8 v55, v52
	v_cmp_le_i32_e64 s8, v12, v53
	v_cmp_gt_i32_e64 s10, v13, v52
	s_wait_loadcnt_dscnt 0x0
	s_barrier_signal -1
	s_barrier_wait -1
	global_inv scope:SCOPE_SE
	ds_store_b8 v0, v51
	s_wait_loadcnt_dscnt 0x0
	s_barrier_signal -1
	s_barrier_wait -1
	global_inv scope:SCOPE_SE
	v_bfe_i32 v56, v54, 0, 8
	v_bfe_i32 v57, v55, 0, 8
	s_delay_alu instid0(VALU_DEP_1)
	v_cmp_lt_i16_e64 s9, v57, v56
	s_or_b32 s8, s8, s9
	s_wait_alu 0xfffe
	s_and_b32 s8, s10, s8
	s_wait_alu 0xfffe
	v_cndmask_b32_e64 v52, v53, v52, s8
	v_cndmask_b32_e64 v54, v54, v55, s8
	ds_load_u8 v51, v52
	v_mov_b32_e32 v52, v44
	s_wait_loadcnt_dscnt 0x0
	s_barrier_signal -1
	s_barrier_wait -1
	global_inv scope:SCOPE_SE
	ds_store_b8 v0, v54
	s_wait_loadcnt_dscnt 0x0
	s_barrier_signal -1
	s_barrier_wait -1
	global_inv scope:SCOPE_SE
	s_and_saveexec_b32 s9, s2
	s_cbranch_execz .LBB71_14
; %bb.11:                               ;   in Loop: Header=BB71_2 Depth=1
	v_dual_mov_b32 v52, v44 :: v_dual_mov_b32 v53, v37
	s_mov_b32 s10, 0
.LBB71_12:                              ;   Parent Loop BB71_2 Depth=1
                                        ; =>  This Inner Loop Header: Depth=2
	s_delay_alu instid0(VALU_DEP_1) | instskip(NEXT) | instid1(VALU_DEP_1)
	v_sub_nc_u32_e32 v54, v53, v52
	v_lshrrev_b32_e32 v54, 1, v54
	s_delay_alu instid0(VALU_DEP_1) | instskip(NEXT) | instid1(VALU_DEP_1)
	v_add_nc_u32_e32 v54, v54, v52
	v_add_nc_u32_e32 v55, v3, v54
	v_xad_u32 v56, v54, -1, v29
	v_add_nc_u32_e32 v57, 1, v54
	ds_load_i8 v55, v55
	ds_load_i8 v56, v56
	s_wait_dscnt 0x0
	v_cmp_lt_i16_e64 s8, v56, v55
	s_wait_alu 0xf1ff
	s_delay_alu instid0(VALU_DEP_1) | instskip(SKIP_1) | instid1(VALU_DEP_1)
	v_cndmask_b32_e64 v53, v53, v54, s8
	v_cndmask_b32_e64 v52, v57, v52, s8
	v_cmp_ge_i32_e64 s8, v52, v53
	s_or_b32 s10, s8, s10
	s_delay_alu instid0(SALU_CYCLE_1)
	s_and_not1_b32 exec_lo, exec_lo, s10
	s_cbranch_execnz .LBB71_12
; %bb.13:                               ;   in Loop: Header=BB71_2 Depth=1
	s_or_b32 exec_lo, exec_lo, s10
.LBB71_14:                              ;   in Loop: Header=BB71_2 Depth=1
	s_wait_alu 0xfffe
	s_or_b32 exec_lo, exec_lo, s9
	v_add_nc_u32_e32 v53, v52, v3
	v_sub_nc_u32_e32 v52, v29, v52
	ds_load_u8 v54, v53
	ds_load_u8 v55, v52
	v_cmp_le_i32_e64 s8, v14, v53
	v_cmp_gt_i32_e64 s10, v15, v52
	s_wait_loadcnt_dscnt 0x0
	s_barrier_signal -1
	s_barrier_wait -1
	global_inv scope:SCOPE_SE
	ds_store_b8 v0, v51
	s_wait_loadcnt_dscnt 0x0
	s_barrier_signal -1
	s_barrier_wait -1
	global_inv scope:SCOPE_SE
	v_bfe_i32 v56, v54, 0, 8
	v_bfe_i32 v57, v55, 0, 8
	s_delay_alu instid0(VALU_DEP_1)
	v_cmp_lt_i16_e64 s9, v57, v56
	s_or_b32 s8, s8, s9
	s_wait_alu 0xfffe
	s_and_b32 s8, s10, s8
	s_wait_alu 0xfffe
	v_cndmask_b32_e64 v52, v53, v52, s8
	v_cndmask_b32_e64 v54, v54, v55, s8
	ds_load_u8 v51, v52
	v_mov_b32_e32 v52, v45
	s_wait_loadcnt_dscnt 0x0
	s_barrier_signal -1
	s_barrier_wait -1
	global_inv scope:SCOPE_SE
	ds_store_b8 v0, v54
	s_wait_loadcnt_dscnt 0x0
	s_barrier_signal -1
	s_barrier_wait -1
	global_inv scope:SCOPE_SE
	s_and_saveexec_b32 s9, s3
	s_cbranch_execz .LBB71_18
; %bb.15:                               ;   in Loop: Header=BB71_2 Depth=1
	v_dual_mov_b32 v52, v45 :: v_dual_mov_b32 v53, v38
	s_mov_b32 s10, 0
.LBB71_16:                              ;   Parent Loop BB71_2 Depth=1
                                        ; =>  This Inner Loop Header: Depth=2
	s_delay_alu instid0(VALU_DEP_1) | instskip(NEXT) | instid1(VALU_DEP_1)
	v_sub_nc_u32_e32 v54, v53, v52
	v_lshrrev_b32_e32 v54, 1, v54
	s_delay_alu instid0(VALU_DEP_1) | instskip(NEXT) | instid1(VALU_DEP_1)
	v_add_nc_u32_e32 v54, v54, v52
	v_add_nc_u32_e32 v55, v4, v54
	v_xad_u32 v56, v54, -1, v30
	v_add_nc_u32_e32 v57, 1, v54
	ds_load_i8 v55, v55
	ds_load_i8 v56, v56
	s_wait_dscnt 0x0
	v_cmp_lt_i16_e64 s8, v56, v55
	s_wait_alu 0xf1ff
	s_delay_alu instid0(VALU_DEP_1) | instskip(SKIP_1) | instid1(VALU_DEP_1)
	v_cndmask_b32_e64 v53, v53, v54, s8
	v_cndmask_b32_e64 v52, v57, v52, s8
	v_cmp_ge_i32_e64 s8, v52, v53
	s_or_b32 s10, s8, s10
	s_delay_alu instid0(SALU_CYCLE_1)
	s_and_not1_b32 exec_lo, exec_lo, s10
	s_cbranch_execnz .LBB71_16
; %bb.17:                               ;   in Loop: Header=BB71_2 Depth=1
	s_or_b32 exec_lo, exec_lo, s10
.LBB71_18:                              ;   in Loop: Header=BB71_2 Depth=1
	s_wait_alu 0xfffe
	s_or_b32 exec_lo, exec_lo, s9
	v_add_nc_u32_e32 v53, v52, v4
	v_sub_nc_u32_e32 v52, v30, v52
	ds_load_u8 v54, v53
	ds_load_u8 v55, v52
	v_cmp_le_i32_e64 s8, v16, v53
	v_cmp_gt_i32_e64 s10, v17, v52
	s_wait_loadcnt_dscnt 0x0
	s_barrier_signal -1
	s_barrier_wait -1
	global_inv scope:SCOPE_SE
	ds_store_b8 v0, v51
	s_wait_loadcnt_dscnt 0x0
	s_barrier_signal -1
	s_barrier_wait -1
	global_inv scope:SCOPE_SE
	v_bfe_i32 v56, v54, 0, 8
	v_bfe_i32 v57, v55, 0, 8
	s_delay_alu instid0(VALU_DEP_1)
	v_cmp_lt_i16_e64 s9, v57, v56
	s_or_b32 s8, s8, s9
	s_wait_alu 0xfffe
	s_and_b32 s8, s10, s8
	s_wait_alu 0xfffe
	v_cndmask_b32_e64 v52, v53, v52, s8
	v_cndmask_b32_e64 v54, v54, v55, s8
	ds_load_u8 v51, v52
	v_mov_b32_e32 v52, v46
	s_wait_loadcnt_dscnt 0x0
	s_barrier_signal -1
	s_barrier_wait -1
	global_inv scope:SCOPE_SE
	ds_store_b8 v0, v54
	s_wait_loadcnt_dscnt 0x0
	s_barrier_signal -1
	s_barrier_wait -1
	global_inv scope:SCOPE_SE
	s_and_saveexec_b32 s9, s4
	s_cbranch_execz .LBB71_22
; %bb.19:                               ;   in Loop: Header=BB71_2 Depth=1
	v_dual_mov_b32 v52, v46 :: v_dual_mov_b32 v53, v39
	s_mov_b32 s10, 0
.LBB71_20:                              ;   Parent Loop BB71_2 Depth=1
                                        ; =>  This Inner Loop Header: Depth=2
	s_delay_alu instid0(VALU_DEP_1) | instskip(NEXT) | instid1(VALU_DEP_1)
	v_sub_nc_u32_e32 v54, v53, v52
	v_lshrrev_b32_e32 v54, 1, v54
	s_delay_alu instid0(VALU_DEP_1) | instskip(NEXT) | instid1(VALU_DEP_1)
	v_add_nc_u32_e32 v54, v54, v52
	v_add_nc_u32_e32 v55, v5, v54
	v_xad_u32 v56, v54, -1, v31
	v_add_nc_u32_e32 v57, 1, v54
	ds_load_i8 v55, v55
	ds_load_i8 v56, v56
	s_wait_dscnt 0x0
	v_cmp_lt_i16_e64 s8, v56, v55
	s_wait_alu 0xf1ff
	s_delay_alu instid0(VALU_DEP_1) | instskip(SKIP_1) | instid1(VALU_DEP_1)
	v_cndmask_b32_e64 v53, v53, v54, s8
	v_cndmask_b32_e64 v52, v57, v52, s8
	v_cmp_ge_i32_e64 s8, v52, v53
	s_or_b32 s10, s8, s10
	s_delay_alu instid0(SALU_CYCLE_1)
	s_and_not1_b32 exec_lo, exec_lo, s10
	s_cbranch_execnz .LBB71_20
; %bb.21:                               ;   in Loop: Header=BB71_2 Depth=1
	s_or_b32 exec_lo, exec_lo, s10
.LBB71_22:                              ;   in Loop: Header=BB71_2 Depth=1
	s_wait_alu 0xfffe
	s_or_b32 exec_lo, exec_lo, s9
	v_add_nc_u32_e32 v53, v52, v5
	v_sub_nc_u32_e32 v52, v31, v52
	ds_load_u8 v54, v53
	ds_load_u8 v55, v52
	v_cmp_le_i32_e64 s8, v18, v53
	v_cmp_gt_i32_e64 s10, v19, v52
	s_wait_loadcnt_dscnt 0x0
	s_barrier_signal -1
	s_barrier_wait -1
	global_inv scope:SCOPE_SE
	ds_store_b8 v0, v51
	s_wait_loadcnt_dscnt 0x0
	s_barrier_signal -1
	s_barrier_wait -1
	global_inv scope:SCOPE_SE
	v_bfe_i32 v56, v54, 0, 8
	v_bfe_i32 v57, v55, 0, 8
	s_delay_alu instid0(VALU_DEP_1)
	v_cmp_lt_i16_e64 s9, v57, v56
	s_or_b32 s8, s8, s9
	s_wait_alu 0xfffe
	s_and_b32 s8, s10, s8
	s_wait_alu 0xfffe
	v_cndmask_b32_e64 v52, v53, v52, s8
	v_cndmask_b32_e64 v54, v54, v55, s8
	ds_load_u8 v51, v52
	v_mov_b32_e32 v52, v47
	s_wait_loadcnt_dscnt 0x0
	s_barrier_signal -1
	s_barrier_wait -1
	global_inv scope:SCOPE_SE
	ds_store_b8 v0, v54
	s_wait_loadcnt_dscnt 0x0
	s_barrier_signal -1
	s_barrier_wait -1
	global_inv scope:SCOPE_SE
	s_and_saveexec_b32 s9, s5
	s_cbranch_execz .LBB71_26
; %bb.23:                               ;   in Loop: Header=BB71_2 Depth=1
	v_dual_mov_b32 v52, v47 :: v_dual_mov_b32 v53, v40
	s_mov_b32 s10, 0
.LBB71_24:                              ;   Parent Loop BB71_2 Depth=1
                                        ; =>  This Inner Loop Header: Depth=2
	s_delay_alu instid0(VALU_DEP_1) | instskip(NEXT) | instid1(VALU_DEP_1)
	v_sub_nc_u32_e32 v54, v53, v52
	v_lshrrev_b32_e32 v54, 1, v54
	s_delay_alu instid0(VALU_DEP_1) | instskip(NEXT) | instid1(VALU_DEP_1)
	v_add_nc_u32_e32 v54, v54, v52
	v_add_nc_u32_e32 v55, v6, v54
	v_xad_u32 v56, v54, -1, v32
	v_add_nc_u32_e32 v57, 1, v54
	ds_load_i8 v55, v55
	ds_load_i8 v56, v56
	s_wait_dscnt 0x0
	v_cmp_lt_i16_e64 s8, v56, v55
	s_wait_alu 0xf1ff
	s_delay_alu instid0(VALU_DEP_1) | instskip(SKIP_1) | instid1(VALU_DEP_1)
	v_cndmask_b32_e64 v53, v53, v54, s8
	v_cndmask_b32_e64 v52, v57, v52, s8
	v_cmp_ge_i32_e64 s8, v52, v53
	s_or_b32 s10, s8, s10
	s_delay_alu instid0(SALU_CYCLE_1)
	s_and_not1_b32 exec_lo, exec_lo, s10
	s_cbranch_execnz .LBB71_24
; %bb.25:                               ;   in Loop: Header=BB71_2 Depth=1
	s_or_b32 exec_lo, exec_lo, s10
.LBB71_26:                              ;   in Loop: Header=BB71_2 Depth=1
	s_wait_alu 0xfffe
	s_or_b32 exec_lo, exec_lo, s9
	v_add_nc_u32_e32 v53, v52, v6
	v_sub_nc_u32_e32 v52, v32, v52
	ds_load_u8 v54, v53
	ds_load_u8 v55, v52
	v_cmp_le_i32_e64 s8, v20, v53
	v_cmp_gt_i32_e64 s10, v21, v52
	s_wait_loadcnt_dscnt 0x0
	s_barrier_signal -1
	s_barrier_wait -1
	global_inv scope:SCOPE_SE
	ds_store_b8 v0, v51
	s_wait_loadcnt_dscnt 0x0
	s_barrier_signal -1
	s_barrier_wait -1
	global_inv scope:SCOPE_SE
	v_bfe_i32 v56, v54, 0, 8
	v_bfe_i32 v57, v55, 0, 8
	s_delay_alu instid0(VALU_DEP_1)
	v_cmp_lt_i16_e64 s9, v57, v56
	s_or_b32 s8, s8, s9
	s_wait_alu 0xfffe
	s_and_b32 s8, s10, s8
	s_wait_alu 0xfffe
	v_cndmask_b32_e64 v52, v53, v52, s8
	v_cndmask_b32_e64 v54, v54, v55, s8
	ds_load_u8 v51, v52
	v_mov_b32_e32 v52, v48
	s_wait_loadcnt_dscnt 0x0
	s_barrier_signal -1
	s_barrier_wait -1
	global_inv scope:SCOPE_SE
	ds_store_b8 v0, v54
	s_wait_loadcnt_dscnt 0x0
	s_barrier_signal -1
	s_barrier_wait -1
	global_inv scope:SCOPE_SE
	s_and_saveexec_b32 s9, s6
	s_cbranch_execz .LBB71_30
; %bb.27:                               ;   in Loop: Header=BB71_2 Depth=1
	v_dual_mov_b32 v52, v48 :: v_dual_mov_b32 v53, v41
	s_mov_b32 s10, 0
.LBB71_28:                              ;   Parent Loop BB71_2 Depth=1
                                        ; =>  This Inner Loop Header: Depth=2
	s_delay_alu instid0(VALU_DEP_1) | instskip(NEXT) | instid1(VALU_DEP_1)
	v_sub_nc_u32_e32 v54, v53, v52
	v_lshrrev_b32_e32 v54, 1, v54
	s_delay_alu instid0(VALU_DEP_1) | instskip(NEXT) | instid1(VALU_DEP_1)
	v_add_nc_u32_e32 v54, v54, v52
	v_add_nc_u32_e32 v55, v7, v54
	v_xad_u32 v56, v54, -1, v33
	v_add_nc_u32_e32 v57, 1, v54
	ds_load_i8 v55, v55
	ds_load_i8 v56, v56
	s_wait_dscnt 0x0
	v_cmp_lt_i16_e64 s8, v56, v55
	s_wait_alu 0xf1ff
	s_delay_alu instid0(VALU_DEP_1) | instskip(SKIP_1) | instid1(VALU_DEP_1)
	v_cndmask_b32_e64 v53, v53, v54, s8
	v_cndmask_b32_e64 v52, v57, v52, s8
	v_cmp_ge_i32_e64 s8, v52, v53
	s_or_b32 s10, s8, s10
	s_delay_alu instid0(SALU_CYCLE_1)
	s_and_not1_b32 exec_lo, exec_lo, s10
	s_cbranch_execnz .LBB71_28
; %bb.29:                               ;   in Loop: Header=BB71_2 Depth=1
	s_or_b32 exec_lo, exec_lo, s10
.LBB71_30:                              ;   in Loop: Header=BB71_2 Depth=1
	s_wait_alu 0xfffe
	s_or_b32 exec_lo, exec_lo, s9
	v_add_nc_u32_e32 v53, v52, v7
	v_sub_nc_u32_e32 v52, v33, v52
	ds_load_u8 v54, v53
	ds_load_u8 v55, v52
	v_cmp_le_i32_e64 s8, v22, v53
	v_cmp_gt_i32_e64 s10, v23, v52
	s_wait_loadcnt_dscnt 0x0
	s_barrier_signal -1
	s_barrier_wait -1
	global_inv scope:SCOPE_SE
	ds_store_b8 v0, v51
	s_wait_loadcnt_dscnt 0x0
	s_barrier_signal -1
	s_barrier_wait -1
	global_inv scope:SCOPE_SE
	v_bfe_i32 v56, v54, 0, 8
	v_bfe_i32 v57, v55, 0, 8
	s_delay_alu instid0(VALU_DEP_1)
	v_cmp_lt_i16_e64 s9, v57, v56
	s_or_b32 s8, s8, s9
	s_wait_alu 0xfffe
	s_and_b32 s8, s10, s8
	s_wait_alu 0xfffe
	v_cndmask_b32_e64 v52, v53, v52, s8
	v_cndmask_b32_e64 v54, v54, v55, s8
	ds_load_u8 v51, v52
	v_mov_b32_e32 v52, v49
	s_wait_loadcnt_dscnt 0x0
	s_barrier_signal -1
	s_barrier_wait -1
	global_inv scope:SCOPE_SE
	ds_store_b8 v0, v54
	s_wait_loadcnt_dscnt 0x0
	s_barrier_signal -1
	s_barrier_wait -1
	global_inv scope:SCOPE_SE
	s_and_saveexec_b32 s9, s7
	s_cbranch_execz .LBB71_34
; %bb.31:                               ;   in Loop: Header=BB71_2 Depth=1
	v_dual_mov_b32 v52, v49 :: v_dual_mov_b32 v53, v42
	s_mov_b32 s10, 0
.LBB71_32:                              ;   Parent Loop BB71_2 Depth=1
                                        ; =>  This Inner Loop Header: Depth=2
	s_delay_alu instid0(VALU_DEP_1) | instskip(NEXT) | instid1(VALU_DEP_1)
	v_sub_nc_u32_e32 v54, v53, v52
	v_lshrrev_b32_e32 v54, 1, v54
	s_delay_alu instid0(VALU_DEP_1) | instskip(NEXT) | instid1(VALU_DEP_1)
	v_add_nc_u32_e32 v54, v54, v52
	v_add_nc_u32_e32 v55, v8, v54
	v_xad_u32 v56, v54, -1, v34
	v_add_nc_u32_e32 v57, 1, v54
	ds_load_i8 v55, v55
	ds_load_i8 v56, v56
	s_wait_dscnt 0x0
	v_cmp_lt_i16_e64 s8, v56, v55
	s_wait_alu 0xf1ff
	s_delay_alu instid0(VALU_DEP_1) | instskip(SKIP_1) | instid1(VALU_DEP_1)
	v_cndmask_b32_e64 v53, v53, v54, s8
	v_cndmask_b32_e64 v52, v57, v52, s8
	v_cmp_ge_i32_e64 s8, v52, v53
	s_or_b32 s10, s8, s10
	s_delay_alu instid0(SALU_CYCLE_1)
	s_and_not1_b32 exec_lo, exec_lo, s10
	s_cbranch_execnz .LBB71_32
; %bb.33:                               ;   in Loop: Header=BB71_2 Depth=1
	s_or_b32 exec_lo, exec_lo, s10
.LBB71_34:                              ;   in Loop: Header=BB71_2 Depth=1
	s_wait_alu 0xfffe
	s_or_b32 exec_lo, exec_lo, s9
	v_add_nc_u32_e32 v53, v52, v8
	v_sub_nc_u32_e32 v52, v34, v52
	ds_load_u8 v54, v53
	ds_load_u8 v55, v52
	v_cmp_le_i32_e64 s8, v24, v53
	v_cmp_gt_i32_e64 s10, v25, v52
	s_wait_loadcnt_dscnt 0x0
	s_barrier_signal -1
	s_barrier_wait -1
	global_inv scope:SCOPE_SE
	ds_store_b8 v0, v51
	s_wait_loadcnt_dscnt 0x0
	s_barrier_signal -1
	s_barrier_wait -1
	global_inv scope:SCOPE_SE
	v_bfe_i32 v56, v54, 0, 8
	v_bfe_i32 v57, v55, 0, 8
	s_delay_alu instid0(VALU_DEP_1)
	v_cmp_lt_i16_e64 s9, v57, v56
	s_or_b32 s8, s8, s9
	s_wait_alu 0xfffe
	s_and_b32 s8, s10, s8
	s_wait_alu 0xfffe
	v_cndmask_b32_e64 v52, v53, v52, s8
	v_cndmask_b32_e64 v54, v54, v55, s8
	v_mov_b32_e32 v53, v9
	ds_load_u8 v52, v52
	s_wait_loadcnt_dscnt 0x0
	s_barrier_signal -1
	s_barrier_wait -1
	global_inv scope:SCOPE_SE
	ds_store_b8 v0, v54
	s_wait_loadcnt_dscnt 0x0
	s_barrier_signal -1
	s_barrier_wait -1
	global_inv scope:SCOPE_SE
	s_and_saveexec_b32 s9, vcc_lo
	s_cbranch_execz .LBB71_1
; %bb.35:                               ;   in Loop: Header=BB71_2 Depth=1
	v_mov_b32_e32 v53, v9
	v_mov_b32_e32 v51, v10
	s_mov_b32 s10, 0
.LBB71_36:                              ;   Parent Loop BB71_2 Depth=1
                                        ; =>  This Inner Loop Header: Depth=2
	s_delay_alu instid0(VALU_DEP_1) | instskip(NEXT) | instid1(VALU_DEP_1)
	v_sub_nc_u32_e32 v54, v51, v53
	v_lshrrev_b32_e32 v54, 1, v54
	s_delay_alu instid0(VALU_DEP_1) | instskip(NEXT) | instid1(VALU_DEP_1)
	v_add_nc_u32_e32 v54, v54, v53
	v_xad_u32 v55, v54, -1, v50
	v_add_nc_u32_e32 v57, 1, v54
	ds_load_i8 v56, v54
	ds_load_i8 v55, v55
	s_wait_dscnt 0x0
	v_cmp_lt_i16_e64 s8, v55, v56
	s_wait_alu 0xf1ff
	s_delay_alu instid0(VALU_DEP_1) | instskip(SKIP_1) | instid1(VALU_DEP_1)
	v_cndmask_b32_e64 v51, v51, v54, s8
	v_cndmask_b32_e64 v53, v57, v53, s8
	v_cmp_ge_i32_e64 s8, v53, v51
	s_or_b32 s10, s8, s10
	s_delay_alu instid0(SALU_CYCLE_1)
	s_and_not1_b32 exec_lo, exec_lo, s10
	s_cbranch_execnz .LBB71_36
; %bb.37:                               ;   in Loop: Header=BB71_2 Depth=1
	s_or_b32 exec_lo, exec_lo, s10
	s_branch .LBB71_1
.LBB71_38:
	s_add_nc_u64 s[0:1], s[14:15], s[16:17]
	s_wait_dscnt 0x0
	v_add_nc_u16 v2, v51, v52
	s_wait_alu 0xfffe
	v_add_co_u32 v0, s0, s0, v0
	s_wait_alu 0xf1ff
	v_add_co_ci_u32_e64 v1, null, s1, 0, s0
	global_store_b8 v[0:1], v2, off
	s_endpgm
	.section	.rodata,"a",@progbits
	.p2align	6, 0x0
	.amdhsa_kernel _Z17sort_pairs_kernelIaLj512ELj1EN10test_utils4lessELj10EEvPKT_PS2_T2_
		.amdhsa_group_segment_fixed_size 513
		.amdhsa_private_segment_fixed_size 0
		.amdhsa_kernarg_size 20
		.amdhsa_user_sgpr_count 2
		.amdhsa_user_sgpr_dispatch_ptr 0
		.amdhsa_user_sgpr_queue_ptr 0
		.amdhsa_user_sgpr_kernarg_segment_ptr 1
		.amdhsa_user_sgpr_dispatch_id 0
		.amdhsa_user_sgpr_private_segment_size 0
		.amdhsa_wavefront_size32 1
		.amdhsa_uses_dynamic_stack 0
		.amdhsa_enable_private_segment 0
		.amdhsa_system_sgpr_workgroup_id_x 1
		.amdhsa_system_sgpr_workgroup_id_y 0
		.amdhsa_system_sgpr_workgroup_id_z 0
		.amdhsa_system_sgpr_workgroup_info 0
		.amdhsa_system_vgpr_workitem_id 0
		.amdhsa_next_free_vgpr 66
		.amdhsa_next_free_sgpr 18
		.amdhsa_reserve_vcc 1
		.amdhsa_float_round_mode_32 0
		.amdhsa_float_round_mode_16_64 0
		.amdhsa_float_denorm_mode_32 3
		.amdhsa_float_denorm_mode_16_64 3
		.amdhsa_fp16_overflow 0
		.amdhsa_workgroup_processor_mode 1
		.amdhsa_memory_ordered 1
		.amdhsa_forward_progress 1
		.amdhsa_inst_pref_size 32
		.amdhsa_round_robin_scheduling 0
		.amdhsa_exception_fp_ieee_invalid_op 0
		.amdhsa_exception_fp_denorm_src 0
		.amdhsa_exception_fp_ieee_div_zero 0
		.amdhsa_exception_fp_ieee_overflow 0
		.amdhsa_exception_fp_ieee_underflow 0
		.amdhsa_exception_fp_ieee_inexact 0
		.amdhsa_exception_int_div_zero 0
	.end_amdhsa_kernel
	.section	.text._Z17sort_pairs_kernelIaLj512ELj1EN10test_utils4lessELj10EEvPKT_PS2_T2_,"axG",@progbits,_Z17sort_pairs_kernelIaLj512ELj1EN10test_utils4lessELj10EEvPKT_PS2_T2_,comdat
.Lfunc_end71:
	.size	_Z17sort_pairs_kernelIaLj512ELj1EN10test_utils4lessELj10EEvPKT_PS2_T2_, .Lfunc_end71-_Z17sort_pairs_kernelIaLj512ELj1EN10test_utils4lessELj10EEvPKT_PS2_T2_
                                        ; -- End function
	.set _Z17sort_pairs_kernelIaLj512ELj1EN10test_utils4lessELj10EEvPKT_PS2_T2_.num_vgpr, 66
	.set _Z17sort_pairs_kernelIaLj512ELj1EN10test_utils4lessELj10EEvPKT_PS2_T2_.num_agpr, 0
	.set _Z17sort_pairs_kernelIaLj512ELj1EN10test_utils4lessELj10EEvPKT_PS2_T2_.numbered_sgpr, 18
	.set _Z17sort_pairs_kernelIaLj512ELj1EN10test_utils4lessELj10EEvPKT_PS2_T2_.num_named_barrier, 0
	.set _Z17sort_pairs_kernelIaLj512ELj1EN10test_utils4lessELj10EEvPKT_PS2_T2_.private_seg_size, 0
	.set _Z17sort_pairs_kernelIaLj512ELj1EN10test_utils4lessELj10EEvPKT_PS2_T2_.uses_vcc, 1
	.set _Z17sort_pairs_kernelIaLj512ELj1EN10test_utils4lessELj10EEvPKT_PS2_T2_.uses_flat_scratch, 0
	.set _Z17sort_pairs_kernelIaLj512ELj1EN10test_utils4lessELj10EEvPKT_PS2_T2_.has_dyn_sized_stack, 0
	.set _Z17sort_pairs_kernelIaLj512ELj1EN10test_utils4lessELj10EEvPKT_PS2_T2_.has_recursion, 0
	.set _Z17sort_pairs_kernelIaLj512ELj1EN10test_utils4lessELj10EEvPKT_PS2_T2_.has_indirect_call, 0
	.section	.AMDGPU.csdata,"",@progbits
; Kernel info:
; codeLenInByte = 4016
; TotalNumSgprs: 20
; NumVgprs: 66
; ScratchSize: 0
; MemoryBound: 0
; FloatMode: 240
; IeeeMode: 1
; LDSByteSize: 513 bytes/workgroup (compile time only)
; SGPRBlocks: 0
; VGPRBlocks: 8
; NumSGPRsForWavesPerEU: 20
; NumVGPRsForWavesPerEU: 66
; Occupancy: 16
; WaveLimiterHint : 0
; COMPUTE_PGM_RSRC2:SCRATCH_EN: 0
; COMPUTE_PGM_RSRC2:USER_SGPR: 2
; COMPUTE_PGM_RSRC2:TRAP_HANDLER: 0
; COMPUTE_PGM_RSRC2:TGID_X_EN: 1
; COMPUTE_PGM_RSRC2:TGID_Y_EN: 0
; COMPUTE_PGM_RSRC2:TGID_Z_EN: 0
; COMPUTE_PGM_RSRC2:TIDIG_COMP_CNT: 0
	.section	.text._Z16sort_keys_kernelIaLj512ELj2EN10test_utils4lessELj10EEvPKT_PS2_T2_,"axG",@progbits,_Z16sort_keys_kernelIaLj512ELj2EN10test_utils4lessELj10EEvPKT_PS2_T2_,comdat
	.protected	_Z16sort_keys_kernelIaLj512ELj2EN10test_utils4lessELj10EEvPKT_PS2_T2_ ; -- Begin function _Z16sort_keys_kernelIaLj512ELj2EN10test_utils4lessELj10EEvPKT_PS2_T2_
	.globl	_Z16sort_keys_kernelIaLj512ELj2EN10test_utils4lessELj10EEvPKT_PS2_T2_
	.p2align	8
	.type	_Z16sort_keys_kernelIaLj512ELj2EN10test_utils4lessELj10EEvPKT_PS2_T2_,@function
_Z16sort_keys_kernelIaLj512ELj2EN10test_utils4lessELj10EEvPKT_PS2_T2_: ; @_Z16sort_keys_kernelIaLj512ELj2EN10test_utils4lessELj10EEvPKT_PS2_T2_
; %bb.0:
	s_load_b128 s[12:15], s[0:1], 0x0
	s_lshl_b32 s16, ttmp9, 10
	s_mov_b32 s17, 0
	v_lshlrev_b32_e32 v1, 1, v0
	s_delay_alu instid0(VALU_DEP_1) | instskip(SKIP_1) | instid1(VALU_DEP_2)
	v_and_b32_e32 v2, 0x3fc, v1
	v_and_b32_e32 v15, 2, v1
	v_or_b32_e32 v3, 2, v2
	v_add_nc_u32_e32 v4, 4, v2
	s_delay_alu instid0(VALU_DEP_2) | instskip(NEXT) | instid1(VALU_DEP_2)
	v_sub_nc_u32_e32 v10, v3, v2
	v_sub_nc_u32_e32 v8, v4, v3
	s_wait_kmcnt 0x0
	s_add_nc_u64 s[0:1], s[12:13], s[16:17]
	s_mov_b32 s12, s17
	s_clause 0x1
	global_load_u8 v54, v0, s[0:1] offset:512
	global_load_u8 v53, v0, s[0:1]
	v_min_i32_e32 v10, v15, v10
	v_sub_nc_u32_e32 v9, v15, v8
	v_cmp_ge_i32_e32 vcc_lo, v15, v8
	s_delay_alu instid0(VALU_DEP_2)
	v_dual_cndmask_b32 v8, 0, v9 :: v_dual_add_nc_u32 v15, v3, v15
	v_and_b32_e32 v5, 0x3f8, v1
	v_and_b32_e32 v9, 0x3f0, v1
	;; [unrolled: 1-line block ×5, first 2 shown]
	v_or_b32_e32 v6, 4, v5
	v_add_nc_u32_e32 v7, 8, v5
	v_or_b32_e32 v11, 8, v9
	v_add_nc_u32_e32 v12, 16, v9
	v_and_b32_e32 v33, 30, v1
	v_sub_nc_u32_e32 v16, v6, v5
	v_sub_nc_u32_e32 v13, v7, v6
	;; [unrolled: 1-line block ×4, first 2 shown]
	v_or_b32_e32 v23, 32, v21
	v_add_nc_u32_e32 v24, 64, v21
	v_sub_nc_u32_e32 v14, v22, v13
	v_cmp_ge_i32_e64 s0, v22, v13
	v_sub_nc_u32_e32 v18, v25, v17
	v_cmp_ge_i32_e64 s1, v25, v17
	v_and_b32_e32 v26, 0x380, v1
	v_and_b32_e32 v34, 62, v1
	v_cndmask_b32_e64 v13, 0, v14, s0
	v_min_i32_e32 v14, v22, v16
	v_and_b32_e32 v16, 0x3e0, v1
	v_cndmask_b32_e64 v17, 0, v18, s1
	v_min_i32_e32 v18, v25, v19
	v_sub_nc_u32_e32 v31, v24, v23
	v_add_nc_u32_e32 v30, 0x80, v26
	v_or_b32_e32 v19, 16, v16
	v_add_nc_u32_e32 v20, 32, v16
	v_sub_nc_u32_e32 v35, v23, v21
	v_sub_nc_u32_e32 v32, v34, v31
	v_and_b32_e32 v43, 0x7e, v1
	v_and_b32_e32 v36, 0x200, v1
	v_sub_nc_u32_e32 v27, v20, v19
	v_and_b32_e32 v50, 0xfe, v1
	v_and_b32_e32 v51, 0x1fe, v1
	v_sub_nc_u32_e32 v28, v19, v16
	v_or_b32_e32 v41, 0x100, v36
	v_sub_nc_u32_e32 v29, v33, v27
	v_cmp_ge_i32_e64 s2, v33, v27
	v_add_nc_u32_e32 v42, 0x200, v36
	v_min_i32_e32 v28, v33, v28
	v_sub_nc_u32_e32 v48, v41, v36
	v_cmp_lt_i32_e64 s0, v13, v14
	v_cndmask_b32_e64 v27, 0, v29, s2
	v_or_b32_e32 v29, 64, v26
	v_cmp_ge_i32_e64 s2, v34, v31
	v_sub_nc_u32_e32 v46, v42, v41
	v_add_nc_u32_e32 v22, v6, v22
	v_cmp_lt_i32_e64 s1, v17, v18
	v_sub_nc_u32_e32 v37, v30, v29
	s_wait_alu 0xf1ff
	v_cndmask_b32_e64 v31, 0, v32, s2
	v_min_i32_e32 v32, v34, v35
	v_and_b32_e32 v35, 0x300, v1
	v_sub_nc_u32_e32 v40, v29, v26
	v_sub_nc_u32_e32 v38, v43, v37
	v_cmp_ge_i32_e64 s4, v43, v37
	v_sub_nc_u32_e32 v49, v51, v46
	v_add_nc_u32_e32 v39, 0x100, v35
	v_min_i32_e32 v40, v43, v40
	v_add_nc_u32_e32 v25, v11, v25
	v_cndmask_b32_e64 v37, 0, v38, s4
	v_or_b32_e32 v38, 0x80, v35
	v_cmp_lt_i32_e64 s2, v27, v28
	v_add_nc_u32_e32 v33, v19, v33
	v_cmp_lt_i32_e64 s3, v31, v32
	v_add_nc_u32_e32 v34, v23, v34
	v_sub_nc_u32_e32 v44, v39, v38
	v_sub_nc_u32_e32 v47, v38, v35
	v_cmp_lt_i32_e64 s4, v37, v40
	v_add_nc_u32_e32 v43, v29, v43
	v_add_nc_u32_e32 v52, 0x200, v1
	v_sub_nc_u32_e32 v45, v50, v44
	v_cmp_ge_i32_e64 s5, v50, v44
	v_cmp_lt_i32_e32 vcc_lo, v8, v10
	s_wait_alu 0xf1ff
	s_delay_alu instid0(VALU_DEP_2)
	v_cndmask_b32_e64 v44, 0, v45, s5
	v_cmp_ge_i32_e64 s5, v51, v46
	v_min_i32_e32 v45, v50, v47
	v_min_i32_e32 v47, v51, v48
	v_subrev_nc_u32_e64 v48, 0x200, v1 clamp
	v_add_nc_u32_e32 v50, v38, v50
	s_wait_alu 0xf1ff
	v_cndmask_b32_e64 v46, 0, v49, s5
	v_min_i32_e32 v49, 0x200, v1
	v_cmp_lt_i32_e64 s5, v44, v45
	v_add_nc_u32_e32 v51, v41, v51
	s_delay_alu instid0(VALU_DEP_4) | instskip(NEXT) | instid1(VALU_DEP_4)
	v_cmp_lt_i32_e64 s6, v46, v47
	v_cmp_lt_i32_e64 s7, v48, v49
	s_branch .LBB72_2
.LBB72_1:                               ;   in Loop: Header=BB72_2 Depth=1
	s_or_b32 exec_lo, exec_lo, s9
	s_wait_dscnt 0x0
	s_delay_alu instid0(VALU_DEP_1)
	v_bfe_i32 v53, v57, 0, 8
	v_bfe_i32 v60, v59, 0, 8
	v_cmp_le_i32_e64 s9, 0x200, v58
	v_cmp_gt_i32_e64 s11, 0x400, v55
	s_add_co_i32 s12, s12, 1
	v_cmp_lt_i16_e64 s10, v60, v53
	v_cndmask_b32_e64 v53, v54, v56, s8
	s_or_b32 s9, s9, s10
	s_wait_alu 0xfffe
	s_and_b32 s8, s11, s9
	s_cmp_eq_u32 s12, 10
	s_wait_alu 0xfffe
	v_cndmask_b32_e64 v54, v57, v59, s8
	s_cbranch_scc1 .LBB72_74
.LBB72_2:                               ; =>This Loop Header: Depth=1
                                        ;     Child Loop BB72_4 Depth 2
                                        ;     Child Loop BB72_12 Depth 2
	;; [unrolled: 1-line block ×9, first 2 shown]
	s_wait_loadcnt 0x0
	v_bfe_i32 v55, v53, 0, 8
	s_delay_alu instid0(VALU_DEP_2) | instskip(SKIP_3) | instid1(VALU_DEP_4)
	v_bfe_i32 v56, v54, 0, 8
	v_perm_b32 v57, v54, v53, 0xc0c0004
	v_perm_b32 v53, v53, v54, 0xc0c0004
	v_mov_b32_e32 v54, v8
	v_cmp_lt_i16_e64 s8, v56, v55
	s_barrier_signal -1
	s_barrier_wait -1
	global_inv scope:SCOPE_SE
	s_wait_alu 0xf1ff
	v_cndmask_b32_e64 v53, v53, v57, s8
	s_delay_alu instid0(VALU_DEP_1)
	v_lshrrev_b16 v55, 8, v53
	ds_store_b8 v1, v53
	ds_store_b8 v1, v55 offset:1
	s_wait_loadcnt_dscnt 0x0
	s_barrier_signal -1
	s_barrier_wait -1
	global_inv scope:SCOPE_SE
	s_and_saveexec_b32 s9, vcc_lo
	s_cbranch_execz .LBB72_6
; %bb.3:                                ;   in Loop: Header=BB72_2 Depth=1
	v_dual_mov_b32 v54, v8 :: v_dual_mov_b32 v53, v10
	s_mov_b32 s10, 0
.LBB72_4:                               ;   Parent Loop BB72_2 Depth=1
                                        ; =>  This Inner Loop Header: Depth=2
	s_delay_alu instid0(VALU_DEP_1) | instskip(NEXT) | instid1(VALU_DEP_1)
	v_sub_nc_u32_e32 v55, v53, v54
	v_lshrrev_b32_e32 v55, 1, v55
	s_delay_alu instid0(VALU_DEP_1) | instskip(NEXT) | instid1(VALU_DEP_1)
	v_add_nc_u32_e32 v55, v55, v54
	v_add_nc_u32_e32 v56, v2, v55
	v_xad_u32 v57, v55, -1, v15
	v_add_nc_u32_e32 v58, 1, v55
	ds_load_i8 v56, v56
	ds_load_i8 v57, v57
	s_wait_dscnt 0x0
	v_cmp_lt_i16_e64 s8, v57, v56
	s_wait_alu 0xf1ff
	s_delay_alu instid0(VALU_DEP_1) | instskip(SKIP_1) | instid1(VALU_DEP_1)
	v_cndmask_b32_e64 v53, v53, v55, s8
	v_cndmask_b32_e64 v54, v58, v54, s8
	v_cmp_ge_i32_e64 s8, v54, v53
	s_or_b32 s10, s8, s10
	s_delay_alu instid0(SALU_CYCLE_1)
	s_and_not1_b32 exec_lo, exec_lo, s10
	s_cbranch_execnz .LBB72_4
; %bb.5:                                ;   in Loop: Header=BB72_2 Depth=1
	s_or_b32 exec_lo, exec_lo, s10
.LBB72_6:                               ;   in Loop: Header=BB72_2 Depth=1
	s_wait_alu 0xfffe
	s_or_b32 exec_lo, exec_lo, s9
	v_add_nc_u32_e32 v53, v54, v2
	v_sub_nc_u32_e32 v54, v15, v54
                                        ; implicit-def: $vgpr57
	ds_load_u8 v55, v53
	ds_load_u8 v56, v54
	v_cmp_le_i32_e64 s8, v3, v53
	v_cmp_gt_i32_e64 s10, v4, v54
	s_wait_dscnt 0x1
	v_bfe_i32 v55, v55, 0, 8
	s_wait_dscnt 0x0
	v_bfe_i32 v56, v56, 0, 8
	s_delay_alu instid0(VALU_DEP_1)
	v_cmp_lt_i16_e64 s9, v56, v55
	s_or_b32 s8, s8, s9
	s_wait_alu 0xfffe
	s_and_b32 s8, s10, s8
	s_wait_alu 0xfffe
	s_xor_b32 s9, s8, -1
	s_wait_alu 0xfffe
	s_and_saveexec_b32 s10, s9
	s_delay_alu instid0(SALU_CYCLE_1)
	s_xor_b32 s9, exec_lo, s10
; %bb.7:                                ;   in Loop: Header=BB72_2 Depth=1
	ds_load_u8 v57, v53 offset:1
; %bb.8:                                ;   in Loop: Header=BB72_2 Depth=1
	s_wait_alu 0xfffe
	s_or_saveexec_b32 s9, s9
	v_mov_b32_e32 v58, v56
	s_wait_alu 0xfffe
	s_xor_b32 exec_lo, exec_lo, s9
	s_cbranch_execz .LBB72_10
; %bb.9:                                ;   in Loop: Header=BB72_2 Depth=1
	ds_load_u8 v58, v54 offset:1
	s_wait_dscnt 0x1
	v_mov_b32_e32 v57, v55
.LBB72_10:                              ;   in Loop: Header=BB72_2 Depth=1
	s_or_b32 exec_lo, exec_lo, s9
	v_add_nc_u32_e32 v60, 1, v54
	v_add_nc_u32_e32 v59, 1, v53
	s_wait_dscnt 0x0
	v_bfe_i32 v61, v57, 0, 8
	v_bfe_i32 v62, v58, 0, 8
	s_wait_loadcnt 0x0
	v_cndmask_b32_e64 v54, v54, v60, s8
	s_barrier_signal -1
	s_barrier_wait -1
	v_cmp_lt_i16_e64 s9, v62, v61
	global_inv scope:SCOPE_SE
	v_cmp_lt_i32_e64 s11, v54, v4
	v_mov_b32_e32 v54, v13
	v_cndmask_b32_e64 v53, v59, v53, s8
	s_delay_alu instid0(VALU_DEP_1)
	v_cmp_ge_i32_e64 s10, v53, v3
	v_cndmask_b32_e64 v53, v55, v56, s8
	s_or_b32 s8, s10, s9
	s_wait_alu 0xfffe
	s_and_b32 s8, s11, s8
	s_wait_alu 0xfffe
	v_cndmask_b32_e64 v55, v57, v58, s8
	ds_store_b8 v1, v53
	ds_store_b8 v1, v55 offset:1
	s_wait_loadcnt_dscnt 0x0
	s_barrier_signal -1
	s_barrier_wait -1
	global_inv scope:SCOPE_SE
	s_and_saveexec_b32 s9, s0
	s_cbranch_execz .LBB72_14
; %bb.11:                               ;   in Loop: Header=BB72_2 Depth=1
	v_dual_mov_b32 v54, v13 :: v_dual_mov_b32 v53, v14
	s_mov_b32 s10, 0
.LBB72_12:                              ;   Parent Loop BB72_2 Depth=1
                                        ; =>  This Inner Loop Header: Depth=2
	s_delay_alu instid0(VALU_DEP_1) | instskip(NEXT) | instid1(VALU_DEP_1)
	v_sub_nc_u32_e32 v55, v53, v54
	v_lshrrev_b32_e32 v55, 1, v55
	s_delay_alu instid0(VALU_DEP_1) | instskip(NEXT) | instid1(VALU_DEP_1)
	v_add_nc_u32_e32 v55, v55, v54
	v_add_nc_u32_e32 v56, v5, v55
	v_xad_u32 v57, v55, -1, v22
	v_add_nc_u32_e32 v58, 1, v55
	ds_load_i8 v56, v56
	ds_load_i8 v57, v57
	s_wait_dscnt 0x0
	v_cmp_lt_i16_e64 s8, v57, v56
	s_wait_alu 0xf1ff
	s_delay_alu instid0(VALU_DEP_1) | instskip(SKIP_1) | instid1(VALU_DEP_1)
	v_cndmask_b32_e64 v53, v53, v55, s8
	v_cndmask_b32_e64 v54, v58, v54, s8
	v_cmp_ge_i32_e64 s8, v54, v53
	s_or_b32 s10, s8, s10
	s_delay_alu instid0(SALU_CYCLE_1)
	s_and_not1_b32 exec_lo, exec_lo, s10
	s_cbranch_execnz .LBB72_12
; %bb.13:                               ;   in Loop: Header=BB72_2 Depth=1
	s_or_b32 exec_lo, exec_lo, s10
.LBB72_14:                              ;   in Loop: Header=BB72_2 Depth=1
	s_wait_alu 0xfffe
	s_or_b32 exec_lo, exec_lo, s9
	v_add_nc_u32_e32 v53, v54, v5
	v_sub_nc_u32_e32 v54, v22, v54
                                        ; implicit-def: $vgpr57
	ds_load_u8 v55, v53
	ds_load_u8 v56, v54
	v_cmp_le_i32_e64 s8, v6, v53
	v_cmp_gt_i32_e64 s10, v7, v54
	s_wait_dscnt 0x1
	v_bfe_i32 v55, v55, 0, 8
	s_wait_dscnt 0x0
	v_bfe_i32 v56, v56, 0, 8
	s_delay_alu instid0(VALU_DEP_1)
	v_cmp_lt_i16_e64 s9, v56, v55
	s_or_b32 s8, s8, s9
	s_wait_alu 0xfffe
	s_and_b32 s8, s10, s8
	s_wait_alu 0xfffe
	s_xor_b32 s9, s8, -1
	s_wait_alu 0xfffe
	s_and_saveexec_b32 s10, s9
	s_delay_alu instid0(SALU_CYCLE_1)
	s_xor_b32 s9, exec_lo, s10
; %bb.15:                               ;   in Loop: Header=BB72_2 Depth=1
	ds_load_u8 v57, v53 offset:1
; %bb.16:                               ;   in Loop: Header=BB72_2 Depth=1
	s_wait_alu 0xfffe
	s_or_saveexec_b32 s9, s9
	v_mov_b32_e32 v58, v56
	s_wait_alu 0xfffe
	s_xor_b32 exec_lo, exec_lo, s9
	s_cbranch_execz .LBB72_18
; %bb.17:                               ;   in Loop: Header=BB72_2 Depth=1
	ds_load_u8 v58, v54 offset:1
	s_wait_dscnt 0x1
	v_mov_b32_e32 v57, v55
.LBB72_18:                              ;   in Loop: Header=BB72_2 Depth=1
	s_or_b32 exec_lo, exec_lo, s9
	v_add_nc_u32_e32 v60, 1, v54
	v_add_nc_u32_e32 v59, 1, v53
	s_wait_dscnt 0x0
	v_bfe_i32 v61, v57, 0, 8
	v_bfe_i32 v62, v58, 0, 8
	s_wait_loadcnt 0x0
	v_cndmask_b32_e64 v54, v54, v60, s8
	s_barrier_signal -1
	s_barrier_wait -1
	v_cmp_lt_i16_e64 s9, v62, v61
	global_inv scope:SCOPE_SE
	v_cmp_lt_i32_e64 s11, v54, v7
	v_mov_b32_e32 v54, v17
	v_cndmask_b32_e64 v53, v59, v53, s8
	s_delay_alu instid0(VALU_DEP_1)
	v_cmp_ge_i32_e64 s10, v53, v6
	v_cndmask_b32_e64 v53, v55, v56, s8
	s_or_b32 s8, s10, s9
	s_wait_alu 0xfffe
	s_and_b32 s8, s11, s8
	s_wait_alu 0xfffe
	v_cndmask_b32_e64 v55, v57, v58, s8
	ds_store_b8 v1, v53
	ds_store_b8 v1, v55 offset:1
	s_wait_loadcnt_dscnt 0x0
	s_barrier_signal -1
	s_barrier_wait -1
	global_inv scope:SCOPE_SE
	s_and_saveexec_b32 s9, s1
	s_cbranch_execz .LBB72_22
; %bb.19:                               ;   in Loop: Header=BB72_2 Depth=1
	v_dual_mov_b32 v54, v17 :: v_dual_mov_b32 v53, v18
	s_mov_b32 s10, 0
.LBB72_20:                              ;   Parent Loop BB72_2 Depth=1
                                        ; =>  This Inner Loop Header: Depth=2
	s_delay_alu instid0(VALU_DEP_1) | instskip(NEXT) | instid1(VALU_DEP_1)
	v_sub_nc_u32_e32 v55, v53, v54
	v_lshrrev_b32_e32 v55, 1, v55
	s_delay_alu instid0(VALU_DEP_1) | instskip(NEXT) | instid1(VALU_DEP_1)
	v_add_nc_u32_e32 v55, v55, v54
	v_add_nc_u32_e32 v56, v9, v55
	v_xad_u32 v57, v55, -1, v25
	v_add_nc_u32_e32 v58, 1, v55
	ds_load_i8 v56, v56
	ds_load_i8 v57, v57
	s_wait_dscnt 0x0
	v_cmp_lt_i16_e64 s8, v57, v56
	s_wait_alu 0xf1ff
	s_delay_alu instid0(VALU_DEP_1) | instskip(SKIP_1) | instid1(VALU_DEP_1)
	v_cndmask_b32_e64 v53, v53, v55, s8
	v_cndmask_b32_e64 v54, v58, v54, s8
	v_cmp_ge_i32_e64 s8, v54, v53
	s_or_b32 s10, s8, s10
	s_delay_alu instid0(SALU_CYCLE_1)
	s_and_not1_b32 exec_lo, exec_lo, s10
	s_cbranch_execnz .LBB72_20
; %bb.21:                               ;   in Loop: Header=BB72_2 Depth=1
	s_or_b32 exec_lo, exec_lo, s10
.LBB72_22:                              ;   in Loop: Header=BB72_2 Depth=1
	s_wait_alu 0xfffe
	s_or_b32 exec_lo, exec_lo, s9
	v_add_nc_u32_e32 v53, v54, v9
	v_sub_nc_u32_e32 v54, v25, v54
                                        ; implicit-def: $vgpr57
	ds_load_u8 v55, v53
	ds_load_u8 v56, v54
	v_cmp_le_i32_e64 s8, v11, v53
	v_cmp_gt_i32_e64 s10, v12, v54
	s_wait_dscnt 0x1
	v_bfe_i32 v55, v55, 0, 8
	s_wait_dscnt 0x0
	v_bfe_i32 v56, v56, 0, 8
	s_delay_alu instid0(VALU_DEP_1)
	v_cmp_lt_i16_e64 s9, v56, v55
	s_or_b32 s8, s8, s9
	s_wait_alu 0xfffe
	s_and_b32 s8, s10, s8
	s_wait_alu 0xfffe
	s_xor_b32 s9, s8, -1
	s_wait_alu 0xfffe
	s_and_saveexec_b32 s10, s9
	s_delay_alu instid0(SALU_CYCLE_1)
	s_xor_b32 s9, exec_lo, s10
; %bb.23:                               ;   in Loop: Header=BB72_2 Depth=1
	ds_load_u8 v57, v53 offset:1
; %bb.24:                               ;   in Loop: Header=BB72_2 Depth=1
	s_wait_alu 0xfffe
	s_or_saveexec_b32 s9, s9
	v_mov_b32_e32 v58, v56
	s_wait_alu 0xfffe
	s_xor_b32 exec_lo, exec_lo, s9
	s_cbranch_execz .LBB72_26
; %bb.25:                               ;   in Loop: Header=BB72_2 Depth=1
	ds_load_u8 v58, v54 offset:1
	s_wait_dscnt 0x1
	v_mov_b32_e32 v57, v55
.LBB72_26:                              ;   in Loop: Header=BB72_2 Depth=1
	s_or_b32 exec_lo, exec_lo, s9
	v_add_nc_u32_e32 v60, 1, v54
	v_add_nc_u32_e32 v59, 1, v53
	s_wait_dscnt 0x0
	v_bfe_i32 v61, v57, 0, 8
	v_bfe_i32 v62, v58, 0, 8
	s_wait_loadcnt 0x0
	v_cndmask_b32_e64 v54, v54, v60, s8
	s_barrier_signal -1
	s_barrier_wait -1
	v_cmp_lt_i16_e64 s9, v62, v61
	global_inv scope:SCOPE_SE
	v_cmp_lt_i32_e64 s11, v54, v12
	v_mov_b32_e32 v54, v27
	v_cndmask_b32_e64 v53, v59, v53, s8
	s_delay_alu instid0(VALU_DEP_1)
	v_cmp_ge_i32_e64 s10, v53, v11
	v_cndmask_b32_e64 v53, v55, v56, s8
	s_or_b32 s8, s10, s9
	s_wait_alu 0xfffe
	s_and_b32 s8, s11, s8
	s_wait_alu 0xfffe
	v_cndmask_b32_e64 v55, v57, v58, s8
	ds_store_b8 v1, v53
	ds_store_b8 v1, v55 offset:1
	s_wait_loadcnt_dscnt 0x0
	s_barrier_signal -1
	s_barrier_wait -1
	global_inv scope:SCOPE_SE
	s_and_saveexec_b32 s9, s2
	s_cbranch_execz .LBB72_30
; %bb.27:                               ;   in Loop: Header=BB72_2 Depth=1
	v_dual_mov_b32 v54, v27 :: v_dual_mov_b32 v53, v28
	s_mov_b32 s10, 0
.LBB72_28:                              ;   Parent Loop BB72_2 Depth=1
                                        ; =>  This Inner Loop Header: Depth=2
	s_delay_alu instid0(VALU_DEP_1) | instskip(NEXT) | instid1(VALU_DEP_1)
	v_sub_nc_u32_e32 v55, v53, v54
	v_lshrrev_b32_e32 v55, 1, v55
	s_delay_alu instid0(VALU_DEP_1) | instskip(NEXT) | instid1(VALU_DEP_1)
	v_add_nc_u32_e32 v55, v55, v54
	v_add_nc_u32_e32 v56, v16, v55
	v_xad_u32 v57, v55, -1, v33
	v_add_nc_u32_e32 v58, 1, v55
	ds_load_i8 v56, v56
	ds_load_i8 v57, v57
	s_wait_dscnt 0x0
	v_cmp_lt_i16_e64 s8, v57, v56
	s_wait_alu 0xf1ff
	s_delay_alu instid0(VALU_DEP_1) | instskip(SKIP_1) | instid1(VALU_DEP_1)
	v_cndmask_b32_e64 v53, v53, v55, s8
	v_cndmask_b32_e64 v54, v58, v54, s8
	v_cmp_ge_i32_e64 s8, v54, v53
	s_or_b32 s10, s8, s10
	s_delay_alu instid0(SALU_CYCLE_1)
	s_and_not1_b32 exec_lo, exec_lo, s10
	s_cbranch_execnz .LBB72_28
; %bb.29:                               ;   in Loop: Header=BB72_2 Depth=1
	s_or_b32 exec_lo, exec_lo, s10
.LBB72_30:                              ;   in Loop: Header=BB72_2 Depth=1
	s_wait_alu 0xfffe
	s_or_b32 exec_lo, exec_lo, s9
	v_add_nc_u32_e32 v53, v54, v16
	v_sub_nc_u32_e32 v54, v33, v54
                                        ; implicit-def: $vgpr57
	ds_load_u8 v55, v53
	ds_load_u8 v56, v54
	v_cmp_le_i32_e64 s8, v19, v53
	v_cmp_gt_i32_e64 s10, v20, v54
	s_wait_dscnt 0x1
	v_bfe_i32 v55, v55, 0, 8
	s_wait_dscnt 0x0
	v_bfe_i32 v56, v56, 0, 8
	s_delay_alu instid0(VALU_DEP_1)
	v_cmp_lt_i16_e64 s9, v56, v55
	s_or_b32 s8, s8, s9
	s_wait_alu 0xfffe
	s_and_b32 s8, s10, s8
	s_wait_alu 0xfffe
	s_xor_b32 s9, s8, -1
	s_wait_alu 0xfffe
	s_and_saveexec_b32 s10, s9
	s_delay_alu instid0(SALU_CYCLE_1)
	s_xor_b32 s9, exec_lo, s10
; %bb.31:                               ;   in Loop: Header=BB72_2 Depth=1
	ds_load_u8 v57, v53 offset:1
; %bb.32:                               ;   in Loop: Header=BB72_2 Depth=1
	s_wait_alu 0xfffe
	s_or_saveexec_b32 s9, s9
	v_mov_b32_e32 v58, v56
	s_wait_alu 0xfffe
	s_xor_b32 exec_lo, exec_lo, s9
	s_cbranch_execz .LBB72_34
; %bb.33:                               ;   in Loop: Header=BB72_2 Depth=1
	ds_load_u8 v58, v54 offset:1
	s_wait_dscnt 0x1
	v_mov_b32_e32 v57, v55
.LBB72_34:                              ;   in Loop: Header=BB72_2 Depth=1
	s_or_b32 exec_lo, exec_lo, s9
	v_add_nc_u32_e32 v60, 1, v54
	v_add_nc_u32_e32 v59, 1, v53
	s_wait_dscnt 0x0
	v_bfe_i32 v61, v57, 0, 8
	v_bfe_i32 v62, v58, 0, 8
	s_wait_loadcnt 0x0
	v_cndmask_b32_e64 v54, v54, v60, s8
	s_barrier_signal -1
	s_barrier_wait -1
	v_cmp_lt_i16_e64 s9, v62, v61
	global_inv scope:SCOPE_SE
	v_cmp_lt_i32_e64 s11, v54, v20
	v_mov_b32_e32 v54, v31
	v_cndmask_b32_e64 v53, v59, v53, s8
	s_delay_alu instid0(VALU_DEP_1)
	v_cmp_ge_i32_e64 s10, v53, v19
	v_cndmask_b32_e64 v53, v55, v56, s8
	s_or_b32 s8, s10, s9
	s_wait_alu 0xfffe
	s_and_b32 s8, s11, s8
	s_wait_alu 0xfffe
	v_cndmask_b32_e64 v55, v57, v58, s8
	ds_store_b8 v1, v53
	ds_store_b8 v1, v55 offset:1
	s_wait_loadcnt_dscnt 0x0
	s_barrier_signal -1
	s_barrier_wait -1
	global_inv scope:SCOPE_SE
	s_and_saveexec_b32 s9, s3
	s_cbranch_execz .LBB72_38
; %bb.35:                               ;   in Loop: Header=BB72_2 Depth=1
	v_dual_mov_b32 v54, v31 :: v_dual_mov_b32 v53, v32
	s_mov_b32 s10, 0
.LBB72_36:                              ;   Parent Loop BB72_2 Depth=1
                                        ; =>  This Inner Loop Header: Depth=2
	s_delay_alu instid0(VALU_DEP_1) | instskip(NEXT) | instid1(VALU_DEP_1)
	v_sub_nc_u32_e32 v55, v53, v54
	v_lshrrev_b32_e32 v55, 1, v55
	s_delay_alu instid0(VALU_DEP_1) | instskip(NEXT) | instid1(VALU_DEP_1)
	v_add_nc_u32_e32 v55, v55, v54
	v_add_nc_u32_e32 v56, v21, v55
	v_xad_u32 v57, v55, -1, v34
	v_add_nc_u32_e32 v58, 1, v55
	ds_load_i8 v56, v56
	ds_load_i8 v57, v57
	s_wait_dscnt 0x0
	v_cmp_lt_i16_e64 s8, v57, v56
	s_wait_alu 0xf1ff
	s_delay_alu instid0(VALU_DEP_1) | instskip(SKIP_1) | instid1(VALU_DEP_1)
	v_cndmask_b32_e64 v53, v53, v55, s8
	v_cndmask_b32_e64 v54, v58, v54, s8
	v_cmp_ge_i32_e64 s8, v54, v53
	s_or_b32 s10, s8, s10
	s_delay_alu instid0(SALU_CYCLE_1)
	s_and_not1_b32 exec_lo, exec_lo, s10
	s_cbranch_execnz .LBB72_36
; %bb.37:                               ;   in Loop: Header=BB72_2 Depth=1
	s_or_b32 exec_lo, exec_lo, s10
.LBB72_38:                              ;   in Loop: Header=BB72_2 Depth=1
	s_wait_alu 0xfffe
	s_or_b32 exec_lo, exec_lo, s9
	v_add_nc_u32_e32 v53, v54, v21
	v_sub_nc_u32_e32 v54, v34, v54
                                        ; implicit-def: $vgpr57
	ds_load_u8 v55, v53
	ds_load_u8 v56, v54
	v_cmp_le_i32_e64 s8, v23, v53
	v_cmp_gt_i32_e64 s10, v24, v54
	s_wait_dscnt 0x1
	v_bfe_i32 v55, v55, 0, 8
	s_wait_dscnt 0x0
	v_bfe_i32 v56, v56, 0, 8
	s_delay_alu instid0(VALU_DEP_1)
	v_cmp_lt_i16_e64 s9, v56, v55
	s_or_b32 s8, s8, s9
	s_wait_alu 0xfffe
	s_and_b32 s8, s10, s8
	s_wait_alu 0xfffe
	s_xor_b32 s9, s8, -1
	s_wait_alu 0xfffe
	s_and_saveexec_b32 s10, s9
	s_delay_alu instid0(SALU_CYCLE_1)
	s_xor_b32 s9, exec_lo, s10
; %bb.39:                               ;   in Loop: Header=BB72_2 Depth=1
	ds_load_u8 v57, v53 offset:1
; %bb.40:                               ;   in Loop: Header=BB72_2 Depth=1
	s_wait_alu 0xfffe
	s_or_saveexec_b32 s9, s9
	v_mov_b32_e32 v58, v56
	s_wait_alu 0xfffe
	s_xor_b32 exec_lo, exec_lo, s9
	s_cbranch_execz .LBB72_42
; %bb.41:                               ;   in Loop: Header=BB72_2 Depth=1
	ds_load_u8 v58, v54 offset:1
	s_wait_dscnt 0x1
	v_mov_b32_e32 v57, v55
.LBB72_42:                              ;   in Loop: Header=BB72_2 Depth=1
	s_or_b32 exec_lo, exec_lo, s9
	v_add_nc_u32_e32 v60, 1, v54
	v_add_nc_u32_e32 v59, 1, v53
	s_wait_dscnt 0x0
	v_bfe_i32 v61, v57, 0, 8
	v_bfe_i32 v62, v58, 0, 8
	s_wait_loadcnt 0x0
	v_cndmask_b32_e64 v54, v54, v60, s8
	s_barrier_signal -1
	s_barrier_wait -1
	v_cmp_lt_i16_e64 s9, v62, v61
	global_inv scope:SCOPE_SE
	v_cmp_lt_i32_e64 s11, v54, v24
	v_mov_b32_e32 v54, v37
	v_cndmask_b32_e64 v53, v59, v53, s8
	s_delay_alu instid0(VALU_DEP_1)
	v_cmp_ge_i32_e64 s10, v53, v23
	v_cndmask_b32_e64 v53, v55, v56, s8
	s_or_b32 s8, s10, s9
	s_wait_alu 0xfffe
	s_and_b32 s8, s11, s8
	s_wait_alu 0xfffe
	v_cndmask_b32_e64 v55, v57, v58, s8
	ds_store_b8 v1, v53
	ds_store_b8 v1, v55 offset:1
	s_wait_loadcnt_dscnt 0x0
	s_barrier_signal -1
	s_barrier_wait -1
	global_inv scope:SCOPE_SE
	s_and_saveexec_b32 s9, s4
	s_cbranch_execz .LBB72_46
; %bb.43:                               ;   in Loop: Header=BB72_2 Depth=1
	v_dual_mov_b32 v54, v37 :: v_dual_mov_b32 v53, v40
	s_mov_b32 s10, 0
.LBB72_44:                              ;   Parent Loop BB72_2 Depth=1
                                        ; =>  This Inner Loop Header: Depth=2
	s_delay_alu instid0(VALU_DEP_1) | instskip(NEXT) | instid1(VALU_DEP_1)
	v_sub_nc_u32_e32 v55, v53, v54
	v_lshrrev_b32_e32 v55, 1, v55
	s_delay_alu instid0(VALU_DEP_1) | instskip(NEXT) | instid1(VALU_DEP_1)
	v_add_nc_u32_e32 v55, v55, v54
	v_add_nc_u32_e32 v56, v26, v55
	v_xad_u32 v57, v55, -1, v43
	v_add_nc_u32_e32 v58, 1, v55
	ds_load_i8 v56, v56
	ds_load_i8 v57, v57
	s_wait_dscnt 0x0
	v_cmp_lt_i16_e64 s8, v57, v56
	s_wait_alu 0xf1ff
	s_delay_alu instid0(VALU_DEP_1) | instskip(SKIP_1) | instid1(VALU_DEP_1)
	v_cndmask_b32_e64 v53, v53, v55, s8
	v_cndmask_b32_e64 v54, v58, v54, s8
	v_cmp_ge_i32_e64 s8, v54, v53
	s_or_b32 s10, s8, s10
	s_delay_alu instid0(SALU_CYCLE_1)
	s_and_not1_b32 exec_lo, exec_lo, s10
	s_cbranch_execnz .LBB72_44
; %bb.45:                               ;   in Loop: Header=BB72_2 Depth=1
	s_or_b32 exec_lo, exec_lo, s10
.LBB72_46:                              ;   in Loop: Header=BB72_2 Depth=1
	s_wait_alu 0xfffe
	s_or_b32 exec_lo, exec_lo, s9
	v_add_nc_u32_e32 v53, v54, v26
	v_sub_nc_u32_e32 v54, v43, v54
                                        ; implicit-def: $vgpr57
	ds_load_u8 v55, v53
	ds_load_u8 v56, v54
	v_cmp_le_i32_e64 s8, v29, v53
	v_cmp_gt_i32_e64 s10, v30, v54
	s_wait_dscnt 0x1
	v_bfe_i32 v55, v55, 0, 8
	s_wait_dscnt 0x0
	v_bfe_i32 v56, v56, 0, 8
	s_delay_alu instid0(VALU_DEP_1)
	v_cmp_lt_i16_e64 s9, v56, v55
	s_or_b32 s8, s8, s9
	s_wait_alu 0xfffe
	s_and_b32 s8, s10, s8
	s_wait_alu 0xfffe
	s_xor_b32 s9, s8, -1
	s_wait_alu 0xfffe
	s_and_saveexec_b32 s10, s9
	s_delay_alu instid0(SALU_CYCLE_1)
	s_xor_b32 s9, exec_lo, s10
; %bb.47:                               ;   in Loop: Header=BB72_2 Depth=1
	ds_load_u8 v57, v53 offset:1
; %bb.48:                               ;   in Loop: Header=BB72_2 Depth=1
	s_wait_alu 0xfffe
	s_or_saveexec_b32 s9, s9
	v_mov_b32_e32 v58, v56
	s_wait_alu 0xfffe
	s_xor_b32 exec_lo, exec_lo, s9
	s_cbranch_execz .LBB72_50
; %bb.49:                               ;   in Loop: Header=BB72_2 Depth=1
	ds_load_u8 v58, v54 offset:1
	s_wait_dscnt 0x1
	v_mov_b32_e32 v57, v55
.LBB72_50:                              ;   in Loop: Header=BB72_2 Depth=1
	s_or_b32 exec_lo, exec_lo, s9
	v_add_nc_u32_e32 v60, 1, v54
	v_add_nc_u32_e32 v59, 1, v53
	s_wait_dscnt 0x0
	v_bfe_i32 v61, v57, 0, 8
	v_bfe_i32 v62, v58, 0, 8
	s_wait_loadcnt 0x0
	v_cndmask_b32_e64 v54, v54, v60, s8
	s_barrier_signal -1
	s_barrier_wait -1
	v_cmp_lt_i16_e64 s9, v62, v61
	global_inv scope:SCOPE_SE
	v_cmp_lt_i32_e64 s11, v54, v30
	v_mov_b32_e32 v54, v44
	v_cndmask_b32_e64 v53, v59, v53, s8
	s_delay_alu instid0(VALU_DEP_1)
	v_cmp_ge_i32_e64 s10, v53, v29
	v_cndmask_b32_e64 v53, v55, v56, s8
	s_or_b32 s8, s10, s9
	s_wait_alu 0xfffe
	s_and_b32 s8, s11, s8
	s_wait_alu 0xfffe
	v_cndmask_b32_e64 v55, v57, v58, s8
	ds_store_b8 v1, v53
	ds_store_b8 v1, v55 offset:1
	s_wait_loadcnt_dscnt 0x0
	s_barrier_signal -1
	s_barrier_wait -1
	global_inv scope:SCOPE_SE
	s_and_saveexec_b32 s9, s5
	s_cbranch_execz .LBB72_54
; %bb.51:                               ;   in Loop: Header=BB72_2 Depth=1
	v_dual_mov_b32 v54, v44 :: v_dual_mov_b32 v53, v45
	s_mov_b32 s10, 0
.LBB72_52:                              ;   Parent Loop BB72_2 Depth=1
                                        ; =>  This Inner Loop Header: Depth=2
	s_delay_alu instid0(VALU_DEP_1) | instskip(NEXT) | instid1(VALU_DEP_1)
	v_sub_nc_u32_e32 v55, v53, v54
	v_lshrrev_b32_e32 v55, 1, v55
	s_delay_alu instid0(VALU_DEP_1) | instskip(NEXT) | instid1(VALU_DEP_1)
	v_add_nc_u32_e32 v55, v55, v54
	v_add_nc_u32_e32 v56, v35, v55
	v_xad_u32 v57, v55, -1, v50
	v_add_nc_u32_e32 v58, 1, v55
	ds_load_i8 v56, v56
	ds_load_i8 v57, v57
	s_wait_dscnt 0x0
	v_cmp_lt_i16_e64 s8, v57, v56
	s_wait_alu 0xf1ff
	s_delay_alu instid0(VALU_DEP_1) | instskip(SKIP_1) | instid1(VALU_DEP_1)
	v_cndmask_b32_e64 v53, v53, v55, s8
	v_cndmask_b32_e64 v54, v58, v54, s8
	v_cmp_ge_i32_e64 s8, v54, v53
	s_or_b32 s10, s8, s10
	s_delay_alu instid0(SALU_CYCLE_1)
	s_and_not1_b32 exec_lo, exec_lo, s10
	s_cbranch_execnz .LBB72_52
; %bb.53:                               ;   in Loop: Header=BB72_2 Depth=1
	s_or_b32 exec_lo, exec_lo, s10
.LBB72_54:                              ;   in Loop: Header=BB72_2 Depth=1
	s_wait_alu 0xfffe
	s_or_b32 exec_lo, exec_lo, s9
	v_add_nc_u32_e32 v53, v54, v35
	v_sub_nc_u32_e32 v54, v50, v54
                                        ; implicit-def: $vgpr57
	ds_load_u8 v55, v53
	ds_load_u8 v56, v54
	v_cmp_le_i32_e64 s8, v38, v53
	v_cmp_gt_i32_e64 s10, v39, v54
	s_wait_dscnt 0x1
	v_bfe_i32 v55, v55, 0, 8
	s_wait_dscnt 0x0
	v_bfe_i32 v56, v56, 0, 8
	s_delay_alu instid0(VALU_DEP_1)
	v_cmp_lt_i16_e64 s9, v56, v55
	s_or_b32 s8, s8, s9
	s_wait_alu 0xfffe
	s_and_b32 s8, s10, s8
	s_wait_alu 0xfffe
	s_xor_b32 s9, s8, -1
	s_wait_alu 0xfffe
	s_and_saveexec_b32 s10, s9
	s_delay_alu instid0(SALU_CYCLE_1)
	s_xor_b32 s9, exec_lo, s10
; %bb.55:                               ;   in Loop: Header=BB72_2 Depth=1
	ds_load_u8 v57, v53 offset:1
; %bb.56:                               ;   in Loop: Header=BB72_2 Depth=1
	s_wait_alu 0xfffe
	s_or_saveexec_b32 s9, s9
	v_mov_b32_e32 v58, v56
	s_wait_alu 0xfffe
	s_xor_b32 exec_lo, exec_lo, s9
	s_cbranch_execz .LBB72_58
; %bb.57:                               ;   in Loop: Header=BB72_2 Depth=1
	ds_load_u8 v58, v54 offset:1
	s_wait_dscnt 0x1
	v_mov_b32_e32 v57, v55
.LBB72_58:                              ;   in Loop: Header=BB72_2 Depth=1
	s_or_b32 exec_lo, exec_lo, s9
	v_add_nc_u32_e32 v60, 1, v54
	v_add_nc_u32_e32 v59, 1, v53
	s_wait_dscnt 0x0
	v_bfe_i32 v61, v57, 0, 8
	v_bfe_i32 v62, v58, 0, 8
	s_wait_loadcnt 0x0
	v_cndmask_b32_e64 v54, v54, v60, s8
	s_barrier_signal -1
	s_barrier_wait -1
	v_cmp_lt_i16_e64 s9, v62, v61
	global_inv scope:SCOPE_SE
	v_cmp_lt_i32_e64 s11, v54, v39
	v_mov_b32_e32 v54, v46
	v_cndmask_b32_e64 v53, v59, v53, s8
	s_delay_alu instid0(VALU_DEP_1)
	v_cmp_ge_i32_e64 s10, v53, v38
	v_cndmask_b32_e64 v53, v55, v56, s8
	s_or_b32 s8, s10, s9
	s_wait_alu 0xfffe
	s_and_b32 s8, s11, s8
	s_wait_alu 0xfffe
	v_cndmask_b32_e64 v55, v57, v58, s8
	ds_store_b8 v1, v53
	ds_store_b8 v1, v55 offset:1
	s_wait_loadcnt_dscnt 0x0
	s_barrier_signal -1
	s_barrier_wait -1
	global_inv scope:SCOPE_SE
	s_and_saveexec_b32 s9, s6
	s_cbranch_execz .LBB72_62
; %bb.59:                               ;   in Loop: Header=BB72_2 Depth=1
	v_dual_mov_b32 v54, v46 :: v_dual_mov_b32 v53, v47
	s_mov_b32 s10, 0
.LBB72_60:                              ;   Parent Loop BB72_2 Depth=1
                                        ; =>  This Inner Loop Header: Depth=2
	s_delay_alu instid0(VALU_DEP_1) | instskip(NEXT) | instid1(VALU_DEP_1)
	v_sub_nc_u32_e32 v55, v53, v54
	v_lshrrev_b32_e32 v55, 1, v55
	s_delay_alu instid0(VALU_DEP_1) | instskip(NEXT) | instid1(VALU_DEP_1)
	v_add_nc_u32_e32 v55, v55, v54
	v_add_nc_u32_e32 v56, v36, v55
	v_xad_u32 v57, v55, -1, v51
	v_add_nc_u32_e32 v58, 1, v55
	ds_load_i8 v56, v56
	ds_load_i8 v57, v57
	s_wait_dscnt 0x0
	v_cmp_lt_i16_e64 s8, v57, v56
	s_wait_alu 0xf1ff
	s_delay_alu instid0(VALU_DEP_1) | instskip(SKIP_1) | instid1(VALU_DEP_1)
	v_cndmask_b32_e64 v53, v53, v55, s8
	v_cndmask_b32_e64 v54, v58, v54, s8
	v_cmp_ge_i32_e64 s8, v54, v53
	s_or_b32 s10, s8, s10
	s_delay_alu instid0(SALU_CYCLE_1)
	s_and_not1_b32 exec_lo, exec_lo, s10
	s_cbranch_execnz .LBB72_60
; %bb.61:                               ;   in Loop: Header=BB72_2 Depth=1
	s_or_b32 exec_lo, exec_lo, s10
.LBB72_62:                              ;   in Loop: Header=BB72_2 Depth=1
	s_wait_alu 0xfffe
	s_or_b32 exec_lo, exec_lo, s9
	v_add_nc_u32_e32 v53, v54, v36
	v_sub_nc_u32_e32 v54, v51, v54
                                        ; implicit-def: $vgpr57
	ds_load_u8 v55, v53
	ds_load_u8 v56, v54
	v_cmp_le_i32_e64 s8, v41, v53
	v_cmp_gt_i32_e64 s10, v42, v54
	s_wait_dscnt 0x1
	v_bfe_i32 v55, v55, 0, 8
	s_wait_dscnt 0x0
	v_bfe_i32 v56, v56, 0, 8
	s_delay_alu instid0(VALU_DEP_1)
	v_cmp_lt_i16_e64 s9, v56, v55
	s_or_b32 s8, s8, s9
	s_wait_alu 0xfffe
	s_and_b32 s8, s10, s8
	s_wait_alu 0xfffe
	s_xor_b32 s9, s8, -1
	s_wait_alu 0xfffe
	s_and_saveexec_b32 s10, s9
	s_delay_alu instid0(SALU_CYCLE_1)
	s_xor_b32 s9, exec_lo, s10
; %bb.63:                               ;   in Loop: Header=BB72_2 Depth=1
	ds_load_u8 v57, v53 offset:1
; %bb.64:                               ;   in Loop: Header=BB72_2 Depth=1
	s_wait_alu 0xfffe
	s_or_saveexec_b32 s9, s9
	v_mov_b32_e32 v58, v56
	s_wait_alu 0xfffe
	s_xor_b32 exec_lo, exec_lo, s9
	s_cbranch_execz .LBB72_66
; %bb.65:                               ;   in Loop: Header=BB72_2 Depth=1
	ds_load_u8 v58, v54 offset:1
	s_wait_dscnt 0x1
	v_mov_b32_e32 v57, v55
.LBB72_66:                              ;   in Loop: Header=BB72_2 Depth=1
	s_or_b32 exec_lo, exec_lo, s9
	v_add_nc_u32_e32 v59, 1, v53
	v_add_nc_u32_e32 v60, 1, v54
	s_wait_dscnt 0x0
	v_bfe_i32 v61, v57, 0, 8
	v_bfe_i32 v62, v58, 0, 8
	s_wait_loadcnt 0x0
	v_cndmask_b32_e64 v53, v59, v53, s8
	s_barrier_signal -1
	s_barrier_wait -1
	v_cmp_lt_i16_e64 s9, v62, v61
	global_inv scope:SCOPE_SE
	v_cmp_ge_i32_e64 s10, v53, v41
	v_mov_b32_e32 v53, v48
	v_cndmask_b32_e64 v54, v54, v60, s8
	s_delay_alu instid0(VALU_DEP_1)
	v_cmp_lt_i32_e64 s11, v54, v42
	v_cndmask_b32_e64 v54, v55, v56, s8
	s_or_b32 s8, s10, s9
	s_wait_alu 0xfffe
	s_and_b32 s8, s11, s8
	s_wait_alu 0xfffe
	v_cndmask_b32_e64 v55, v57, v58, s8
	ds_store_b8 v1, v54
	ds_store_b8 v1, v55 offset:1
	s_wait_loadcnt_dscnt 0x0
	s_barrier_signal -1
	s_barrier_wait -1
	global_inv scope:SCOPE_SE
	s_and_saveexec_b32 s9, s7
	s_cbranch_execz .LBB72_70
; %bb.67:                               ;   in Loop: Header=BB72_2 Depth=1
	v_dual_mov_b32 v53, v48 :: v_dual_mov_b32 v54, v49
	s_mov_b32 s10, 0
.LBB72_68:                              ;   Parent Loop BB72_2 Depth=1
                                        ; =>  This Inner Loop Header: Depth=2
	s_delay_alu instid0(VALU_DEP_1) | instskip(NEXT) | instid1(VALU_DEP_1)
	v_sub_nc_u32_e32 v55, v54, v53
	v_lshrrev_b32_e32 v55, 1, v55
	s_delay_alu instid0(VALU_DEP_1) | instskip(NEXT) | instid1(VALU_DEP_1)
	v_add_nc_u32_e32 v55, v55, v53
	v_xad_u32 v56, v55, -1, v52
	v_add_nc_u32_e32 v58, 1, v55
	ds_load_i8 v57, v55
	ds_load_i8 v56, v56
	s_wait_dscnt 0x0
	v_cmp_lt_i16_e64 s8, v56, v57
	s_wait_alu 0xf1ff
	s_delay_alu instid0(VALU_DEP_1) | instskip(SKIP_1) | instid1(VALU_DEP_1)
	v_cndmask_b32_e64 v54, v54, v55, s8
	v_cndmask_b32_e64 v53, v58, v53, s8
	v_cmp_ge_i32_e64 s8, v53, v54
	s_or_b32 s10, s8, s10
	s_delay_alu instid0(SALU_CYCLE_1)
	s_and_not1_b32 exec_lo, exec_lo, s10
	s_cbranch_execnz .LBB72_68
; %bb.69:                               ;   in Loop: Header=BB72_2 Depth=1
	s_or_b32 exec_lo, exec_lo, s10
.LBB72_70:                              ;   in Loop: Header=BB72_2 Depth=1
	s_wait_alu 0xfffe
	s_or_b32 exec_lo, exec_lo, s9
	v_sub_nc_u32_e32 v55, v52, v53
	v_cmp_le_i32_e64 s8, 0x200, v53
                                        ; implicit-def: $vgpr57
                                        ; implicit-def: $vgpr58
	ds_load_u8 v54, v53
	ds_load_u8 v56, v55
	v_cmp_gt_i32_e64 s10, 0x400, v55
	s_wait_dscnt 0x1
	v_bfe_i32 v54, v54, 0, 8
	s_wait_dscnt 0x0
	v_bfe_i32 v56, v56, 0, 8
	s_delay_alu instid0(VALU_DEP_1)
	v_cmp_lt_i16_e64 s9, v56, v54
	s_or_b32 s8, s8, s9
	s_wait_alu 0xfffe
	s_and_b32 s8, s10, s8
	s_wait_alu 0xfffe
	s_xor_b32 s9, s8, -1
	s_wait_alu 0xfffe
	s_and_saveexec_b32 s10, s9
	s_delay_alu instid0(SALU_CYCLE_1)
	s_xor_b32 s9, exec_lo, s10
; %bb.71:                               ;   in Loop: Header=BB72_2 Depth=1
	ds_load_u8 v57, v53 offset:1
	v_add_nc_u32_e32 v58, 1, v53
                                        ; implicit-def: $vgpr53
; %bb.72:                               ;   in Loop: Header=BB72_2 Depth=1
	s_wait_alu 0xfffe
	s_or_saveexec_b32 s9, s9
	v_mov_b32_e32 v59, v56
	s_wait_alu 0xfffe
	s_xor_b32 exec_lo, exec_lo, s9
	s_cbranch_execz .LBB72_1
; %bb.73:                               ;   in Loop: Header=BB72_2 Depth=1
	ds_load_u8 v59, v55 offset:1
	v_dual_mov_b32 v58, v53 :: v_dual_add_nc_u32 v55, 1, v55
	s_wait_dscnt 0x1
	v_mov_b32_e32 v57, v54
	s_branch .LBB72_1
.LBB72_74:
	s_add_nc_u64 s[0:1], s[14:15], s[16:17]
	s_wait_alu 0xfffe
	v_add_co_u32 v0, s0, s0, v0
	s_wait_alu 0xf1ff
	v_add_co_ci_u32_e64 v1, null, s1, 0, s0
	s_clause 0x1
	global_store_b8 v[0:1], v53, off
	global_store_b8 v[0:1], v54, off offset:512
	s_endpgm
	.section	.rodata,"a",@progbits
	.p2align	6, 0x0
	.amdhsa_kernel _Z16sort_keys_kernelIaLj512ELj2EN10test_utils4lessELj10EEvPKT_PS2_T2_
		.amdhsa_group_segment_fixed_size 1025
		.amdhsa_private_segment_fixed_size 0
		.amdhsa_kernarg_size 20
		.amdhsa_user_sgpr_count 2
		.amdhsa_user_sgpr_dispatch_ptr 0
		.amdhsa_user_sgpr_queue_ptr 0
		.amdhsa_user_sgpr_kernarg_segment_ptr 1
		.amdhsa_user_sgpr_dispatch_id 0
		.amdhsa_user_sgpr_private_segment_size 0
		.amdhsa_wavefront_size32 1
		.amdhsa_uses_dynamic_stack 0
		.amdhsa_enable_private_segment 0
		.amdhsa_system_sgpr_workgroup_id_x 1
		.amdhsa_system_sgpr_workgroup_id_y 0
		.amdhsa_system_sgpr_workgroup_id_z 0
		.amdhsa_system_sgpr_workgroup_info 0
		.amdhsa_system_vgpr_workitem_id 0
		.amdhsa_next_free_vgpr 63
		.amdhsa_next_free_sgpr 18
		.amdhsa_reserve_vcc 1
		.amdhsa_float_round_mode_32 0
		.amdhsa_float_round_mode_16_64 0
		.amdhsa_float_denorm_mode_32 3
		.amdhsa_float_denorm_mode_16_64 3
		.amdhsa_fp16_overflow 0
		.amdhsa_workgroup_processor_mode 1
		.amdhsa_memory_ordered 1
		.amdhsa_forward_progress 1
		.amdhsa_inst_pref_size 41
		.amdhsa_round_robin_scheduling 0
		.amdhsa_exception_fp_ieee_invalid_op 0
		.amdhsa_exception_fp_denorm_src 0
		.amdhsa_exception_fp_ieee_div_zero 0
		.amdhsa_exception_fp_ieee_overflow 0
		.amdhsa_exception_fp_ieee_underflow 0
		.amdhsa_exception_fp_ieee_inexact 0
		.amdhsa_exception_int_div_zero 0
	.end_amdhsa_kernel
	.section	.text._Z16sort_keys_kernelIaLj512ELj2EN10test_utils4lessELj10EEvPKT_PS2_T2_,"axG",@progbits,_Z16sort_keys_kernelIaLj512ELj2EN10test_utils4lessELj10EEvPKT_PS2_T2_,comdat
.Lfunc_end72:
	.size	_Z16sort_keys_kernelIaLj512ELj2EN10test_utils4lessELj10EEvPKT_PS2_T2_, .Lfunc_end72-_Z16sort_keys_kernelIaLj512ELj2EN10test_utils4lessELj10EEvPKT_PS2_T2_
                                        ; -- End function
	.set _Z16sort_keys_kernelIaLj512ELj2EN10test_utils4lessELj10EEvPKT_PS2_T2_.num_vgpr, 63
	.set _Z16sort_keys_kernelIaLj512ELj2EN10test_utils4lessELj10EEvPKT_PS2_T2_.num_agpr, 0
	.set _Z16sort_keys_kernelIaLj512ELj2EN10test_utils4lessELj10EEvPKT_PS2_T2_.numbered_sgpr, 18
	.set _Z16sort_keys_kernelIaLj512ELj2EN10test_utils4lessELj10EEvPKT_PS2_T2_.num_named_barrier, 0
	.set _Z16sort_keys_kernelIaLj512ELj2EN10test_utils4lessELj10EEvPKT_PS2_T2_.private_seg_size, 0
	.set _Z16sort_keys_kernelIaLj512ELj2EN10test_utils4lessELj10EEvPKT_PS2_T2_.uses_vcc, 1
	.set _Z16sort_keys_kernelIaLj512ELj2EN10test_utils4lessELj10EEvPKT_PS2_T2_.uses_flat_scratch, 0
	.set _Z16sort_keys_kernelIaLj512ELj2EN10test_utils4lessELj10EEvPKT_PS2_T2_.has_dyn_sized_stack, 0
	.set _Z16sort_keys_kernelIaLj512ELj2EN10test_utils4lessELj10EEvPKT_PS2_T2_.has_recursion, 0
	.set _Z16sort_keys_kernelIaLj512ELj2EN10test_utils4lessELj10EEvPKT_PS2_T2_.has_indirect_call, 0
	.section	.AMDGPU.csdata,"",@progbits
; Kernel info:
; codeLenInByte = 5132
; TotalNumSgprs: 20
; NumVgprs: 63
; ScratchSize: 0
; MemoryBound: 0
; FloatMode: 240
; IeeeMode: 1
; LDSByteSize: 1025 bytes/workgroup (compile time only)
; SGPRBlocks: 0
; VGPRBlocks: 7
; NumSGPRsForWavesPerEU: 20
; NumVGPRsForWavesPerEU: 63
; Occupancy: 16
; WaveLimiterHint : 1
; COMPUTE_PGM_RSRC2:SCRATCH_EN: 0
; COMPUTE_PGM_RSRC2:USER_SGPR: 2
; COMPUTE_PGM_RSRC2:TRAP_HANDLER: 0
; COMPUTE_PGM_RSRC2:TGID_X_EN: 1
; COMPUTE_PGM_RSRC2:TGID_Y_EN: 0
; COMPUTE_PGM_RSRC2:TGID_Z_EN: 0
; COMPUTE_PGM_RSRC2:TIDIG_COMP_CNT: 0
	.section	.text._Z17sort_pairs_kernelIaLj512ELj2EN10test_utils4lessELj10EEvPKT_PS2_T2_,"axG",@progbits,_Z17sort_pairs_kernelIaLj512ELj2EN10test_utils4lessELj10EEvPKT_PS2_T2_,comdat
	.protected	_Z17sort_pairs_kernelIaLj512ELj2EN10test_utils4lessELj10EEvPKT_PS2_T2_ ; -- Begin function _Z17sort_pairs_kernelIaLj512ELj2EN10test_utils4lessELj10EEvPKT_PS2_T2_
	.globl	_Z17sort_pairs_kernelIaLj512ELj2EN10test_utils4lessELj10EEvPKT_PS2_T2_
	.p2align	8
	.type	_Z17sort_pairs_kernelIaLj512ELj2EN10test_utils4lessELj10EEvPKT_PS2_T2_,@function
_Z17sort_pairs_kernelIaLj512ELj2EN10test_utils4lessELj10EEvPKT_PS2_T2_: ; @_Z17sort_pairs_kernelIaLj512ELj2EN10test_utils4lessELj10EEvPKT_PS2_T2_
; %bb.0:
	s_load_b128 s[12:15], s[0:1], 0x0
	s_lshl_b32 s16, ttmp9, 10
	s_mov_b32 s17, 0
	v_lshlrev_b32_e32 v1, 1, v0
	s_delay_alu instid0(VALU_DEP_1)
	v_and_b32_e32 v2, 0x3fc, v1
	v_and_b32_e32 v3, 0x3f8, v1
	;; [unrolled: 1-line block ×5, first 2 shown]
	v_or_b32_e32 v12, 2, v2
	v_add_nc_u32_e32 v13, 4, v2
	v_or_b32_e32 v14, 4, v3
	v_add_nc_u32_e32 v15, 8, v3
	v_and_b32_e32 v5, 0x3e0, v1
	v_or_b32_e32 v16, 8, v4
	v_sub_nc_u32_e32 v52, v13, v12
	s_wait_kmcnt 0x0
	s_add_nc_u64 s[0:1], s[12:13], s[16:17]
	v_add_nc_u32_e32 v17, 16, v4
	s_clause 0x1
	global_load_u8 v54, v0, s[0:1]
	global_load_u8 v53, v0, s[0:1] offset:512
	v_sub_nc_u32_e32 v36, v12, v2
	v_sub_nc_u32_e32 v55, v15, v14
	;; [unrolled: 1-line block ×3, first 2 shown]
	v_cmp_ge_i32_e64 s0, v44, v52
	v_and_b32_e32 v46, 14, v1
	v_and_b32_e32 v6, 0x3c0, v1
	v_or_b32_e32 v18, 16, v5
	v_add_nc_u32_e32 v19, 32, v5
	v_add_nc_u32_e32 v28, v12, v44
	v_sub_nc_u32_e32 v37, v14, v3
	v_sub_nc_u32_e32 v56, v17, v16
	v_min_i32_e32 v36, v44, v36
	v_sub_nc_u32_e32 v63, v45, v55
	v_cndmask_b32_e64 v44, 0, v62, s0
	v_cmp_ge_i32_e64 s0, v45, v55
	v_and_b32_e32 v47, 30, v1
	v_and_b32_e32 v7, 0x380, v1
	v_or_b32_e32 v20, 32, v6
	v_add_nc_u32_e32 v21, 64, v6
	v_add_nc_u32_e32 v29, v14, v45
	v_sub_nc_u32_e32 v38, v16, v4
	v_sub_nc_u32_e32 v57, v19, v18
	v_min_i32_e32 v37, v45, v37
	v_sub_nc_u32_e32 v64, v46, v56
	s_wait_alu 0xf1ff
	v_cndmask_b32_e64 v45, 0, v63, s0
	v_cmp_ge_i32_e64 s0, v46, v56
	v_and_b32_e32 v48, 62, v1
	v_and_b32_e32 v8, 0x300, v1
	v_or_b32_e32 v22, 64, v7
	v_add_nc_u32_e32 v23, 0x80, v7
	v_add_nc_u32_e32 v30, v16, v46
	v_sub_nc_u32_e32 v39, v18, v5
	v_sub_nc_u32_e32 v58, v21, v20
	v_min_i32_e32 v38, v46, v38
	v_sub_nc_u32_e32 v65, v47, v57
	s_wait_alu 0xf1ff
	;; [unrolled: 12-line block ×3, first 2 shown]
	v_cndmask_b32_e64 v47, 0, v65, s0
	v_cmp_ge_i32_e64 s0, v48, v58
	v_and_b32_e32 v50, 0xfe, v1
	v_or_b32_e32 v26, 0x100, v9
	v_add_nc_u32_e32 v27, 0x200, v9
	v_add_nc_u32_e32 v32, v20, v48
	v_sub_nc_u32_e32 v41, v22, v7
	v_sub_nc_u32_e32 v60, v25, v24
	v_min_i32_e32 v40, v48, v40
	v_sub_nc_u32_e32 v67, v49, v59
	s_wait_alu 0xf1ff
	v_cndmask_b32_e64 v48, 0, v66, s0
	v_cmp_ge_i32_e64 s0, v49, v59
	v_and_b32_e32 v51, 0x1fe, v1
	v_add_nc_u32_e32 v33, v22, v49
	v_sub_nc_u32_e32 v42, v24, v8
	v_sub_nc_u32_e32 v61, v27, v26
	v_min_i32_e32 v41, v49, v41
	v_sub_nc_u32_e32 v68, v50, v60
	s_wait_alu 0xf1ff
	v_cndmask_b32_e64 v49, 0, v67, s0
	v_cmp_ge_i32_e64 s0, v50, v60
	v_add_nc_u32_e32 v34, v24, v50
	v_sub_nc_u32_e32 v43, v26, v9
	v_min_i32_e32 v42, v50, v42
	v_sub_nc_u32_e32 v69, v51, v61
	s_wait_alu 0xf1ff
	v_cndmask_b32_e64 v50, 0, v68, s0
	v_cmp_ge_i32_e64 s0, v51, v61
	v_add_nc_u32_e32 v35, v26, v51
	v_min_i32_e32 v43, v51, v43
	v_subrev_nc_u32_e64 v10, 0x200, v1 clamp
	v_min_i32_e32 v11, 0x200, v1
	s_wait_alu 0xf1ff
	v_cndmask_b32_e64 v51, 0, v69, s0
	v_cmp_lt_i32_e64 s0, v44, v36
	v_cmp_lt_i32_e64 s1, v45, v37
	;; [unrolled: 1-line block ×8, first 2 shown]
	v_add_nc_u32_e32 v52, 0x200, v1
	s_mov_b32 s12, s17
	v_cmp_lt_i32_e32 vcc_lo, v10, v11
	s_wait_loadcnt 0x1
	v_add_nc_u16 v56, v54, 1
	s_wait_loadcnt 0x0
	v_add_nc_u16 v55, v53, 1
	s_branch .LBB73_2
.LBB73_1:                               ;   in Loop: Header=BB73_2 Depth=1
	s_or_b32 exec_lo, exec_lo, s9
	s_wait_dscnt 0x0
	s_delay_alu instid0(VALU_DEP_1)
	v_bfe_i32 v55, v60, 0, 8
	v_bfe_i32 v63, v62, 0, 8
	v_cmp_le_i32_e64 s10, 0x200, v59
	v_cmp_gt_i32_e64 s9, 0x400, v56
	s_wait_loadcnt 0x0
	s_barrier_signal -1
	v_cmp_lt_i16_e64 s11, v63, v55
	s_barrier_wait -1
	global_inv scope:SCOPE_SE
	ds_store_b8 v1, v53
	ds_store_b8 v1, v54 offset:1
	s_wait_loadcnt_dscnt 0x0
	s_or_b32 s10, s10, s11
	s_barrier_signal -1
	s_and_b32 s9, s9, s10
	s_barrier_wait -1
	s_wait_alu 0xfffe
	v_cndmask_b32_e64 v54, v59, v56, s9
	global_inv scope:SCOPE_SE
	v_cndmask_b32_e64 v53, v60, v62, s9
	ds_load_u8 v56, v61
	ds_load_u8 v55, v54
	v_cndmask_b32_e64 v54, v57, v58, s8
	s_add_co_i32 s12, s12, 1
	s_delay_alu instid0(SALU_CYCLE_1)
	s_cmp_eq_u32 s12, 10
	s_cbranch_scc1 .LBB73_74
.LBB73_2:                               ; =>This Loop Header: Depth=1
                                        ;     Child Loop BB73_4 Depth 2
                                        ;     Child Loop BB73_12 Depth 2
	;; [unrolled: 1-line block ×9, first 2 shown]
	s_delay_alu instid0(VALU_DEP_1) | instskip(SKIP_4) | instid1(VALU_DEP_4)
	v_bfe_i32 v57, v54, 0, 8
	v_bfe_i32 v58, v53, 0, 8
	v_perm_b32 v59, v53, v54, 0xc0c0004
	v_perm_b32 v53, v54, v53, 0xc0c0004
	v_mov_b32_e32 v54, v44
	v_cmp_lt_i16_e64 s8, v58, v57
	s_barrier_signal -1
	s_barrier_wait -1
	global_inv scope:SCOPE_SE
	s_wait_alu 0xf1ff
	v_cndmask_b32_e64 v53, v53, v59, s8
	s_delay_alu instid0(VALU_DEP_1)
	v_lshrrev_b16 v57, 8, v53
	ds_store_b8 v1, v53
	ds_store_b8 v1, v57 offset:1
	s_wait_loadcnt_dscnt 0x0
	s_barrier_signal -1
	s_barrier_wait -1
	global_inv scope:SCOPE_SE
	s_and_saveexec_b32 s10, s0
	s_cbranch_execz .LBB73_6
; %bb.3:                                ;   in Loop: Header=BB73_2 Depth=1
	v_dual_mov_b32 v54, v44 :: v_dual_mov_b32 v53, v36
	s_mov_b32 s11, 0
.LBB73_4:                               ;   Parent Loop BB73_2 Depth=1
                                        ; =>  This Inner Loop Header: Depth=2
	s_delay_alu instid0(VALU_DEP_1) | instskip(NEXT) | instid1(VALU_DEP_1)
	v_sub_nc_u32_e32 v57, v53, v54
	v_lshrrev_b32_e32 v57, 1, v57
	s_delay_alu instid0(VALU_DEP_1) | instskip(NEXT) | instid1(VALU_DEP_1)
	v_add_nc_u32_e32 v57, v57, v54
	v_add_nc_u32_e32 v58, v2, v57
	v_xad_u32 v59, v57, -1, v28
	v_add_nc_u32_e32 v60, 1, v57
	ds_load_i8 v58, v58
	ds_load_i8 v59, v59
	s_wait_dscnt 0x0
	v_cmp_lt_i16_e64 s9, v59, v58
	s_wait_alu 0xf1ff
	s_delay_alu instid0(VALU_DEP_1) | instskip(SKIP_1) | instid1(VALU_DEP_1)
	v_cndmask_b32_e64 v53, v53, v57, s9
	v_cndmask_b32_e64 v54, v60, v54, s9
	v_cmp_ge_i32_e64 s9, v54, v53
	s_or_b32 s11, s9, s11
	s_delay_alu instid0(SALU_CYCLE_1)
	s_and_not1_b32 exec_lo, exec_lo, s11
	s_cbranch_execnz .LBB73_4
; %bb.5:                                ;   in Loop: Header=BB73_2 Depth=1
	s_or_b32 exec_lo, exec_lo, s11
.LBB73_6:                               ;   in Loop: Header=BB73_2 Depth=1
	s_delay_alu instid0(SALU_CYCLE_1)
	s_or_b32 exec_lo, exec_lo, s10
	v_add_nc_u32_e32 v53, v54, v2
	v_sub_nc_u32_e32 v59, v28, v54
	ds_load_u8 v54, v53
	ds_load_u8 v58, v59
	v_cmp_le_i32_e64 s9, v12, v53
	v_cmp_gt_i32_e64 s11, v13, v59
	s_wait_dscnt 0x1
	v_bfe_i32 v57, v54, 0, 8
	s_wait_dscnt 0x0
	v_bfe_i32 v58, v58, 0, 8
                                        ; implicit-def: $vgpr54
	s_delay_alu instid0(VALU_DEP_1)
	v_cmp_lt_i16_e64 s10, v58, v57
	s_or_b32 s9, s9, s10
	s_wait_alu 0xfffe
	s_and_b32 s9, s11, s9
	s_wait_alu 0xfffe
	s_xor_b32 s10, s9, -1
	s_delay_alu instid0(SALU_CYCLE_1) | instskip(NEXT) | instid1(SALU_CYCLE_1)
	s_and_saveexec_b32 s11, s10
	s_xor_b32 s10, exec_lo, s11
; %bb.7:                                ;   in Loop: Header=BB73_2 Depth=1
	ds_load_u8 v54, v53 offset:1
; %bb.8:                                ;   in Loop: Header=BB73_2 Depth=1
	s_or_saveexec_b32 s10, s10
	v_mov_b32_e32 v60, v58
	s_xor_b32 exec_lo, exec_lo, s10
	s_cbranch_execz .LBB73_10
; %bb.9:                                ;   in Loop: Header=BB73_2 Depth=1
	ds_load_u8 v60, v59 offset:1
	s_wait_dscnt 0x1
	v_mov_b32_e32 v54, v57
.LBB73_10:                              ;   in Loop: Header=BB73_2 Depth=1
	s_or_b32 exec_lo, exec_lo, s10
	v_add_nc_u32_e32 v61, 1, v53
	v_add_nc_u32_e32 v62, 1, v59
	s_wait_dscnt 0x0
	v_bfe_i32 v64, v54, 0, 8
	v_bfe_i32 v65, v60, 0, 8
	v_perm_b32 v63, v55, v56, 0xc0c0004
	v_cndmask_b32_e64 v61, v61, v53, s9
	v_perm_b32 v55, v56, v55, 0xc0c0004
	v_cndmask_b32_e64 v56, v59, v62, s9
	v_cmp_lt_i16_e64 s10, v65, v64
	v_cndmask_b32_e64 v53, v53, v59, s9
	v_cmp_ge_i32_e64 s11, v61, v12
	v_cndmask_b32_e64 v55, v55, v63, s8
	v_cmp_lt_i32_e64 s8, v56, v13
	s_wait_loadcnt 0x0
	s_barrier_signal -1
	s_or_b32 s10, s11, s10
	v_lshrrev_b16 v59, 8, v55
	s_and_b32 s8, s8, s10
	s_barrier_wait -1
	s_wait_alu 0xfffe
	v_cndmask_b32_e64 v60, v54, v60, s8
	v_cndmask_b32_e64 v54, v61, v56, s8
	global_inv scope:SCOPE_SE
	ds_store_b8 v1, v55
	ds_store_b8 v1, v59 offset:1
	s_wait_loadcnt_dscnt 0x0
	s_barrier_signal -1
	s_barrier_wait -1
	global_inv scope:SCOPE_SE
	ds_load_u8 v53, v53
	ds_load_u8 v54, v54
	v_cndmask_b32_e64 v55, v57, v58, s9
	s_wait_loadcnt_dscnt 0x0
	s_barrier_signal -1
	s_barrier_wait -1
	global_inv scope:SCOPE_SE
	ds_store_b8 v1, v55
	ds_store_b8 v1, v60 offset:1
	v_mov_b32_e32 v55, v45
	s_wait_loadcnt_dscnt 0x0
	s_barrier_signal -1
	s_barrier_wait -1
	global_inv scope:SCOPE_SE
	s_and_saveexec_b32 s9, s1
	s_cbranch_execz .LBB73_14
; %bb.11:                               ;   in Loop: Header=BB73_2 Depth=1
	v_dual_mov_b32 v55, v45 :: v_dual_mov_b32 v56, v37
	s_mov_b32 s10, 0
.LBB73_12:                              ;   Parent Loop BB73_2 Depth=1
                                        ; =>  This Inner Loop Header: Depth=2
	s_delay_alu instid0(VALU_DEP_1) | instskip(NEXT) | instid1(VALU_DEP_1)
	v_sub_nc_u32_e32 v57, v56, v55
	v_lshrrev_b32_e32 v57, 1, v57
	s_delay_alu instid0(VALU_DEP_1) | instskip(NEXT) | instid1(VALU_DEP_1)
	v_add_nc_u32_e32 v57, v57, v55
	v_add_nc_u32_e32 v58, v3, v57
	v_xad_u32 v59, v57, -1, v29
	v_add_nc_u32_e32 v60, 1, v57
	ds_load_i8 v58, v58
	ds_load_i8 v59, v59
	s_wait_dscnt 0x0
	v_cmp_lt_i16_e64 s8, v59, v58
	s_wait_alu 0xf1ff
	s_delay_alu instid0(VALU_DEP_1) | instskip(SKIP_1) | instid1(VALU_DEP_1)
	v_cndmask_b32_e64 v56, v56, v57, s8
	v_cndmask_b32_e64 v55, v60, v55, s8
	v_cmp_ge_i32_e64 s8, v55, v56
	s_or_b32 s10, s8, s10
	s_delay_alu instid0(SALU_CYCLE_1)
	s_and_not1_b32 exec_lo, exec_lo, s10
	s_cbranch_execnz .LBB73_12
; %bb.13:                               ;   in Loop: Header=BB73_2 Depth=1
	s_or_b32 exec_lo, exec_lo, s10
.LBB73_14:                              ;   in Loop: Header=BB73_2 Depth=1
	s_wait_alu 0xfffe
	s_or_b32 exec_lo, exec_lo, s9
	v_add_nc_u32_e32 v59, v55, v3
	v_sub_nc_u32_e32 v57, v29, v55
                                        ; implicit-def: $vgpr58
	ds_load_u8 v55, v59
	ds_load_u8 v56, v57
	v_cmp_le_i32_e64 s8, v14, v59
	v_cmp_gt_i32_e64 s10, v15, v57
	s_wait_dscnt 0x1
	v_bfe_i32 v55, v55, 0, 8
	s_wait_dscnt 0x0
	v_bfe_i32 v56, v56, 0, 8
	s_delay_alu instid0(VALU_DEP_1)
	v_cmp_lt_i16_e64 s9, v56, v55
	s_or_b32 s8, s8, s9
	s_wait_alu 0xfffe
	s_and_b32 s8, s10, s8
	s_wait_alu 0xfffe
	s_xor_b32 s9, s8, -1
	s_wait_alu 0xfffe
	s_and_saveexec_b32 s10, s9
	s_delay_alu instid0(SALU_CYCLE_1)
	s_xor_b32 s9, exec_lo, s10
; %bb.15:                               ;   in Loop: Header=BB73_2 Depth=1
	ds_load_u8 v58, v59 offset:1
; %bb.16:                               ;   in Loop: Header=BB73_2 Depth=1
	s_wait_alu 0xfffe
	s_or_saveexec_b32 s9, s9
	v_mov_b32_e32 v60, v56
	s_wait_alu 0xfffe
	s_xor_b32 exec_lo, exec_lo, s9
	s_cbranch_execz .LBB73_18
; %bb.17:                               ;   in Loop: Header=BB73_2 Depth=1
	ds_load_u8 v60, v57 offset:1
	s_wait_dscnt 0x1
	v_mov_b32_e32 v58, v55
.LBB73_18:                              ;   in Loop: Header=BB73_2 Depth=1
	s_or_b32 exec_lo, exec_lo, s9
	v_add_nc_u32_e32 v61, 1, v59
	v_add_nc_u32_e32 v62, 1, v57
	s_wait_dscnt 0x0
	v_bfe_i32 v63, v58, 0, 8
	v_bfe_i32 v64, v60, 0, 8
	s_wait_loadcnt 0x0
	v_cndmask_b32_e64 v61, v61, v59, s8
	v_cndmask_b32_e64 v59, v59, v57, s8
	;; [unrolled: 1-line block ×3, first 2 shown]
	v_cmp_lt_i16_e64 s9, v64, v63
	s_barrier_signal -1
	v_cmp_ge_i32_e64 s10, v61, v14
	s_barrier_wait -1
	v_cmp_lt_i32_e64 s11, v57, v15
	global_inv scope:SCOPE_SE
	ds_store_b8 v1, v53
	ds_store_b8 v1, v54 offset:1
	s_or_b32 s9, s10, s9
	s_wait_loadcnt_dscnt 0x0
	s_wait_alu 0xfffe
	s_and_b32 s9, s11, s9
	s_barrier_signal -1
	s_wait_alu 0xfffe
	v_cndmask_b32_e64 v54, v61, v57, s9
	s_barrier_wait -1
	global_inv scope:SCOPE_SE
	v_cndmask_b32_e64 v55, v55, v56, s8
	ds_load_u8 v53, v59
	ds_load_u8 v54, v54
	v_cndmask_b32_e64 v58, v58, v60, s9
	s_wait_loadcnt_dscnt 0x0
	s_barrier_signal -1
	s_barrier_wait -1
	global_inv scope:SCOPE_SE
	ds_store_b8 v1, v55
	ds_store_b8 v1, v58 offset:1
	v_mov_b32_e32 v55, v46
	s_wait_loadcnt_dscnt 0x0
	s_barrier_signal -1
	s_barrier_wait -1
	global_inv scope:SCOPE_SE
	s_and_saveexec_b32 s9, s2
	s_cbranch_execz .LBB73_22
; %bb.19:                               ;   in Loop: Header=BB73_2 Depth=1
	v_dual_mov_b32 v55, v46 :: v_dual_mov_b32 v56, v38
	s_mov_b32 s10, 0
.LBB73_20:                              ;   Parent Loop BB73_2 Depth=1
                                        ; =>  This Inner Loop Header: Depth=2
	s_delay_alu instid0(VALU_DEP_1) | instskip(NEXT) | instid1(VALU_DEP_1)
	v_sub_nc_u32_e32 v57, v56, v55
	v_lshrrev_b32_e32 v57, 1, v57
	s_delay_alu instid0(VALU_DEP_1) | instskip(NEXT) | instid1(VALU_DEP_1)
	v_add_nc_u32_e32 v57, v57, v55
	v_add_nc_u32_e32 v58, v4, v57
	v_xad_u32 v59, v57, -1, v30
	v_add_nc_u32_e32 v60, 1, v57
	ds_load_i8 v58, v58
	ds_load_i8 v59, v59
	s_wait_dscnt 0x0
	v_cmp_lt_i16_e64 s8, v59, v58
	s_wait_alu 0xf1ff
	s_delay_alu instid0(VALU_DEP_1) | instskip(SKIP_1) | instid1(VALU_DEP_1)
	v_cndmask_b32_e64 v56, v56, v57, s8
	v_cndmask_b32_e64 v55, v60, v55, s8
	v_cmp_ge_i32_e64 s8, v55, v56
	s_or_b32 s10, s8, s10
	s_delay_alu instid0(SALU_CYCLE_1)
	s_and_not1_b32 exec_lo, exec_lo, s10
	s_cbranch_execnz .LBB73_20
; %bb.21:                               ;   in Loop: Header=BB73_2 Depth=1
	s_or_b32 exec_lo, exec_lo, s10
.LBB73_22:                              ;   in Loop: Header=BB73_2 Depth=1
	s_wait_alu 0xfffe
	s_or_b32 exec_lo, exec_lo, s9
	v_add_nc_u32_e32 v59, v55, v4
	v_sub_nc_u32_e32 v57, v30, v55
                                        ; implicit-def: $vgpr58
	ds_load_u8 v55, v59
	ds_load_u8 v56, v57
	v_cmp_le_i32_e64 s8, v16, v59
	v_cmp_gt_i32_e64 s10, v17, v57
	s_wait_dscnt 0x1
	v_bfe_i32 v55, v55, 0, 8
	s_wait_dscnt 0x0
	v_bfe_i32 v56, v56, 0, 8
	s_delay_alu instid0(VALU_DEP_1)
	v_cmp_lt_i16_e64 s9, v56, v55
	s_or_b32 s8, s8, s9
	s_wait_alu 0xfffe
	s_and_b32 s8, s10, s8
	s_wait_alu 0xfffe
	s_xor_b32 s9, s8, -1
	s_wait_alu 0xfffe
	s_and_saveexec_b32 s10, s9
	s_delay_alu instid0(SALU_CYCLE_1)
	s_xor_b32 s9, exec_lo, s10
; %bb.23:                               ;   in Loop: Header=BB73_2 Depth=1
	ds_load_u8 v58, v59 offset:1
; %bb.24:                               ;   in Loop: Header=BB73_2 Depth=1
	s_wait_alu 0xfffe
	s_or_saveexec_b32 s9, s9
	v_mov_b32_e32 v60, v56
	s_wait_alu 0xfffe
	s_xor_b32 exec_lo, exec_lo, s9
	s_cbranch_execz .LBB73_26
; %bb.25:                               ;   in Loop: Header=BB73_2 Depth=1
	ds_load_u8 v60, v57 offset:1
	s_wait_dscnt 0x1
	v_mov_b32_e32 v58, v55
.LBB73_26:                              ;   in Loop: Header=BB73_2 Depth=1
	s_or_b32 exec_lo, exec_lo, s9
	v_add_nc_u32_e32 v61, 1, v59
	v_add_nc_u32_e32 v62, 1, v57
	s_wait_dscnt 0x0
	v_bfe_i32 v63, v58, 0, 8
	v_bfe_i32 v64, v60, 0, 8
	s_wait_loadcnt 0x0
	v_cndmask_b32_e64 v61, v61, v59, s8
	v_cndmask_b32_e64 v59, v59, v57, s8
	;; [unrolled: 1-line block ×3, first 2 shown]
	v_cmp_lt_i16_e64 s9, v64, v63
	s_barrier_signal -1
	v_cmp_ge_i32_e64 s10, v61, v16
	s_barrier_wait -1
	v_cmp_lt_i32_e64 s11, v57, v17
	global_inv scope:SCOPE_SE
	ds_store_b8 v1, v53
	ds_store_b8 v1, v54 offset:1
	s_or_b32 s9, s10, s9
	s_wait_loadcnt_dscnt 0x0
	s_wait_alu 0xfffe
	s_and_b32 s9, s11, s9
	s_barrier_signal -1
	s_wait_alu 0xfffe
	v_cndmask_b32_e64 v54, v61, v57, s9
	s_barrier_wait -1
	global_inv scope:SCOPE_SE
	v_cndmask_b32_e64 v55, v55, v56, s8
	ds_load_u8 v53, v59
	ds_load_u8 v54, v54
	v_cndmask_b32_e64 v58, v58, v60, s9
	s_wait_loadcnt_dscnt 0x0
	s_barrier_signal -1
	s_barrier_wait -1
	global_inv scope:SCOPE_SE
	ds_store_b8 v1, v55
	ds_store_b8 v1, v58 offset:1
	v_mov_b32_e32 v55, v47
	s_wait_loadcnt_dscnt 0x0
	s_barrier_signal -1
	s_barrier_wait -1
	global_inv scope:SCOPE_SE
	s_and_saveexec_b32 s9, s3
	s_cbranch_execz .LBB73_30
; %bb.27:                               ;   in Loop: Header=BB73_2 Depth=1
	v_dual_mov_b32 v55, v47 :: v_dual_mov_b32 v56, v39
	s_mov_b32 s10, 0
.LBB73_28:                              ;   Parent Loop BB73_2 Depth=1
                                        ; =>  This Inner Loop Header: Depth=2
	s_delay_alu instid0(VALU_DEP_1) | instskip(NEXT) | instid1(VALU_DEP_1)
	v_sub_nc_u32_e32 v57, v56, v55
	v_lshrrev_b32_e32 v57, 1, v57
	s_delay_alu instid0(VALU_DEP_1) | instskip(NEXT) | instid1(VALU_DEP_1)
	v_add_nc_u32_e32 v57, v57, v55
	v_add_nc_u32_e32 v58, v5, v57
	v_xad_u32 v59, v57, -1, v31
	v_add_nc_u32_e32 v60, 1, v57
	ds_load_i8 v58, v58
	ds_load_i8 v59, v59
	s_wait_dscnt 0x0
	v_cmp_lt_i16_e64 s8, v59, v58
	s_wait_alu 0xf1ff
	s_delay_alu instid0(VALU_DEP_1) | instskip(SKIP_1) | instid1(VALU_DEP_1)
	v_cndmask_b32_e64 v56, v56, v57, s8
	v_cndmask_b32_e64 v55, v60, v55, s8
	v_cmp_ge_i32_e64 s8, v55, v56
	s_or_b32 s10, s8, s10
	s_delay_alu instid0(SALU_CYCLE_1)
	s_and_not1_b32 exec_lo, exec_lo, s10
	s_cbranch_execnz .LBB73_28
; %bb.29:                               ;   in Loop: Header=BB73_2 Depth=1
	s_or_b32 exec_lo, exec_lo, s10
.LBB73_30:                              ;   in Loop: Header=BB73_2 Depth=1
	s_wait_alu 0xfffe
	s_or_b32 exec_lo, exec_lo, s9
	v_add_nc_u32_e32 v59, v55, v5
	v_sub_nc_u32_e32 v57, v31, v55
                                        ; implicit-def: $vgpr58
	ds_load_u8 v55, v59
	ds_load_u8 v56, v57
	v_cmp_le_i32_e64 s8, v18, v59
	v_cmp_gt_i32_e64 s10, v19, v57
	s_wait_dscnt 0x1
	v_bfe_i32 v55, v55, 0, 8
	s_wait_dscnt 0x0
	v_bfe_i32 v56, v56, 0, 8
	s_delay_alu instid0(VALU_DEP_1)
	v_cmp_lt_i16_e64 s9, v56, v55
	s_or_b32 s8, s8, s9
	s_wait_alu 0xfffe
	s_and_b32 s8, s10, s8
	s_wait_alu 0xfffe
	s_xor_b32 s9, s8, -1
	s_wait_alu 0xfffe
	s_and_saveexec_b32 s10, s9
	s_delay_alu instid0(SALU_CYCLE_1)
	s_xor_b32 s9, exec_lo, s10
; %bb.31:                               ;   in Loop: Header=BB73_2 Depth=1
	ds_load_u8 v58, v59 offset:1
; %bb.32:                               ;   in Loop: Header=BB73_2 Depth=1
	s_wait_alu 0xfffe
	s_or_saveexec_b32 s9, s9
	v_mov_b32_e32 v60, v56
	s_wait_alu 0xfffe
	s_xor_b32 exec_lo, exec_lo, s9
	s_cbranch_execz .LBB73_34
; %bb.33:                               ;   in Loop: Header=BB73_2 Depth=1
	ds_load_u8 v60, v57 offset:1
	s_wait_dscnt 0x1
	v_mov_b32_e32 v58, v55
.LBB73_34:                              ;   in Loop: Header=BB73_2 Depth=1
	s_or_b32 exec_lo, exec_lo, s9
	v_add_nc_u32_e32 v61, 1, v59
	v_add_nc_u32_e32 v62, 1, v57
	s_wait_dscnt 0x0
	v_bfe_i32 v63, v58, 0, 8
	v_bfe_i32 v64, v60, 0, 8
	s_wait_loadcnt 0x0
	v_cndmask_b32_e64 v61, v61, v59, s8
	v_cndmask_b32_e64 v59, v59, v57, s8
	;; [unrolled: 1-line block ×3, first 2 shown]
	v_cmp_lt_i16_e64 s9, v64, v63
	s_barrier_signal -1
	v_cmp_ge_i32_e64 s10, v61, v18
	s_barrier_wait -1
	v_cmp_lt_i32_e64 s11, v57, v19
	global_inv scope:SCOPE_SE
	ds_store_b8 v1, v53
	ds_store_b8 v1, v54 offset:1
	s_or_b32 s9, s10, s9
	s_wait_loadcnt_dscnt 0x0
	s_wait_alu 0xfffe
	s_and_b32 s9, s11, s9
	s_barrier_signal -1
	s_wait_alu 0xfffe
	v_cndmask_b32_e64 v54, v61, v57, s9
	s_barrier_wait -1
	global_inv scope:SCOPE_SE
	v_cndmask_b32_e64 v55, v55, v56, s8
	ds_load_u8 v53, v59
	ds_load_u8 v54, v54
	v_cndmask_b32_e64 v58, v58, v60, s9
	s_wait_loadcnt_dscnt 0x0
	s_barrier_signal -1
	s_barrier_wait -1
	global_inv scope:SCOPE_SE
	ds_store_b8 v1, v55
	ds_store_b8 v1, v58 offset:1
	v_mov_b32_e32 v55, v48
	s_wait_loadcnt_dscnt 0x0
	s_barrier_signal -1
	s_barrier_wait -1
	global_inv scope:SCOPE_SE
	s_and_saveexec_b32 s9, s4
	s_cbranch_execz .LBB73_38
; %bb.35:                               ;   in Loop: Header=BB73_2 Depth=1
	v_dual_mov_b32 v55, v48 :: v_dual_mov_b32 v56, v40
	s_mov_b32 s10, 0
.LBB73_36:                              ;   Parent Loop BB73_2 Depth=1
                                        ; =>  This Inner Loop Header: Depth=2
	s_delay_alu instid0(VALU_DEP_1) | instskip(NEXT) | instid1(VALU_DEP_1)
	v_sub_nc_u32_e32 v57, v56, v55
	v_lshrrev_b32_e32 v57, 1, v57
	s_delay_alu instid0(VALU_DEP_1) | instskip(NEXT) | instid1(VALU_DEP_1)
	v_add_nc_u32_e32 v57, v57, v55
	v_add_nc_u32_e32 v58, v6, v57
	v_xad_u32 v59, v57, -1, v32
	v_add_nc_u32_e32 v60, 1, v57
	ds_load_i8 v58, v58
	ds_load_i8 v59, v59
	s_wait_dscnt 0x0
	v_cmp_lt_i16_e64 s8, v59, v58
	s_wait_alu 0xf1ff
	s_delay_alu instid0(VALU_DEP_1) | instskip(SKIP_1) | instid1(VALU_DEP_1)
	v_cndmask_b32_e64 v56, v56, v57, s8
	v_cndmask_b32_e64 v55, v60, v55, s8
	v_cmp_ge_i32_e64 s8, v55, v56
	s_or_b32 s10, s8, s10
	s_delay_alu instid0(SALU_CYCLE_1)
	s_and_not1_b32 exec_lo, exec_lo, s10
	s_cbranch_execnz .LBB73_36
; %bb.37:                               ;   in Loop: Header=BB73_2 Depth=1
	s_or_b32 exec_lo, exec_lo, s10
.LBB73_38:                              ;   in Loop: Header=BB73_2 Depth=1
	s_wait_alu 0xfffe
	s_or_b32 exec_lo, exec_lo, s9
	v_add_nc_u32_e32 v59, v55, v6
	v_sub_nc_u32_e32 v57, v32, v55
                                        ; implicit-def: $vgpr58
	ds_load_u8 v55, v59
	ds_load_u8 v56, v57
	v_cmp_le_i32_e64 s8, v20, v59
	v_cmp_gt_i32_e64 s10, v21, v57
	s_wait_dscnt 0x1
	v_bfe_i32 v55, v55, 0, 8
	s_wait_dscnt 0x0
	v_bfe_i32 v56, v56, 0, 8
	s_delay_alu instid0(VALU_DEP_1)
	v_cmp_lt_i16_e64 s9, v56, v55
	s_or_b32 s8, s8, s9
	s_wait_alu 0xfffe
	s_and_b32 s8, s10, s8
	s_wait_alu 0xfffe
	s_xor_b32 s9, s8, -1
	s_wait_alu 0xfffe
	s_and_saveexec_b32 s10, s9
	s_delay_alu instid0(SALU_CYCLE_1)
	s_xor_b32 s9, exec_lo, s10
; %bb.39:                               ;   in Loop: Header=BB73_2 Depth=1
	ds_load_u8 v58, v59 offset:1
; %bb.40:                               ;   in Loop: Header=BB73_2 Depth=1
	s_wait_alu 0xfffe
	s_or_saveexec_b32 s9, s9
	v_mov_b32_e32 v60, v56
	s_wait_alu 0xfffe
	s_xor_b32 exec_lo, exec_lo, s9
	s_cbranch_execz .LBB73_42
; %bb.41:                               ;   in Loop: Header=BB73_2 Depth=1
	ds_load_u8 v60, v57 offset:1
	s_wait_dscnt 0x1
	v_mov_b32_e32 v58, v55
.LBB73_42:                              ;   in Loop: Header=BB73_2 Depth=1
	s_or_b32 exec_lo, exec_lo, s9
	v_add_nc_u32_e32 v61, 1, v59
	v_add_nc_u32_e32 v62, 1, v57
	s_wait_dscnt 0x0
	v_bfe_i32 v63, v58, 0, 8
	v_bfe_i32 v64, v60, 0, 8
	s_wait_loadcnt 0x0
	v_cndmask_b32_e64 v61, v61, v59, s8
	v_cndmask_b32_e64 v59, v59, v57, s8
	;; [unrolled: 1-line block ×3, first 2 shown]
	v_cmp_lt_i16_e64 s9, v64, v63
	s_barrier_signal -1
	v_cmp_ge_i32_e64 s10, v61, v20
	s_barrier_wait -1
	v_cmp_lt_i32_e64 s11, v57, v21
	global_inv scope:SCOPE_SE
	ds_store_b8 v1, v53
	ds_store_b8 v1, v54 offset:1
	s_or_b32 s9, s10, s9
	s_wait_loadcnt_dscnt 0x0
	s_wait_alu 0xfffe
	s_and_b32 s9, s11, s9
	s_barrier_signal -1
	s_wait_alu 0xfffe
	v_cndmask_b32_e64 v54, v61, v57, s9
	s_barrier_wait -1
	global_inv scope:SCOPE_SE
	v_cndmask_b32_e64 v55, v55, v56, s8
	ds_load_u8 v53, v59
	ds_load_u8 v54, v54
	v_cndmask_b32_e64 v58, v58, v60, s9
	s_wait_loadcnt_dscnt 0x0
	s_barrier_signal -1
	s_barrier_wait -1
	global_inv scope:SCOPE_SE
	ds_store_b8 v1, v55
	ds_store_b8 v1, v58 offset:1
	v_mov_b32_e32 v55, v49
	s_wait_loadcnt_dscnt 0x0
	s_barrier_signal -1
	s_barrier_wait -1
	global_inv scope:SCOPE_SE
	s_and_saveexec_b32 s9, s5
	s_cbranch_execz .LBB73_46
; %bb.43:                               ;   in Loop: Header=BB73_2 Depth=1
	v_dual_mov_b32 v55, v49 :: v_dual_mov_b32 v56, v41
	s_mov_b32 s10, 0
.LBB73_44:                              ;   Parent Loop BB73_2 Depth=1
                                        ; =>  This Inner Loop Header: Depth=2
	s_delay_alu instid0(VALU_DEP_1) | instskip(NEXT) | instid1(VALU_DEP_1)
	v_sub_nc_u32_e32 v57, v56, v55
	v_lshrrev_b32_e32 v57, 1, v57
	s_delay_alu instid0(VALU_DEP_1) | instskip(NEXT) | instid1(VALU_DEP_1)
	v_add_nc_u32_e32 v57, v57, v55
	v_add_nc_u32_e32 v58, v7, v57
	v_xad_u32 v59, v57, -1, v33
	v_add_nc_u32_e32 v60, 1, v57
	ds_load_i8 v58, v58
	ds_load_i8 v59, v59
	s_wait_dscnt 0x0
	v_cmp_lt_i16_e64 s8, v59, v58
	s_wait_alu 0xf1ff
	s_delay_alu instid0(VALU_DEP_1) | instskip(SKIP_1) | instid1(VALU_DEP_1)
	v_cndmask_b32_e64 v56, v56, v57, s8
	v_cndmask_b32_e64 v55, v60, v55, s8
	v_cmp_ge_i32_e64 s8, v55, v56
	s_or_b32 s10, s8, s10
	s_delay_alu instid0(SALU_CYCLE_1)
	s_and_not1_b32 exec_lo, exec_lo, s10
	s_cbranch_execnz .LBB73_44
; %bb.45:                               ;   in Loop: Header=BB73_2 Depth=1
	s_or_b32 exec_lo, exec_lo, s10
.LBB73_46:                              ;   in Loop: Header=BB73_2 Depth=1
	s_wait_alu 0xfffe
	s_or_b32 exec_lo, exec_lo, s9
	v_add_nc_u32_e32 v59, v55, v7
	v_sub_nc_u32_e32 v57, v33, v55
                                        ; implicit-def: $vgpr58
	ds_load_u8 v55, v59
	ds_load_u8 v56, v57
	v_cmp_le_i32_e64 s8, v22, v59
	v_cmp_gt_i32_e64 s10, v23, v57
	s_wait_dscnt 0x1
	v_bfe_i32 v55, v55, 0, 8
	s_wait_dscnt 0x0
	v_bfe_i32 v56, v56, 0, 8
	s_delay_alu instid0(VALU_DEP_1)
	v_cmp_lt_i16_e64 s9, v56, v55
	s_or_b32 s8, s8, s9
	s_wait_alu 0xfffe
	s_and_b32 s8, s10, s8
	s_wait_alu 0xfffe
	s_xor_b32 s9, s8, -1
	s_wait_alu 0xfffe
	s_and_saveexec_b32 s10, s9
	s_delay_alu instid0(SALU_CYCLE_1)
	s_xor_b32 s9, exec_lo, s10
; %bb.47:                               ;   in Loop: Header=BB73_2 Depth=1
	ds_load_u8 v58, v59 offset:1
; %bb.48:                               ;   in Loop: Header=BB73_2 Depth=1
	s_wait_alu 0xfffe
	s_or_saveexec_b32 s9, s9
	v_mov_b32_e32 v60, v56
	s_wait_alu 0xfffe
	s_xor_b32 exec_lo, exec_lo, s9
	s_cbranch_execz .LBB73_50
; %bb.49:                               ;   in Loop: Header=BB73_2 Depth=1
	ds_load_u8 v60, v57 offset:1
	s_wait_dscnt 0x1
	v_mov_b32_e32 v58, v55
.LBB73_50:                              ;   in Loop: Header=BB73_2 Depth=1
	s_or_b32 exec_lo, exec_lo, s9
	v_add_nc_u32_e32 v61, 1, v59
	v_add_nc_u32_e32 v62, 1, v57
	s_wait_dscnt 0x0
	v_bfe_i32 v63, v58, 0, 8
	v_bfe_i32 v64, v60, 0, 8
	s_wait_loadcnt 0x0
	v_cndmask_b32_e64 v61, v61, v59, s8
	v_cndmask_b32_e64 v59, v59, v57, s8
	;; [unrolled: 1-line block ×3, first 2 shown]
	v_cmp_lt_i16_e64 s9, v64, v63
	s_barrier_signal -1
	v_cmp_ge_i32_e64 s10, v61, v22
	s_barrier_wait -1
	v_cmp_lt_i32_e64 s11, v57, v23
	global_inv scope:SCOPE_SE
	ds_store_b8 v1, v53
	ds_store_b8 v1, v54 offset:1
	s_or_b32 s9, s10, s9
	s_wait_loadcnt_dscnt 0x0
	s_wait_alu 0xfffe
	s_and_b32 s9, s11, s9
	s_barrier_signal -1
	s_wait_alu 0xfffe
	v_cndmask_b32_e64 v54, v61, v57, s9
	s_barrier_wait -1
	global_inv scope:SCOPE_SE
	v_cndmask_b32_e64 v55, v55, v56, s8
	ds_load_u8 v53, v59
	ds_load_u8 v54, v54
	v_cndmask_b32_e64 v58, v58, v60, s9
	s_wait_loadcnt_dscnt 0x0
	s_barrier_signal -1
	s_barrier_wait -1
	global_inv scope:SCOPE_SE
	ds_store_b8 v1, v55
	ds_store_b8 v1, v58 offset:1
	v_mov_b32_e32 v55, v50
	s_wait_loadcnt_dscnt 0x0
	s_barrier_signal -1
	s_barrier_wait -1
	global_inv scope:SCOPE_SE
	s_and_saveexec_b32 s9, s6
	s_cbranch_execz .LBB73_54
; %bb.51:                               ;   in Loop: Header=BB73_2 Depth=1
	v_dual_mov_b32 v55, v50 :: v_dual_mov_b32 v56, v42
	s_mov_b32 s10, 0
.LBB73_52:                              ;   Parent Loop BB73_2 Depth=1
                                        ; =>  This Inner Loop Header: Depth=2
	s_delay_alu instid0(VALU_DEP_1) | instskip(NEXT) | instid1(VALU_DEP_1)
	v_sub_nc_u32_e32 v57, v56, v55
	v_lshrrev_b32_e32 v57, 1, v57
	s_delay_alu instid0(VALU_DEP_1) | instskip(NEXT) | instid1(VALU_DEP_1)
	v_add_nc_u32_e32 v57, v57, v55
	v_add_nc_u32_e32 v58, v8, v57
	v_xad_u32 v59, v57, -1, v34
	v_add_nc_u32_e32 v60, 1, v57
	ds_load_i8 v58, v58
	ds_load_i8 v59, v59
	s_wait_dscnt 0x0
	v_cmp_lt_i16_e64 s8, v59, v58
	s_wait_alu 0xf1ff
	s_delay_alu instid0(VALU_DEP_1) | instskip(SKIP_1) | instid1(VALU_DEP_1)
	v_cndmask_b32_e64 v56, v56, v57, s8
	v_cndmask_b32_e64 v55, v60, v55, s8
	v_cmp_ge_i32_e64 s8, v55, v56
	s_or_b32 s10, s8, s10
	s_delay_alu instid0(SALU_CYCLE_1)
	s_and_not1_b32 exec_lo, exec_lo, s10
	s_cbranch_execnz .LBB73_52
; %bb.53:                               ;   in Loop: Header=BB73_2 Depth=1
	s_or_b32 exec_lo, exec_lo, s10
.LBB73_54:                              ;   in Loop: Header=BB73_2 Depth=1
	s_wait_alu 0xfffe
	s_or_b32 exec_lo, exec_lo, s9
	v_add_nc_u32_e32 v59, v55, v8
	v_sub_nc_u32_e32 v57, v34, v55
                                        ; implicit-def: $vgpr58
	ds_load_u8 v55, v59
	ds_load_u8 v56, v57
	v_cmp_le_i32_e64 s8, v24, v59
	v_cmp_gt_i32_e64 s10, v25, v57
	s_wait_dscnt 0x1
	v_bfe_i32 v55, v55, 0, 8
	s_wait_dscnt 0x0
	v_bfe_i32 v56, v56, 0, 8
	s_delay_alu instid0(VALU_DEP_1)
	v_cmp_lt_i16_e64 s9, v56, v55
	s_or_b32 s8, s8, s9
	s_wait_alu 0xfffe
	s_and_b32 s8, s10, s8
	s_wait_alu 0xfffe
	s_xor_b32 s9, s8, -1
	s_wait_alu 0xfffe
	s_and_saveexec_b32 s10, s9
	s_delay_alu instid0(SALU_CYCLE_1)
	s_xor_b32 s9, exec_lo, s10
; %bb.55:                               ;   in Loop: Header=BB73_2 Depth=1
	ds_load_u8 v58, v59 offset:1
; %bb.56:                               ;   in Loop: Header=BB73_2 Depth=1
	s_wait_alu 0xfffe
	s_or_saveexec_b32 s9, s9
	v_mov_b32_e32 v60, v56
	s_wait_alu 0xfffe
	s_xor_b32 exec_lo, exec_lo, s9
	s_cbranch_execz .LBB73_58
; %bb.57:                               ;   in Loop: Header=BB73_2 Depth=1
	ds_load_u8 v60, v57 offset:1
	s_wait_dscnt 0x1
	v_mov_b32_e32 v58, v55
.LBB73_58:                              ;   in Loop: Header=BB73_2 Depth=1
	s_or_b32 exec_lo, exec_lo, s9
	v_add_nc_u32_e32 v61, 1, v59
	v_add_nc_u32_e32 v62, 1, v57
	s_wait_dscnt 0x0
	v_bfe_i32 v63, v58, 0, 8
	v_bfe_i32 v64, v60, 0, 8
	s_wait_loadcnt 0x0
	v_cndmask_b32_e64 v61, v61, v59, s8
	v_cndmask_b32_e64 v59, v59, v57, s8
	;; [unrolled: 1-line block ×3, first 2 shown]
	v_cmp_lt_i16_e64 s9, v64, v63
	s_barrier_signal -1
	v_cmp_ge_i32_e64 s10, v61, v24
	s_barrier_wait -1
	v_cmp_lt_i32_e64 s11, v57, v25
	global_inv scope:SCOPE_SE
	ds_store_b8 v1, v53
	ds_store_b8 v1, v54 offset:1
	s_or_b32 s9, s10, s9
	s_wait_loadcnt_dscnt 0x0
	s_wait_alu 0xfffe
	s_and_b32 s9, s11, s9
	s_barrier_signal -1
	s_wait_alu 0xfffe
	v_cndmask_b32_e64 v54, v61, v57, s9
	s_barrier_wait -1
	global_inv scope:SCOPE_SE
	v_cndmask_b32_e64 v55, v55, v56, s8
	ds_load_u8 v53, v59
	ds_load_u8 v54, v54
	v_cndmask_b32_e64 v58, v58, v60, s9
	s_wait_loadcnt_dscnt 0x0
	s_barrier_signal -1
	s_barrier_wait -1
	global_inv scope:SCOPE_SE
	ds_store_b8 v1, v55
	ds_store_b8 v1, v58 offset:1
	v_mov_b32_e32 v55, v51
	s_wait_loadcnt_dscnt 0x0
	s_barrier_signal -1
	s_barrier_wait -1
	global_inv scope:SCOPE_SE
	s_and_saveexec_b32 s9, s7
	s_cbranch_execz .LBB73_62
; %bb.59:                               ;   in Loop: Header=BB73_2 Depth=1
	v_dual_mov_b32 v55, v51 :: v_dual_mov_b32 v56, v43
	s_mov_b32 s10, 0
.LBB73_60:                              ;   Parent Loop BB73_2 Depth=1
                                        ; =>  This Inner Loop Header: Depth=2
	s_delay_alu instid0(VALU_DEP_1) | instskip(NEXT) | instid1(VALU_DEP_1)
	v_sub_nc_u32_e32 v57, v56, v55
	v_lshrrev_b32_e32 v57, 1, v57
	s_delay_alu instid0(VALU_DEP_1) | instskip(NEXT) | instid1(VALU_DEP_1)
	v_add_nc_u32_e32 v57, v57, v55
	v_add_nc_u32_e32 v58, v9, v57
	v_xad_u32 v59, v57, -1, v35
	v_add_nc_u32_e32 v60, 1, v57
	ds_load_i8 v58, v58
	ds_load_i8 v59, v59
	s_wait_dscnt 0x0
	v_cmp_lt_i16_e64 s8, v59, v58
	s_wait_alu 0xf1ff
	s_delay_alu instid0(VALU_DEP_1) | instskip(SKIP_1) | instid1(VALU_DEP_1)
	v_cndmask_b32_e64 v56, v56, v57, s8
	v_cndmask_b32_e64 v55, v60, v55, s8
	v_cmp_ge_i32_e64 s8, v55, v56
	s_or_b32 s10, s8, s10
	s_delay_alu instid0(SALU_CYCLE_1)
	s_and_not1_b32 exec_lo, exec_lo, s10
	s_cbranch_execnz .LBB73_60
; %bb.61:                               ;   in Loop: Header=BB73_2 Depth=1
	s_or_b32 exec_lo, exec_lo, s10
.LBB73_62:                              ;   in Loop: Header=BB73_2 Depth=1
	s_wait_alu 0xfffe
	s_or_b32 exec_lo, exec_lo, s9
	v_add_nc_u32_e32 v59, v55, v9
	v_sub_nc_u32_e32 v57, v35, v55
                                        ; implicit-def: $vgpr58
	ds_load_u8 v55, v59
	ds_load_u8 v56, v57
	v_cmp_le_i32_e64 s8, v26, v59
	v_cmp_gt_i32_e64 s10, v27, v57
	s_wait_dscnt 0x1
	v_bfe_i32 v55, v55, 0, 8
	s_wait_dscnt 0x0
	v_bfe_i32 v56, v56, 0, 8
	s_delay_alu instid0(VALU_DEP_1)
	v_cmp_lt_i16_e64 s9, v56, v55
	s_or_b32 s8, s8, s9
	s_wait_alu 0xfffe
	s_and_b32 s8, s10, s8
	s_wait_alu 0xfffe
	s_xor_b32 s9, s8, -1
	s_wait_alu 0xfffe
	s_and_saveexec_b32 s10, s9
	s_delay_alu instid0(SALU_CYCLE_1)
	s_xor_b32 s9, exec_lo, s10
; %bb.63:                               ;   in Loop: Header=BB73_2 Depth=1
	ds_load_u8 v58, v59 offset:1
; %bb.64:                               ;   in Loop: Header=BB73_2 Depth=1
	s_wait_alu 0xfffe
	s_or_saveexec_b32 s9, s9
	v_mov_b32_e32 v60, v56
	s_wait_alu 0xfffe
	s_xor_b32 exec_lo, exec_lo, s9
	s_cbranch_execz .LBB73_66
; %bb.65:                               ;   in Loop: Header=BB73_2 Depth=1
	ds_load_u8 v60, v57 offset:1
	s_wait_dscnt 0x1
	v_mov_b32_e32 v58, v55
.LBB73_66:                              ;   in Loop: Header=BB73_2 Depth=1
	s_or_b32 exec_lo, exec_lo, s9
	v_add_nc_u32_e32 v61, 1, v59
	v_add_nc_u32_e32 v62, 1, v57
	s_wait_dscnt 0x0
	v_bfe_i32 v63, v58, 0, 8
	v_bfe_i32 v64, v60, 0, 8
	s_wait_loadcnt 0x0
	v_cndmask_b32_e64 v61, v61, v59, s8
	v_cndmask_b32_e64 v59, v59, v57, s8
	v_cndmask_b32_e64 v57, v57, v62, s8
	v_cmp_lt_i16_e64 s9, v64, v63
	s_barrier_signal -1
	v_cmp_ge_i32_e64 s10, v61, v26
	s_barrier_wait -1
	v_cmp_lt_i32_e64 s11, v57, v27
	global_inv scope:SCOPE_SE
	ds_store_b8 v1, v53
	ds_store_b8 v1, v54 offset:1
	s_or_b32 s9, s10, s9
	s_wait_loadcnt_dscnt 0x0
	s_wait_alu 0xfffe
	s_and_b32 s9, s11, s9
	s_barrier_signal -1
	s_wait_alu 0xfffe
	v_cndmask_b32_e64 v54, v61, v57, s9
	s_barrier_wait -1
	global_inv scope:SCOPE_SE
	v_cndmask_b32_e64 v55, v55, v56, s8
	ds_load_u8 v53, v59
	ds_load_u8 v54, v54
	v_cndmask_b32_e64 v58, v58, v60, s9
	s_wait_loadcnt_dscnt 0x0
	s_barrier_signal -1
	s_barrier_wait -1
	global_inv scope:SCOPE_SE
	ds_store_b8 v1, v55
	ds_store_b8 v1, v58 offset:1
	v_mov_b32_e32 v55, v10
	s_wait_loadcnt_dscnt 0x0
	s_barrier_signal -1
	s_barrier_wait -1
	global_inv scope:SCOPE_SE
	s_and_saveexec_b32 s9, vcc_lo
	s_cbranch_execz .LBB73_70
; %bb.67:                               ;   in Loop: Header=BB73_2 Depth=1
	v_dual_mov_b32 v55, v10 :: v_dual_mov_b32 v56, v11
	s_mov_b32 s10, 0
.LBB73_68:                              ;   Parent Loop BB73_2 Depth=1
                                        ; =>  This Inner Loop Header: Depth=2
	s_delay_alu instid0(VALU_DEP_1) | instskip(NEXT) | instid1(VALU_DEP_1)
	v_sub_nc_u32_e32 v57, v56, v55
	v_lshrrev_b32_e32 v57, 1, v57
	s_delay_alu instid0(VALU_DEP_1) | instskip(NEXT) | instid1(VALU_DEP_1)
	v_add_nc_u32_e32 v57, v57, v55
	v_xad_u32 v58, v57, -1, v52
	v_add_nc_u32_e32 v60, 1, v57
	ds_load_i8 v59, v57
	ds_load_i8 v58, v58
	s_wait_dscnt 0x0
	v_cmp_lt_i16_e64 s8, v58, v59
	s_wait_alu 0xf1ff
	s_delay_alu instid0(VALU_DEP_1) | instskip(SKIP_1) | instid1(VALU_DEP_1)
	v_cndmask_b32_e64 v56, v56, v57, s8
	v_cndmask_b32_e64 v55, v60, v55, s8
	v_cmp_ge_i32_e64 s8, v55, v56
	s_or_b32 s10, s8, s10
	s_delay_alu instid0(SALU_CYCLE_1)
	s_and_not1_b32 exec_lo, exec_lo, s10
	s_cbranch_execnz .LBB73_68
; %bb.69:                               ;   in Loop: Header=BB73_2 Depth=1
	s_or_b32 exec_lo, exec_lo, s10
.LBB73_70:                              ;   in Loop: Header=BB73_2 Depth=1
	s_wait_alu 0xfffe
	s_or_b32 exec_lo, exec_lo, s9
	v_sub_nc_u32_e32 v56, v52, v55
	v_cmp_le_i32_e64 s8, 0x200, v55
                                        ; implicit-def: $vgpr60
                                        ; implicit-def: $vgpr59
	ds_load_u8 v57, v55
	ds_load_u8 v58, v56
	v_cmp_gt_i32_e64 s10, 0x400, v56
	s_wait_dscnt 0x1
	v_bfe_i32 v57, v57, 0, 8
	s_wait_dscnt 0x0
	v_bfe_i32 v58, v58, 0, 8
	s_delay_alu instid0(VALU_DEP_1)
	v_cmp_lt_i16_e64 s9, v58, v57
	s_or_b32 s8, s8, s9
	s_wait_alu 0xfffe
	s_and_b32 s8, s10, s8
	s_wait_alu 0xfffe
	s_xor_b32 s9, s8, -1
	s_wait_alu 0xfffe
	s_and_saveexec_b32 s10, s9
	s_delay_alu instid0(SALU_CYCLE_1)
	s_xor_b32 s9, exec_lo, s10
; %bb.71:                               ;   in Loop: Header=BB73_2 Depth=1
	ds_load_u8 v60, v55 offset:1
	v_add_nc_u32_e32 v59, 1, v55
; %bb.72:                               ;   in Loop: Header=BB73_2 Depth=1
	s_wait_alu 0xfffe
	s_or_saveexec_b32 s9, s9
	v_dual_mov_b32 v61, v55 :: v_dual_mov_b32 v62, v58
	s_wait_alu 0xfffe
	s_xor_b32 exec_lo, exec_lo, s9
	s_cbranch_execz .LBB73_1
; %bb.73:                               ;   in Loop: Header=BB73_2 Depth=1
	ds_load_u8 v62, v56 offset:1
	s_wait_dscnt 0x1
	v_dual_mov_b32 v61, v56 :: v_dual_add_nc_u32 v60, 1, v56
	s_delay_alu instid0(VALU_DEP_1)
	v_dual_mov_b32 v59, v55 :: v_dual_mov_b32 v56, v60
	v_mov_b32_e32 v60, v57
	s_branch .LBB73_1
.LBB73_74:
	s_add_nc_u64 s[0:1], s[14:15], s[16:17]
	s_wait_dscnt 0x1
	v_add_nc_u16 v2, v54, v56
	s_wait_alu 0xfffe
	v_add_co_u32 v0, s0, s0, v0
	s_wait_alu 0xf1ff
	v_add_co_ci_u32_e64 v1, null, s1, 0, s0
	s_wait_dscnt 0x0
	v_add_nc_u16 v3, v53, v55
	s_clause 0x1
	global_store_b8 v[0:1], v2, off
	global_store_b8 v[0:1], v3, off offset:512
	s_endpgm
	.section	.rodata,"a",@progbits
	.p2align	6, 0x0
	.amdhsa_kernel _Z17sort_pairs_kernelIaLj512ELj2EN10test_utils4lessELj10EEvPKT_PS2_T2_
		.amdhsa_group_segment_fixed_size 1025
		.amdhsa_private_segment_fixed_size 0
		.amdhsa_kernarg_size 20
		.amdhsa_user_sgpr_count 2
		.amdhsa_user_sgpr_dispatch_ptr 0
		.amdhsa_user_sgpr_queue_ptr 0
		.amdhsa_user_sgpr_kernarg_segment_ptr 1
		.amdhsa_user_sgpr_dispatch_id 0
		.amdhsa_user_sgpr_private_segment_size 0
		.amdhsa_wavefront_size32 1
		.amdhsa_uses_dynamic_stack 0
		.amdhsa_enable_private_segment 0
		.amdhsa_system_sgpr_workgroup_id_x 1
		.amdhsa_system_sgpr_workgroup_id_y 0
		.amdhsa_system_sgpr_workgroup_id_z 0
		.amdhsa_system_sgpr_workgroup_info 0
		.amdhsa_system_vgpr_workitem_id 0
		.amdhsa_next_free_vgpr 70
		.amdhsa_next_free_sgpr 18
		.amdhsa_reserve_vcc 1
		.amdhsa_float_round_mode_32 0
		.amdhsa_float_round_mode_16_64 0
		.amdhsa_float_denorm_mode_32 3
		.amdhsa_float_denorm_mode_16_64 3
		.amdhsa_fp16_overflow 0
		.amdhsa_workgroup_processor_mode 1
		.amdhsa_memory_ordered 1
		.amdhsa_forward_progress 1
		.amdhsa_inst_pref_size 48
		.amdhsa_round_robin_scheduling 0
		.amdhsa_exception_fp_ieee_invalid_op 0
		.amdhsa_exception_fp_denorm_src 0
		.amdhsa_exception_fp_ieee_div_zero 0
		.amdhsa_exception_fp_ieee_overflow 0
		.amdhsa_exception_fp_ieee_underflow 0
		.amdhsa_exception_fp_ieee_inexact 0
		.amdhsa_exception_int_div_zero 0
	.end_amdhsa_kernel
	.section	.text._Z17sort_pairs_kernelIaLj512ELj2EN10test_utils4lessELj10EEvPKT_PS2_T2_,"axG",@progbits,_Z17sort_pairs_kernelIaLj512ELj2EN10test_utils4lessELj10EEvPKT_PS2_T2_,comdat
.Lfunc_end73:
	.size	_Z17sort_pairs_kernelIaLj512ELj2EN10test_utils4lessELj10EEvPKT_PS2_T2_, .Lfunc_end73-_Z17sort_pairs_kernelIaLj512ELj2EN10test_utils4lessELj10EEvPKT_PS2_T2_
                                        ; -- End function
	.set _Z17sort_pairs_kernelIaLj512ELj2EN10test_utils4lessELj10EEvPKT_PS2_T2_.num_vgpr, 70
	.set _Z17sort_pairs_kernelIaLj512ELj2EN10test_utils4lessELj10EEvPKT_PS2_T2_.num_agpr, 0
	.set _Z17sort_pairs_kernelIaLj512ELj2EN10test_utils4lessELj10EEvPKT_PS2_T2_.numbered_sgpr, 18
	.set _Z17sort_pairs_kernelIaLj512ELj2EN10test_utils4lessELj10EEvPKT_PS2_T2_.num_named_barrier, 0
	.set _Z17sort_pairs_kernelIaLj512ELj2EN10test_utils4lessELj10EEvPKT_PS2_T2_.private_seg_size, 0
	.set _Z17sort_pairs_kernelIaLj512ELj2EN10test_utils4lessELj10EEvPKT_PS2_T2_.uses_vcc, 1
	.set _Z17sort_pairs_kernelIaLj512ELj2EN10test_utils4lessELj10EEvPKT_PS2_T2_.uses_flat_scratch, 0
	.set _Z17sort_pairs_kernelIaLj512ELj2EN10test_utils4lessELj10EEvPKT_PS2_T2_.has_dyn_sized_stack, 0
	.set _Z17sort_pairs_kernelIaLj512ELj2EN10test_utils4lessELj10EEvPKT_PS2_T2_.has_recursion, 0
	.set _Z17sort_pairs_kernelIaLj512ELj2EN10test_utils4lessELj10EEvPKT_PS2_T2_.has_indirect_call, 0
	.section	.AMDGPU.csdata,"",@progbits
; Kernel info:
; codeLenInByte = 6048
; TotalNumSgprs: 20
; NumVgprs: 70
; ScratchSize: 0
; MemoryBound: 0
; FloatMode: 240
; IeeeMode: 1
; LDSByteSize: 1025 bytes/workgroup (compile time only)
; SGPRBlocks: 0
; VGPRBlocks: 8
; NumSGPRsForWavesPerEU: 20
; NumVGPRsForWavesPerEU: 70
; Occupancy: 16
; WaveLimiterHint : 1
; COMPUTE_PGM_RSRC2:SCRATCH_EN: 0
; COMPUTE_PGM_RSRC2:USER_SGPR: 2
; COMPUTE_PGM_RSRC2:TRAP_HANDLER: 0
; COMPUTE_PGM_RSRC2:TGID_X_EN: 1
; COMPUTE_PGM_RSRC2:TGID_Y_EN: 0
; COMPUTE_PGM_RSRC2:TGID_Z_EN: 0
; COMPUTE_PGM_RSRC2:TIDIG_COMP_CNT: 0
	.section	.text._Z16sort_keys_kernelIaLj512ELj3EN10test_utils4lessELj10EEvPKT_PS2_T2_,"axG",@progbits,_Z16sort_keys_kernelIaLj512ELj3EN10test_utils4lessELj10EEvPKT_PS2_T2_,comdat
	.protected	_Z16sort_keys_kernelIaLj512ELj3EN10test_utils4lessELj10EEvPKT_PS2_T2_ ; -- Begin function _Z16sort_keys_kernelIaLj512ELj3EN10test_utils4lessELj10EEvPKT_PS2_T2_
	.globl	_Z16sort_keys_kernelIaLj512ELj3EN10test_utils4lessELj10EEvPKT_PS2_T2_
	.p2align	8
	.type	_Z16sort_keys_kernelIaLj512ELj3EN10test_utils4lessELj10EEvPKT_PS2_T2_,@function
_Z16sort_keys_kernelIaLj512ELj3EN10test_utils4lessELj10EEvPKT_PS2_T2_: ; @_Z16sort_keys_kernelIaLj512ELj3EN10test_utils4lessELj10EEvPKT_PS2_T2_
; %bb.0:
	s_load_b128 s[12:15], s[0:1], 0x0
	s_mul_i32 s16, ttmp9, 0x600
	s_mov_b32 s17, 0
	v_and_b32_e32 v3, 0x1fe, v0
	v_and_b32_e32 v5, 0x1fc, v0
	;; [unrolled: 1-line block ×5, first 2 shown]
	v_mul_u32_u24_e32 v12, 3, v3
	v_and_b32_e32 v8, 0x1e0, v0
	v_mul_u32_u24_e32 v13, 3, v5
	v_mul_u32_u24_e32 v14, 3, v6
	v_and_b32_e32 v9, 0x1c0, v0
	v_min_u32_e32 v29, 0x5fd, v12
	v_min_u32_e32 v20, 0x5fa, v12
	v_and_b32_e32 v10, 0x180, v0
	v_cmp_eq_u32_e32 vcc_lo, 1, v4
	v_mul_u32_u24_e32 v15, 3, v7
	v_mul_u32_u24_e32 v16, 3, v8
	v_min_u32_e32 v6, 0x600, v13
	s_wait_kmcnt 0x0
	s_add_nc_u64 s[0:1], s[12:13], s[16:17]
	v_min_u32_e32 v30, 0x5fa, v13
	s_clause 0x2
	global_load_u8 v60, v0, s[0:1] offset:512
	global_load_u8 v61, v0, s[0:1] offset:1024
	global_load_u8 v62, v0, s[0:1]
	v_min_u32_e32 v21, 0x5f4, v13
	v_min_u32_e32 v7, 0x600, v14
	;; [unrolled: 1-line block ×4, first 2 shown]
	v_add_nc_u32_e32 v13, 3, v29
	v_add_nc_u32_e32 v14, 6, v20
	v_and_b32_e32 v37, 3, v0
	v_and_b32_e32 v11, 0x100, v0
	v_cndmask_b32_e64 v52, 0, 3, vcc_lo
	v_mul_u32_u24_e32 v17, 3, v9
	v_mul_u32_u24_e32 v18, 3, v10
	v_min_u32_e32 v5, 0x600, v12
	v_min_u32_e32 v8, 0x600, v15
	;; [unrolled: 1-line block ×7, first 2 shown]
	v_add_nc_u32_e32 v15, 6, v30
	v_add_nc_u32_e32 v16, 12, v21
	v_sub_nc_u32_e32 v63, v14, v13
	v_and_b32_e32 v38, 7, v0
	v_mul_u32_u24_e32 v53, 3, v37
	v_mul_u32_u24_e32 v19, 3, v11
	v_min_u32_e32 v10, 0x600, v17
	v_min_u32_e32 v34, 0x5a0, v17
	;; [unrolled: 1-line block ×6, first 2 shown]
	v_add_nc_u32_e32 v17, 12, v31
	v_add_nc_u32_e32 v18, 24, v22
	v_sub_nc_u32_e32 v44, v13, v5
	v_sub_nc_u32_e32 v66, v16, v15
	v_sub_nc_u32_e32 v73, v52, v63
	v_cmp_ge_i32_e64 s0, v52, v63
	v_and_b32_e32 v39, 15, v0
	v_mul_u32_u24_e32 v54, 3, v38
	v_min_u32_e32 v12, 0x600, v19
	v_min_u32_e32 v65, 0x480, v19
	;; [unrolled: 1-line block ×3, first 2 shown]
	v_add_nc_u32_e32 v19, 24, v32
	v_add_nc_u32_e32 v20, 48, v23
	;; [unrolled: 1-line block ×4, first 2 shown]
	v_sub_nc_u32_e32 v45, v15, v6
	v_sub_nc_u32_e32 v67, v18, v17
	v_min_i32_e32 v44, v52, v44
	v_sub_nc_u32_e32 v74, v53, v66
	v_cndmask_b32_e64 v52, 0, v73, s0
	v_cmp_ge_i32_e64 s0, v53, v66
	v_and_b32_e32 v40, 31, v0
	v_mul_u32_u24_e32 v55, 3, v39
	v_add_nc_u32_e32 v21, 48, v33
	v_add_nc_u32_e32 v22, 0x60, v24
	v_sub_nc_u32_e32 v46, v17, v7
	v_sub_nc_u32_e32 v68, v20, v19
	v_min_i32_e32 v45, v53, v45
	v_sub_nc_u32_e32 v75, v54, v67
	s_wait_alu 0xf1ff
	v_cndmask_b32_e64 v53, 0, v74, s0
	v_cmp_ge_i32_e64 s0, v54, v67
	v_and_b32_e32 v41, 63, v0
	v_mul_u32_u24_e32 v56, 3, v40
	v_add_nc_u32_e32 v23, 0x60, v34
	v_add_nc_u32_e32 v24, 0xc0, v25
	v_sub_nc_u32_e32 v47, v19, v8
	v_sub_nc_u32_e32 v69, v22, v21
	v_min_i32_e32 v46, v54, v46
	v_sub_nc_u32_e32 v76, v55, v68
	s_wait_alu 0xf1ff
	;; [unrolled: 11-line block ×4, first 2 shown]
	v_cndmask_b32_e64 v56, 0, v77, s0
	v_cmp_ge_i32_e64 s0, v57, v70
	v_mul_u32_u24_e32 v59, 3, v64
	v_sub_nc_u32_e32 v50, v25, v11
	v_sub_nc_u32_e32 v72, v28, v27
	v_min_i32_e32 v49, v57, v49
	v_sub_nc_u32_e32 v79, v58, v71
	s_wait_alu 0xf1ff
	v_cndmask_b32_e64 v57, 0, v78, s0
	v_cmp_ge_i32_e64 s0, v58, v71
	v_sub_nc_u32_e32 v51, v27, v12
	v_min_i32_e32 v50, v58, v50
	v_sub_nc_u32_e32 v80, v59, v72
	v_mul_u32_u24_e32 v1, 3, v0
	s_wait_alu 0xf1ff
	v_cndmask_b32_e64 v58, 0, v79, s0
	v_cmp_ge_i32_e64 s0, v59, v72
	v_min_i32_e32 v51, v59, v51
	v_mad_u32_u24 v2, v0, 3, 0x300
	v_subrev_nc_u32_e64 v3, 0x300, v1 clamp
	v_min_i32_e32 v4, 0x300, v1
	s_wait_alu 0xf1ff
	v_cndmask_b32_e64 v59, 0, v80, s0
	v_mad_u32_u24 v30, v37, 3, v30
	v_mad_u32_u24 v31, v38, 3, v31
	;; [unrolled: 1-line block ×13, first 2 shown]
	v_cmp_lt_i32_e64 s0, v52, v44
	v_cmp_lt_i32_e64 s1, v53, v45
	v_cmp_lt_i32_e64 s2, v54, v46
	v_cmp_lt_i32_e64 s3, v55, v47
	v_cmp_lt_i32_e64 s4, v56, v48
	v_cmp_lt_i32_e64 s5, v57, v49
	v_cmp_lt_i32_e64 s6, v58, v50
	v_cmp_lt_i32_e64 s7, v59, v51
	s_mov_b32 s12, s17
	v_cmp_lt_i32_e32 vcc_lo, v3, v4
	s_wait_loadcnt 0x0
	v_perm_b32 v60, v62, v60, 0xc0c0004
	s_delay_alu instid0(VALU_DEP_1)
	v_lshl_or_b32 v63, v61, 16, v60
	v_mad_u32_u24 v60, v64, 3, v65
	s_branch .LBB74_2
.LBB74_1:                               ;   in Loop: Header=BB74_2 Depth=1
	s_or_b32 exec_lo, exec_lo, s10
	s_wait_dscnt 0x0
	v_bfe_i32 v68, v66, 0, 8
	v_bfe_i32 v70, v69, 0, 8
	v_cndmask_b32_e64 v64, v64, v65, s9
	v_cmp_le_i32_e64 s9, 0x300, v67
	v_cndmask_b32_e64 v61, v61, v62, s8
	v_cmp_gt_i32_e64 s8, 0x600, v63
	v_cmp_lt_i16_e64 s10, v70, v68
	v_lshlrev_b16 v63, 8, v64
	s_add_co_i32 s12, s12, 1
	v_and_b32_e32 v65, 0xff, v61
	s_or_b32 s9, s9, s10
	s_wait_alu 0xfffe
	s_and_b32 s8, s8, s9
	s_delay_alu instid0(VALU_DEP_1) | instskip(SKIP_3) | instid1(VALU_DEP_2)
	v_or_b32_e32 v63, v65, v63
	s_wait_alu 0xfffe
	v_cndmask_b32_e64 v62, v66, v69, s8
	s_cmp_eq_u32 s12, 10
	v_and_b32_e32 v63, 0xffff, v63
	s_delay_alu instid0(VALU_DEP_2) | instskip(NEXT) | instid1(VALU_DEP_1)
	v_and_b32_e32 v65, 0xff, v62
	v_lshlrev_b32_e32 v65, 16, v65
	s_delay_alu instid0(VALU_DEP_1)
	v_or_b32_e32 v63, v63, v65
	s_cbranch_scc1 .LBB74_110
.LBB74_2:                               ; =>This Loop Header: Depth=1
                                        ;     Child Loop BB74_4 Depth 2
                                        ;     Child Loop BB74_16 Depth 2
                                        ;     Child Loop BB74_28 Depth 2
                                        ;     Child Loop BB74_40 Depth 2
                                        ;     Child Loop BB74_52 Depth 2
                                        ;     Child Loop BB74_64 Depth 2
                                        ;     Child Loop BB74_76 Depth 2
                                        ;     Child Loop BB74_88 Depth 2
                                        ;     Child Loop BB74_100 Depth 2
	s_delay_alu instid0(VALU_DEP_1) | instskip(SKIP_3) | instid1(VALU_DEP_3)
	v_lshrrev_b32_e32 v61, 8, v63
	v_bfe_i32 v62, v63, 0, 8
	v_perm_b32 v64, v63, v63, 0x7060405
	s_barrier_signal -1
	v_bfe_i32 v61, v61, 0, 8
	s_barrier_wait -1
	global_inv scope:SCOPE_SE
	v_cmp_lt_i16_e64 s8, v61, v62
	v_max_i16 v65, v61, v62
	v_min_i16 v61, v61, v62
	s_wait_alu 0xf1ff
	s_delay_alu instid0(VALU_DEP_3) | instskip(NEXT) | instid1(VALU_DEP_2)
	v_cndmask_b32_e64 v63, v63, v64, s8
	v_lshlrev_b16 v66, 8, v61
	s_delay_alu instid0(VALU_DEP_2) | instskip(SKIP_1) | instid1(VALU_DEP_2)
	v_lshrrev_b32_e32 v64, 16, v63
	v_perm_b32 v67, v63, v65, 0x7000604
	v_bfe_i32 v64, v64, 0, 8
	s_delay_alu instid0(VALU_DEP_1) | instskip(SKIP_1) | instid1(VALU_DEP_2)
	v_min_i16 v62, v64, v65
	v_cmp_lt_i16_e64 s8, v64, v65
	v_and_b32_e32 v62, 0xff, v62
	s_wait_alu 0xf1ff
	s_delay_alu instid0(VALU_DEP_2) | instskip(SKIP_1) | instid1(VALU_DEP_3)
	v_cndmask_b32_e64 v63, v63, v67, s8
	v_cmp_lt_i16_e64 s8, v64, v61
	v_or_b32_e32 v62, v62, v66
	s_delay_alu instid0(VALU_DEP_1) | instskip(NEXT) | instid1(VALU_DEP_1)
	v_and_b32_e32 v62, 0xffff, v62
	v_and_or_b32 v62, 0xffff0000, v63, v62
	s_wait_alu 0xf1ff
	s_delay_alu instid0(VALU_DEP_1) | instskip(SKIP_1) | instid1(VALU_DEP_2)
	v_cndmask_b32_e64 v61, v63, v62, s8
	v_mov_b32_e32 v63, v52
	v_lshrrev_b32_e32 v62, 8, v61
	ds_store_b8 v1, v61
	ds_store_b8 v1, v62 offset:1
	ds_store_b8_d16_hi v1, v61 offset:2
	s_wait_loadcnt_dscnt 0x0
	s_barrier_signal -1
	s_barrier_wait -1
	global_inv scope:SCOPE_SE
	s_and_saveexec_b32 s9, s0
	s_cbranch_execz .LBB74_6
; %bb.3:                                ;   in Loop: Header=BB74_2 Depth=1
	v_mov_b32_e32 v63, v52
	v_mov_b32_e32 v61, v44
	s_mov_b32 s10, 0
.LBB74_4:                               ;   Parent Loop BB74_2 Depth=1
                                        ; =>  This Inner Loop Header: Depth=2
	s_delay_alu instid0(VALU_DEP_1) | instskip(NEXT) | instid1(VALU_DEP_1)
	v_sub_nc_u32_e32 v62, v61, v63
	v_lshrrev_b32_e32 v62, 1, v62
	s_delay_alu instid0(VALU_DEP_1) | instskip(NEXT) | instid1(VALU_DEP_1)
	v_add_nc_u32_e32 v62, v62, v63
	v_add_nc_u32_e32 v64, v5, v62
	v_xad_u32 v65, v62, -1, v29
	v_add_nc_u32_e32 v66, 1, v62
	ds_load_i8 v64, v64
	ds_load_i8 v65, v65 offset:3
	s_wait_dscnt 0x0
	v_cmp_lt_i16_e64 s8, v65, v64
	s_wait_alu 0xf1ff
	s_delay_alu instid0(VALU_DEP_1) | instskip(SKIP_1) | instid1(VALU_DEP_1)
	v_cndmask_b32_e64 v61, v61, v62, s8
	v_cndmask_b32_e64 v63, v66, v63, s8
	v_cmp_ge_i32_e64 s8, v63, v61
	s_or_b32 s10, s8, s10
	s_delay_alu instid0(SALU_CYCLE_1)
	s_and_not1_b32 exec_lo, exec_lo, s10
	s_cbranch_execnz .LBB74_4
; %bb.5:                                ;   in Loop: Header=BB74_2 Depth=1
	s_or_b32 exec_lo, exec_lo, s10
.LBB74_6:                               ;   in Loop: Header=BB74_2 Depth=1
	s_wait_alu 0xfffe
	s_or_b32 exec_lo, exec_lo, s9
	v_add_nc_u32_e32 v65, v63, v5
	v_sub_nc_u32_e32 v67, v29, v63
	v_sub_nc_u32_e32 v66, v36, v63
                                        ; implicit-def: $vgpr63
	ds_load_u8 v61, v65
	ds_load_u8 v62, v67 offset:3
	v_cmp_le_i32_e64 s8, v13, v65
	v_cmp_gt_i32_e64 s10, v14, v66
	s_wait_dscnt 0x1
	v_bfe_i32 v61, v61, 0, 8
	s_wait_dscnt 0x0
	v_bfe_i32 v62, v62, 0, 8
	s_delay_alu instid0(VALU_DEP_1)
	v_cmp_lt_i16_e64 s9, v62, v61
	s_or_b32 s8, s8, s9
	s_wait_alu 0xfffe
	s_and_b32 s8, s10, s8
	s_wait_alu 0xfffe
	s_xor_b32 s9, s8, -1
	s_wait_alu 0xfffe
	s_and_saveexec_b32 s10, s9
	s_delay_alu instid0(SALU_CYCLE_1)
	s_xor_b32 s9, exec_lo, s10
; %bb.7:                                ;   in Loop: Header=BB74_2 Depth=1
	ds_load_u8 v63, v65 offset:1
                                        ; implicit-def: $vgpr67
; %bb.8:                                ;   in Loop: Header=BB74_2 Depth=1
	s_wait_alu 0xfffe
	s_or_saveexec_b32 s9, s9
	v_mov_b32_e32 v64, v62
	s_wait_alu 0xfffe
	s_xor_b32 exec_lo, exec_lo, s9
	s_cbranch_execz .LBB74_10
; %bb.9:                                ;   in Loop: Header=BB74_2 Depth=1
	ds_load_u8 v64, v67 offset:4
	s_wait_dscnt 0x1
	v_mov_b32_e32 v63, v61
.LBB74_10:                              ;   in Loop: Header=BB74_2 Depth=1
	s_or_b32 exec_lo, exec_lo, s9
	v_add_nc_u32_e32 v67, 1, v65
	v_add_nc_u32_e32 v68, 1, v66
	s_wait_dscnt 0x0
	v_bfe_i32 v69, v63, 0, 8
	s_delay_alu instid0(VALU_DEP_3) | instskip(SKIP_2) | instid1(VALU_DEP_3)
	v_cndmask_b32_e64 v67, v67, v65, s8
	v_bfe_i32 v65, v64, 0, 8
	v_cndmask_b32_e64 v66, v66, v68, s8
	v_cmp_ge_i32_e64 s9, v67, v13
	s_delay_alu instid0(VALU_DEP_3) | instskip(NEXT) | instid1(VALU_DEP_3)
	v_cmp_lt_i16_e64 s10, v65, v69
	v_cmp_lt_i32_e64 s11, v66, v14
                                        ; implicit-def: $vgpr65
	s_or_b32 s9, s9, s10
	s_wait_alu 0xfffe
	s_and_b32 s9, s11, s9
	s_wait_alu 0xfffe
	s_xor_b32 s10, s9, -1
	s_delay_alu instid0(SALU_CYCLE_1) | instskip(NEXT) | instid1(SALU_CYCLE_1)
	s_and_saveexec_b32 s11, s10
	s_xor_b32 s10, exec_lo, s11
; %bb.11:                               ;   in Loop: Header=BB74_2 Depth=1
	ds_load_u8 v65, v67 offset:1
; %bb.12:                               ;   in Loop: Header=BB74_2 Depth=1
	s_or_saveexec_b32 s10, s10
	v_mov_b32_e32 v68, v64
	s_xor_b32 exec_lo, exec_lo, s10
	s_cbranch_execz .LBB74_14
; %bb.13:                               ;   in Loop: Header=BB74_2 Depth=1
	ds_load_u8 v68, v66 offset:1
	s_wait_dscnt 0x1
	v_mov_b32_e32 v65, v63
.LBB74_14:                              ;   in Loop: Header=BB74_2 Depth=1
	s_or_b32 exec_lo, exec_lo, s10
	v_add_nc_u32_e32 v69, 1, v67
	v_add_nc_u32_e32 v70, 1, v66
	s_wait_dscnt 0x0
	v_bfe_i32 v71, v65, 0, 8
	v_bfe_i32 v72, v68, 0, 8
	v_cndmask_b32_e64 v64, v63, v64, s9
	v_cndmask_b32_e64 v67, v69, v67, s9
	v_mov_b32_e32 v63, v53
	v_cndmask_b32_e64 v66, v66, v70, s9
	v_cmp_lt_i16_e64 s9, v72, v71
	v_cndmask_b32_e64 v61, v61, v62, s8
	v_cmp_ge_i32_e64 s10, v67, v13
	s_wait_loadcnt 0x0
	v_cmp_lt_i32_e64 s8, v66, v14
	s_barrier_signal -1
	s_barrier_wait -1
	s_or_b32 s9, s10, s9
	global_inv scope:SCOPE_SE
	s_wait_alu 0xfffe
	s_and_b32 s8, s8, s9
	s_wait_alu 0xfffe
	v_cndmask_b32_e64 v62, v65, v68, s8
	ds_store_b8 v1, v61
	ds_store_b8 v1, v64 offset:1
	ds_store_b8 v1, v62 offset:2
	s_wait_loadcnt_dscnt 0x0
	s_barrier_signal -1
	s_barrier_wait -1
	global_inv scope:SCOPE_SE
	s_and_saveexec_b32 s9, s1
	s_cbranch_execz .LBB74_18
; %bb.15:                               ;   in Loop: Header=BB74_2 Depth=1
	v_mov_b32_e32 v63, v53
	v_mov_b32_e32 v61, v45
	s_mov_b32 s10, 0
.LBB74_16:                              ;   Parent Loop BB74_2 Depth=1
                                        ; =>  This Inner Loop Header: Depth=2
	s_delay_alu instid0(VALU_DEP_1) | instskip(NEXT) | instid1(VALU_DEP_1)
	v_sub_nc_u32_e32 v62, v61, v63
	v_lshrrev_b32_e32 v62, 1, v62
	s_delay_alu instid0(VALU_DEP_1) | instskip(NEXT) | instid1(VALU_DEP_1)
	v_add_nc_u32_e32 v62, v62, v63
	v_add_nc_u32_e32 v64, v6, v62
	v_xad_u32 v65, v62, -1, v30
	v_add_nc_u32_e32 v66, 1, v62
	ds_load_i8 v64, v64
	ds_load_i8 v65, v65 offset:6
	s_wait_dscnt 0x0
	v_cmp_lt_i16_e64 s8, v65, v64
	s_wait_alu 0xf1ff
	s_delay_alu instid0(VALU_DEP_1) | instskip(SKIP_1) | instid1(VALU_DEP_1)
	v_cndmask_b32_e64 v61, v61, v62, s8
	v_cndmask_b32_e64 v63, v66, v63, s8
	v_cmp_ge_i32_e64 s8, v63, v61
	s_or_b32 s10, s8, s10
	s_delay_alu instid0(SALU_CYCLE_1)
	s_and_not1_b32 exec_lo, exec_lo, s10
	s_cbranch_execnz .LBB74_16
; %bb.17:                               ;   in Loop: Header=BB74_2 Depth=1
	s_or_b32 exec_lo, exec_lo, s10
.LBB74_18:                              ;   in Loop: Header=BB74_2 Depth=1
	s_wait_alu 0xfffe
	s_or_b32 exec_lo, exec_lo, s9
	v_add_nc_u32_e32 v65, v63, v6
	v_sub_nc_u32_e32 v67, v30, v63
	v_sub_nc_u32_e32 v66, v37, v63
                                        ; implicit-def: $vgpr63
	ds_load_u8 v61, v65
	ds_load_u8 v62, v67 offset:6
	v_cmp_le_i32_e64 s8, v15, v65
	v_cmp_gt_i32_e64 s10, v16, v66
	s_wait_dscnt 0x1
	v_bfe_i32 v61, v61, 0, 8
	s_wait_dscnt 0x0
	v_bfe_i32 v62, v62, 0, 8
	s_delay_alu instid0(VALU_DEP_1)
	v_cmp_lt_i16_e64 s9, v62, v61
	s_or_b32 s8, s8, s9
	s_wait_alu 0xfffe
	s_and_b32 s8, s10, s8
	s_wait_alu 0xfffe
	s_xor_b32 s9, s8, -1
	s_wait_alu 0xfffe
	s_and_saveexec_b32 s10, s9
	s_delay_alu instid0(SALU_CYCLE_1)
	s_xor_b32 s9, exec_lo, s10
; %bb.19:                               ;   in Loop: Header=BB74_2 Depth=1
	ds_load_u8 v63, v65 offset:1
                                        ; implicit-def: $vgpr67
; %bb.20:                               ;   in Loop: Header=BB74_2 Depth=1
	s_wait_alu 0xfffe
	s_or_saveexec_b32 s9, s9
	v_mov_b32_e32 v64, v62
	s_wait_alu 0xfffe
	s_xor_b32 exec_lo, exec_lo, s9
	s_cbranch_execz .LBB74_22
; %bb.21:                               ;   in Loop: Header=BB74_2 Depth=1
	ds_load_u8 v64, v67 offset:7
	s_wait_dscnt 0x1
	v_mov_b32_e32 v63, v61
.LBB74_22:                              ;   in Loop: Header=BB74_2 Depth=1
	s_or_b32 exec_lo, exec_lo, s9
	v_add_nc_u32_e32 v67, 1, v65
	v_add_nc_u32_e32 v68, 1, v66
	s_wait_dscnt 0x0
	v_bfe_i32 v69, v63, 0, 8
	s_delay_alu instid0(VALU_DEP_3) | instskip(SKIP_2) | instid1(VALU_DEP_3)
	v_cndmask_b32_e64 v67, v67, v65, s8
	v_bfe_i32 v65, v64, 0, 8
	v_cndmask_b32_e64 v66, v66, v68, s8
	v_cmp_ge_i32_e64 s9, v67, v15
	s_delay_alu instid0(VALU_DEP_3) | instskip(NEXT) | instid1(VALU_DEP_3)
	v_cmp_lt_i16_e64 s10, v65, v69
	v_cmp_lt_i32_e64 s11, v66, v16
                                        ; implicit-def: $vgpr65
	s_or_b32 s9, s9, s10
	s_wait_alu 0xfffe
	s_and_b32 s9, s11, s9
	s_wait_alu 0xfffe
	s_xor_b32 s10, s9, -1
	s_delay_alu instid0(SALU_CYCLE_1) | instskip(NEXT) | instid1(SALU_CYCLE_1)
	s_and_saveexec_b32 s11, s10
	s_xor_b32 s10, exec_lo, s11
; %bb.23:                               ;   in Loop: Header=BB74_2 Depth=1
	ds_load_u8 v65, v67 offset:1
; %bb.24:                               ;   in Loop: Header=BB74_2 Depth=1
	s_or_saveexec_b32 s10, s10
	v_mov_b32_e32 v68, v64
	s_xor_b32 exec_lo, exec_lo, s10
	s_cbranch_execz .LBB74_26
; %bb.25:                               ;   in Loop: Header=BB74_2 Depth=1
	ds_load_u8 v68, v66 offset:1
	s_wait_dscnt 0x1
	v_mov_b32_e32 v65, v63
.LBB74_26:                              ;   in Loop: Header=BB74_2 Depth=1
	s_or_b32 exec_lo, exec_lo, s10
	v_add_nc_u32_e32 v69, 1, v67
	v_add_nc_u32_e32 v70, 1, v66
	s_wait_dscnt 0x0
	v_bfe_i32 v71, v65, 0, 8
	v_bfe_i32 v72, v68, 0, 8
	v_cndmask_b32_e64 v64, v63, v64, s9
	v_cndmask_b32_e64 v67, v69, v67, s9
	v_mov_b32_e32 v63, v54
	v_cndmask_b32_e64 v66, v66, v70, s9
	v_cmp_lt_i16_e64 s9, v72, v71
	v_cndmask_b32_e64 v61, v61, v62, s8
	v_cmp_ge_i32_e64 s10, v67, v15
	s_wait_loadcnt 0x0
	v_cmp_lt_i32_e64 s8, v66, v16
	s_barrier_signal -1
	s_barrier_wait -1
	s_or_b32 s9, s10, s9
	global_inv scope:SCOPE_SE
	s_wait_alu 0xfffe
	s_and_b32 s8, s8, s9
	s_wait_alu 0xfffe
	v_cndmask_b32_e64 v62, v65, v68, s8
	ds_store_b8 v1, v61
	ds_store_b8 v1, v64 offset:1
	ds_store_b8 v1, v62 offset:2
	s_wait_loadcnt_dscnt 0x0
	s_barrier_signal -1
	s_barrier_wait -1
	global_inv scope:SCOPE_SE
	s_and_saveexec_b32 s9, s2
	s_cbranch_execz .LBB74_30
; %bb.27:                               ;   in Loop: Header=BB74_2 Depth=1
	v_mov_b32_e32 v63, v54
	v_mov_b32_e32 v61, v46
	s_mov_b32 s10, 0
.LBB74_28:                              ;   Parent Loop BB74_2 Depth=1
                                        ; =>  This Inner Loop Header: Depth=2
	s_delay_alu instid0(VALU_DEP_1) | instskip(NEXT) | instid1(VALU_DEP_1)
	v_sub_nc_u32_e32 v62, v61, v63
	v_lshrrev_b32_e32 v62, 1, v62
	s_delay_alu instid0(VALU_DEP_1) | instskip(NEXT) | instid1(VALU_DEP_1)
	v_add_nc_u32_e32 v62, v62, v63
	v_add_nc_u32_e32 v64, v7, v62
	v_xad_u32 v65, v62, -1, v31
	v_add_nc_u32_e32 v66, 1, v62
	ds_load_i8 v64, v64
	ds_load_i8 v65, v65 offset:12
	s_wait_dscnt 0x0
	v_cmp_lt_i16_e64 s8, v65, v64
	s_wait_alu 0xf1ff
	s_delay_alu instid0(VALU_DEP_1) | instskip(SKIP_1) | instid1(VALU_DEP_1)
	v_cndmask_b32_e64 v61, v61, v62, s8
	v_cndmask_b32_e64 v63, v66, v63, s8
	v_cmp_ge_i32_e64 s8, v63, v61
	s_or_b32 s10, s8, s10
	s_delay_alu instid0(SALU_CYCLE_1)
	s_and_not1_b32 exec_lo, exec_lo, s10
	s_cbranch_execnz .LBB74_28
; %bb.29:                               ;   in Loop: Header=BB74_2 Depth=1
	s_or_b32 exec_lo, exec_lo, s10
.LBB74_30:                              ;   in Loop: Header=BB74_2 Depth=1
	s_wait_alu 0xfffe
	s_or_b32 exec_lo, exec_lo, s9
	v_add_nc_u32_e32 v65, v63, v7
	v_sub_nc_u32_e32 v67, v31, v63
	v_sub_nc_u32_e32 v66, v38, v63
                                        ; implicit-def: $vgpr63
	ds_load_u8 v61, v65
	ds_load_u8 v62, v67 offset:12
	v_cmp_le_i32_e64 s8, v17, v65
	v_cmp_gt_i32_e64 s10, v18, v66
	s_wait_dscnt 0x1
	v_bfe_i32 v61, v61, 0, 8
	s_wait_dscnt 0x0
	v_bfe_i32 v62, v62, 0, 8
	s_delay_alu instid0(VALU_DEP_1)
	v_cmp_lt_i16_e64 s9, v62, v61
	s_or_b32 s8, s8, s9
	s_wait_alu 0xfffe
	s_and_b32 s8, s10, s8
	s_wait_alu 0xfffe
	s_xor_b32 s9, s8, -1
	s_wait_alu 0xfffe
	s_and_saveexec_b32 s10, s9
	s_delay_alu instid0(SALU_CYCLE_1)
	s_xor_b32 s9, exec_lo, s10
; %bb.31:                               ;   in Loop: Header=BB74_2 Depth=1
	ds_load_u8 v63, v65 offset:1
                                        ; implicit-def: $vgpr67
; %bb.32:                               ;   in Loop: Header=BB74_2 Depth=1
	s_wait_alu 0xfffe
	s_or_saveexec_b32 s9, s9
	v_mov_b32_e32 v64, v62
	s_wait_alu 0xfffe
	s_xor_b32 exec_lo, exec_lo, s9
	s_cbranch_execz .LBB74_34
; %bb.33:                               ;   in Loop: Header=BB74_2 Depth=1
	ds_load_u8 v64, v67 offset:13
	s_wait_dscnt 0x1
	v_mov_b32_e32 v63, v61
.LBB74_34:                              ;   in Loop: Header=BB74_2 Depth=1
	s_or_b32 exec_lo, exec_lo, s9
	v_add_nc_u32_e32 v67, 1, v65
	v_add_nc_u32_e32 v68, 1, v66
	s_wait_dscnt 0x0
	v_bfe_i32 v69, v63, 0, 8
	s_delay_alu instid0(VALU_DEP_3) | instskip(SKIP_2) | instid1(VALU_DEP_3)
	v_cndmask_b32_e64 v67, v67, v65, s8
	v_bfe_i32 v65, v64, 0, 8
	v_cndmask_b32_e64 v66, v66, v68, s8
	v_cmp_ge_i32_e64 s9, v67, v17
	s_delay_alu instid0(VALU_DEP_3) | instskip(NEXT) | instid1(VALU_DEP_3)
	v_cmp_lt_i16_e64 s10, v65, v69
	v_cmp_lt_i32_e64 s11, v66, v18
                                        ; implicit-def: $vgpr65
	s_or_b32 s9, s9, s10
	s_wait_alu 0xfffe
	s_and_b32 s9, s11, s9
	s_wait_alu 0xfffe
	s_xor_b32 s10, s9, -1
	s_delay_alu instid0(SALU_CYCLE_1) | instskip(NEXT) | instid1(SALU_CYCLE_1)
	s_and_saveexec_b32 s11, s10
	s_xor_b32 s10, exec_lo, s11
; %bb.35:                               ;   in Loop: Header=BB74_2 Depth=1
	ds_load_u8 v65, v67 offset:1
; %bb.36:                               ;   in Loop: Header=BB74_2 Depth=1
	s_or_saveexec_b32 s10, s10
	v_mov_b32_e32 v68, v64
	s_xor_b32 exec_lo, exec_lo, s10
	s_cbranch_execz .LBB74_38
; %bb.37:                               ;   in Loop: Header=BB74_2 Depth=1
	ds_load_u8 v68, v66 offset:1
	s_wait_dscnt 0x1
	v_mov_b32_e32 v65, v63
.LBB74_38:                              ;   in Loop: Header=BB74_2 Depth=1
	s_or_b32 exec_lo, exec_lo, s10
	v_add_nc_u32_e32 v69, 1, v67
	v_add_nc_u32_e32 v70, 1, v66
	s_wait_dscnt 0x0
	v_bfe_i32 v71, v65, 0, 8
	v_bfe_i32 v72, v68, 0, 8
	v_cndmask_b32_e64 v64, v63, v64, s9
	v_cndmask_b32_e64 v67, v69, v67, s9
	v_mov_b32_e32 v63, v55
	v_cndmask_b32_e64 v66, v66, v70, s9
	v_cmp_lt_i16_e64 s9, v72, v71
	v_cndmask_b32_e64 v61, v61, v62, s8
	v_cmp_ge_i32_e64 s10, v67, v17
	s_wait_loadcnt 0x0
	v_cmp_lt_i32_e64 s8, v66, v18
	s_barrier_signal -1
	s_barrier_wait -1
	s_or_b32 s9, s10, s9
	global_inv scope:SCOPE_SE
	s_wait_alu 0xfffe
	s_and_b32 s8, s8, s9
	s_wait_alu 0xfffe
	v_cndmask_b32_e64 v62, v65, v68, s8
	ds_store_b8 v1, v61
	ds_store_b8 v1, v64 offset:1
	ds_store_b8 v1, v62 offset:2
	s_wait_loadcnt_dscnt 0x0
	s_barrier_signal -1
	s_barrier_wait -1
	global_inv scope:SCOPE_SE
	s_and_saveexec_b32 s9, s3
	s_cbranch_execz .LBB74_42
; %bb.39:                               ;   in Loop: Header=BB74_2 Depth=1
	v_mov_b32_e32 v63, v55
	v_mov_b32_e32 v61, v47
	s_mov_b32 s10, 0
.LBB74_40:                              ;   Parent Loop BB74_2 Depth=1
                                        ; =>  This Inner Loop Header: Depth=2
	s_delay_alu instid0(VALU_DEP_1) | instskip(NEXT) | instid1(VALU_DEP_1)
	v_sub_nc_u32_e32 v62, v61, v63
	v_lshrrev_b32_e32 v62, 1, v62
	s_delay_alu instid0(VALU_DEP_1) | instskip(NEXT) | instid1(VALU_DEP_1)
	v_add_nc_u32_e32 v62, v62, v63
	v_add_nc_u32_e32 v64, v8, v62
	v_xad_u32 v65, v62, -1, v32
	v_add_nc_u32_e32 v66, 1, v62
	ds_load_i8 v64, v64
	ds_load_i8 v65, v65 offset:24
	s_wait_dscnt 0x0
	v_cmp_lt_i16_e64 s8, v65, v64
	s_wait_alu 0xf1ff
	s_delay_alu instid0(VALU_DEP_1) | instskip(SKIP_1) | instid1(VALU_DEP_1)
	v_cndmask_b32_e64 v61, v61, v62, s8
	v_cndmask_b32_e64 v63, v66, v63, s8
	v_cmp_ge_i32_e64 s8, v63, v61
	s_or_b32 s10, s8, s10
	s_delay_alu instid0(SALU_CYCLE_1)
	s_and_not1_b32 exec_lo, exec_lo, s10
	s_cbranch_execnz .LBB74_40
; %bb.41:                               ;   in Loop: Header=BB74_2 Depth=1
	s_or_b32 exec_lo, exec_lo, s10
.LBB74_42:                              ;   in Loop: Header=BB74_2 Depth=1
	s_wait_alu 0xfffe
	s_or_b32 exec_lo, exec_lo, s9
	v_add_nc_u32_e32 v65, v63, v8
	v_sub_nc_u32_e32 v67, v32, v63
	v_sub_nc_u32_e32 v66, v39, v63
                                        ; implicit-def: $vgpr63
	ds_load_u8 v61, v65
	ds_load_u8 v62, v67 offset:24
	v_cmp_le_i32_e64 s8, v19, v65
	v_cmp_gt_i32_e64 s10, v20, v66
	s_wait_dscnt 0x1
	v_bfe_i32 v61, v61, 0, 8
	s_wait_dscnt 0x0
	v_bfe_i32 v62, v62, 0, 8
	s_delay_alu instid0(VALU_DEP_1)
	v_cmp_lt_i16_e64 s9, v62, v61
	s_or_b32 s8, s8, s9
	s_wait_alu 0xfffe
	s_and_b32 s8, s10, s8
	s_wait_alu 0xfffe
	s_xor_b32 s9, s8, -1
	s_wait_alu 0xfffe
	s_and_saveexec_b32 s10, s9
	s_delay_alu instid0(SALU_CYCLE_1)
	s_xor_b32 s9, exec_lo, s10
; %bb.43:                               ;   in Loop: Header=BB74_2 Depth=1
	ds_load_u8 v63, v65 offset:1
                                        ; implicit-def: $vgpr67
; %bb.44:                               ;   in Loop: Header=BB74_2 Depth=1
	s_wait_alu 0xfffe
	s_or_saveexec_b32 s9, s9
	v_mov_b32_e32 v64, v62
	s_wait_alu 0xfffe
	s_xor_b32 exec_lo, exec_lo, s9
	s_cbranch_execz .LBB74_46
; %bb.45:                               ;   in Loop: Header=BB74_2 Depth=1
	ds_load_u8 v64, v67 offset:25
	s_wait_dscnt 0x1
	v_mov_b32_e32 v63, v61
.LBB74_46:                              ;   in Loop: Header=BB74_2 Depth=1
	s_or_b32 exec_lo, exec_lo, s9
	v_add_nc_u32_e32 v67, 1, v65
	v_add_nc_u32_e32 v68, 1, v66
	s_wait_dscnt 0x0
	v_bfe_i32 v69, v63, 0, 8
	s_delay_alu instid0(VALU_DEP_3) | instskip(SKIP_2) | instid1(VALU_DEP_3)
	v_cndmask_b32_e64 v67, v67, v65, s8
	v_bfe_i32 v65, v64, 0, 8
	v_cndmask_b32_e64 v66, v66, v68, s8
	v_cmp_ge_i32_e64 s9, v67, v19
	s_delay_alu instid0(VALU_DEP_3) | instskip(NEXT) | instid1(VALU_DEP_3)
	v_cmp_lt_i16_e64 s10, v65, v69
	v_cmp_lt_i32_e64 s11, v66, v20
                                        ; implicit-def: $vgpr65
	s_or_b32 s9, s9, s10
	s_wait_alu 0xfffe
	s_and_b32 s9, s11, s9
	s_wait_alu 0xfffe
	s_xor_b32 s10, s9, -1
	s_delay_alu instid0(SALU_CYCLE_1) | instskip(NEXT) | instid1(SALU_CYCLE_1)
	s_and_saveexec_b32 s11, s10
	s_xor_b32 s10, exec_lo, s11
; %bb.47:                               ;   in Loop: Header=BB74_2 Depth=1
	ds_load_u8 v65, v67 offset:1
; %bb.48:                               ;   in Loop: Header=BB74_2 Depth=1
	s_or_saveexec_b32 s10, s10
	v_mov_b32_e32 v68, v64
	s_xor_b32 exec_lo, exec_lo, s10
	s_cbranch_execz .LBB74_50
; %bb.49:                               ;   in Loop: Header=BB74_2 Depth=1
	ds_load_u8 v68, v66 offset:1
	s_wait_dscnt 0x1
	v_mov_b32_e32 v65, v63
.LBB74_50:                              ;   in Loop: Header=BB74_2 Depth=1
	s_or_b32 exec_lo, exec_lo, s10
	v_add_nc_u32_e32 v69, 1, v67
	v_add_nc_u32_e32 v70, 1, v66
	s_wait_dscnt 0x0
	v_bfe_i32 v71, v65, 0, 8
	v_bfe_i32 v72, v68, 0, 8
	v_cndmask_b32_e64 v64, v63, v64, s9
	v_cndmask_b32_e64 v67, v69, v67, s9
	v_mov_b32_e32 v63, v56
	v_cndmask_b32_e64 v66, v66, v70, s9
	v_cmp_lt_i16_e64 s9, v72, v71
	v_cndmask_b32_e64 v61, v61, v62, s8
	v_cmp_ge_i32_e64 s10, v67, v19
	s_wait_loadcnt 0x0
	v_cmp_lt_i32_e64 s8, v66, v20
	s_barrier_signal -1
	s_barrier_wait -1
	s_or_b32 s9, s10, s9
	global_inv scope:SCOPE_SE
	s_wait_alu 0xfffe
	s_and_b32 s8, s8, s9
	s_wait_alu 0xfffe
	v_cndmask_b32_e64 v62, v65, v68, s8
	ds_store_b8 v1, v61
	ds_store_b8 v1, v64 offset:1
	ds_store_b8 v1, v62 offset:2
	s_wait_loadcnt_dscnt 0x0
	s_barrier_signal -1
	s_barrier_wait -1
	global_inv scope:SCOPE_SE
	s_and_saveexec_b32 s9, s4
	s_cbranch_execz .LBB74_54
; %bb.51:                               ;   in Loop: Header=BB74_2 Depth=1
	v_mov_b32_e32 v63, v56
	v_mov_b32_e32 v61, v48
	s_mov_b32 s10, 0
.LBB74_52:                              ;   Parent Loop BB74_2 Depth=1
                                        ; =>  This Inner Loop Header: Depth=2
	s_delay_alu instid0(VALU_DEP_1) | instskip(NEXT) | instid1(VALU_DEP_1)
	v_sub_nc_u32_e32 v62, v61, v63
	v_lshrrev_b32_e32 v62, 1, v62
	s_delay_alu instid0(VALU_DEP_1) | instskip(NEXT) | instid1(VALU_DEP_1)
	v_add_nc_u32_e32 v62, v62, v63
	v_add_nc_u32_e32 v64, v9, v62
	v_xad_u32 v65, v62, -1, v33
	v_add_nc_u32_e32 v66, 1, v62
	ds_load_i8 v64, v64
	ds_load_i8 v65, v65 offset:48
	s_wait_dscnt 0x0
	v_cmp_lt_i16_e64 s8, v65, v64
	s_wait_alu 0xf1ff
	s_delay_alu instid0(VALU_DEP_1) | instskip(SKIP_1) | instid1(VALU_DEP_1)
	v_cndmask_b32_e64 v61, v61, v62, s8
	v_cndmask_b32_e64 v63, v66, v63, s8
	v_cmp_ge_i32_e64 s8, v63, v61
	s_or_b32 s10, s8, s10
	s_delay_alu instid0(SALU_CYCLE_1)
	s_and_not1_b32 exec_lo, exec_lo, s10
	s_cbranch_execnz .LBB74_52
; %bb.53:                               ;   in Loop: Header=BB74_2 Depth=1
	s_or_b32 exec_lo, exec_lo, s10
.LBB74_54:                              ;   in Loop: Header=BB74_2 Depth=1
	s_wait_alu 0xfffe
	s_or_b32 exec_lo, exec_lo, s9
	v_add_nc_u32_e32 v65, v63, v9
	v_sub_nc_u32_e32 v67, v33, v63
	v_sub_nc_u32_e32 v66, v40, v63
                                        ; implicit-def: $vgpr63
	ds_load_u8 v61, v65
	ds_load_u8 v62, v67 offset:48
	v_cmp_le_i32_e64 s8, v21, v65
	v_cmp_gt_i32_e64 s10, v22, v66
	s_wait_dscnt 0x1
	v_bfe_i32 v61, v61, 0, 8
	s_wait_dscnt 0x0
	v_bfe_i32 v62, v62, 0, 8
	s_delay_alu instid0(VALU_DEP_1)
	v_cmp_lt_i16_e64 s9, v62, v61
	s_or_b32 s8, s8, s9
	s_wait_alu 0xfffe
	s_and_b32 s8, s10, s8
	s_wait_alu 0xfffe
	s_xor_b32 s9, s8, -1
	s_wait_alu 0xfffe
	s_and_saveexec_b32 s10, s9
	s_delay_alu instid0(SALU_CYCLE_1)
	s_xor_b32 s9, exec_lo, s10
; %bb.55:                               ;   in Loop: Header=BB74_2 Depth=1
	ds_load_u8 v63, v65 offset:1
                                        ; implicit-def: $vgpr67
; %bb.56:                               ;   in Loop: Header=BB74_2 Depth=1
	s_wait_alu 0xfffe
	s_or_saveexec_b32 s9, s9
	v_mov_b32_e32 v64, v62
	s_wait_alu 0xfffe
	s_xor_b32 exec_lo, exec_lo, s9
	s_cbranch_execz .LBB74_58
; %bb.57:                               ;   in Loop: Header=BB74_2 Depth=1
	ds_load_u8 v64, v67 offset:49
	s_wait_dscnt 0x1
	v_mov_b32_e32 v63, v61
.LBB74_58:                              ;   in Loop: Header=BB74_2 Depth=1
	s_or_b32 exec_lo, exec_lo, s9
	v_add_nc_u32_e32 v67, 1, v65
	v_add_nc_u32_e32 v68, 1, v66
	s_wait_dscnt 0x0
	v_bfe_i32 v69, v63, 0, 8
	s_delay_alu instid0(VALU_DEP_3) | instskip(SKIP_2) | instid1(VALU_DEP_3)
	v_cndmask_b32_e64 v67, v67, v65, s8
	v_bfe_i32 v65, v64, 0, 8
	v_cndmask_b32_e64 v66, v66, v68, s8
	v_cmp_ge_i32_e64 s9, v67, v21
	s_delay_alu instid0(VALU_DEP_3) | instskip(NEXT) | instid1(VALU_DEP_3)
	v_cmp_lt_i16_e64 s10, v65, v69
	v_cmp_lt_i32_e64 s11, v66, v22
                                        ; implicit-def: $vgpr65
	s_or_b32 s9, s9, s10
	s_wait_alu 0xfffe
	s_and_b32 s9, s11, s9
	s_wait_alu 0xfffe
	s_xor_b32 s10, s9, -1
	s_delay_alu instid0(SALU_CYCLE_1) | instskip(NEXT) | instid1(SALU_CYCLE_1)
	s_and_saveexec_b32 s11, s10
	s_xor_b32 s10, exec_lo, s11
; %bb.59:                               ;   in Loop: Header=BB74_2 Depth=1
	ds_load_u8 v65, v67 offset:1
; %bb.60:                               ;   in Loop: Header=BB74_2 Depth=1
	s_or_saveexec_b32 s10, s10
	v_mov_b32_e32 v68, v64
	s_xor_b32 exec_lo, exec_lo, s10
	s_cbranch_execz .LBB74_62
; %bb.61:                               ;   in Loop: Header=BB74_2 Depth=1
	ds_load_u8 v68, v66 offset:1
	s_wait_dscnt 0x1
	v_mov_b32_e32 v65, v63
.LBB74_62:                              ;   in Loop: Header=BB74_2 Depth=1
	s_or_b32 exec_lo, exec_lo, s10
	v_add_nc_u32_e32 v69, 1, v67
	v_add_nc_u32_e32 v70, 1, v66
	s_wait_dscnt 0x0
	v_bfe_i32 v71, v65, 0, 8
	v_bfe_i32 v72, v68, 0, 8
	v_cndmask_b32_e64 v64, v63, v64, s9
	v_cndmask_b32_e64 v67, v69, v67, s9
	v_mov_b32_e32 v63, v57
	v_cndmask_b32_e64 v66, v66, v70, s9
	v_cmp_lt_i16_e64 s9, v72, v71
	v_cndmask_b32_e64 v61, v61, v62, s8
	v_cmp_ge_i32_e64 s10, v67, v21
	s_wait_loadcnt 0x0
	v_cmp_lt_i32_e64 s8, v66, v22
	s_barrier_signal -1
	s_barrier_wait -1
	s_or_b32 s9, s10, s9
	global_inv scope:SCOPE_SE
	s_wait_alu 0xfffe
	s_and_b32 s8, s8, s9
	s_wait_alu 0xfffe
	v_cndmask_b32_e64 v62, v65, v68, s8
	ds_store_b8 v1, v61
	ds_store_b8 v1, v64 offset:1
	ds_store_b8 v1, v62 offset:2
	s_wait_loadcnt_dscnt 0x0
	s_barrier_signal -1
	s_barrier_wait -1
	global_inv scope:SCOPE_SE
	s_and_saveexec_b32 s9, s5
	s_cbranch_execz .LBB74_66
; %bb.63:                               ;   in Loop: Header=BB74_2 Depth=1
	v_mov_b32_e32 v63, v57
	v_mov_b32_e32 v61, v49
	s_mov_b32 s10, 0
.LBB74_64:                              ;   Parent Loop BB74_2 Depth=1
                                        ; =>  This Inner Loop Header: Depth=2
	s_delay_alu instid0(VALU_DEP_1) | instskip(NEXT) | instid1(VALU_DEP_1)
	v_sub_nc_u32_e32 v62, v61, v63
	v_lshrrev_b32_e32 v62, 1, v62
	s_delay_alu instid0(VALU_DEP_1) | instskip(NEXT) | instid1(VALU_DEP_1)
	v_add_nc_u32_e32 v62, v62, v63
	v_add_nc_u32_e32 v64, v10, v62
	v_xad_u32 v65, v62, -1, v34
	v_add_nc_u32_e32 v66, 1, v62
	ds_load_i8 v64, v64
	ds_load_i8 v65, v65 offset:96
	s_wait_dscnt 0x0
	v_cmp_lt_i16_e64 s8, v65, v64
	s_wait_alu 0xf1ff
	s_delay_alu instid0(VALU_DEP_1) | instskip(SKIP_1) | instid1(VALU_DEP_1)
	v_cndmask_b32_e64 v61, v61, v62, s8
	v_cndmask_b32_e64 v63, v66, v63, s8
	v_cmp_ge_i32_e64 s8, v63, v61
	s_or_b32 s10, s8, s10
	s_delay_alu instid0(SALU_CYCLE_1)
	s_and_not1_b32 exec_lo, exec_lo, s10
	s_cbranch_execnz .LBB74_64
; %bb.65:                               ;   in Loop: Header=BB74_2 Depth=1
	s_or_b32 exec_lo, exec_lo, s10
.LBB74_66:                              ;   in Loop: Header=BB74_2 Depth=1
	s_wait_alu 0xfffe
	s_or_b32 exec_lo, exec_lo, s9
	v_add_nc_u32_e32 v65, v63, v10
	v_sub_nc_u32_e32 v67, v34, v63
	v_sub_nc_u32_e32 v66, v41, v63
                                        ; implicit-def: $vgpr63
	ds_load_u8 v61, v65
	ds_load_u8 v62, v67 offset:96
	v_cmp_le_i32_e64 s8, v23, v65
	v_cmp_gt_i32_e64 s10, v24, v66
	s_wait_dscnt 0x1
	v_bfe_i32 v61, v61, 0, 8
	s_wait_dscnt 0x0
	v_bfe_i32 v62, v62, 0, 8
	s_delay_alu instid0(VALU_DEP_1)
	v_cmp_lt_i16_e64 s9, v62, v61
	s_or_b32 s8, s8, s9
	s_wait_alu 0xfffe
	s_and_b32 s8, s10, s8
	s_wait_alu 0xfffe
	s_xor_b32 s9, s8, -1
	s_wait_alu 0xfffe
	s_and_saveexec_b32 s10, s9
	s_delay_alu instid0(SALU_CYCLE_1)
	s_xor_b32 s9, exec_lo, s10
; %bb.67:                               ;   in Loop: Header=BB74_2 Depth=1
	ds_load_u8 v63, v65 offset:1
                                        ; implicit-def: $vgpr67
; %bb.68:                               ;   in Loop: Header=BB74_2 Depth=1
	s_wait_alu 0xfffe
	s_or_saveexec_b32 s9, s9
	v_mov_b32_e32 v64, v62
	s_wait_alu 0xfffe
	s_xor_b32 exec_lo, exec_lo, s9
	s_cbranch_execz .LBB74_70
; %bb.69:                               ;   in Loop: Header=BB74_2 Depth=1
	ds_load_u8 v64, v67 offset:97
	s_wait_dscnt 0x1
	v_mov_b32_e32 v63, v61
.LBB74_70:                              ;   in Loop: Header=BB74_2 Depth=1
	s_or_b32 exec_lo, exec_lo, s9
	v_add_nc_u32_e32 v67, 1, v65
	v_add_nc_u32_e32 v68, 1, v66
	s_wait_dscnt 0x0
	v_bfe_i32 v69, v63, 0, 8
	s_delay_alu instid0(VALU_DEP_3) | instskip(SKIP_2) | instid1(VALU_DEP_3)
	v_cndmask_b32_e64 v67, v67, v65, s8
	v_bfe_i32 v65, v64, 0, 8
	v_cndmask_b32_e64 v66, v66, v68, s8
	v_cmp_ge_i32_e64 s9, v67, v23
	s_delay_alu instid0(VALU_DEP_3) | instskip(NEXT) | instid1(VALU_DEP_3)
	v_cmp_lt_i16_e64 s10, v65, v69
	v_cmp_lt_i32_e64 s11, v66, v24
                                        ; implicit-def: $vgpr65
	s_or_b32 s9, s9, s10
	s_wait_alu 0xfffe
	s_and_b32 s9, s11, s9
	s_wait_alu 0xfffe
	s_xor_b32 s10, s9, -1
	s_delay_alu instid0(SALU_CYCLE_1) | instskip(NEXT) | instid1(SALU_CYCLE_1)
	s_and_saveexec_b32 s11, s10
	s_xor_b32 s10, exec_lo, s11
; %bb.71:                               ;   in Loop: Header=BB74_2 Depth=1
	ds_load_u8 v65, v67 offset:1
; %bb.72:                               ;   in Loop: Header=BB74_2 Depth=1
	s_or_saveexec_b32 s10, s10
	v_mov_b32_e32 v68, v64
	s_xor_b32 exec_lo, exec_lo, s10
	s_cbranch_execz .LBB74_74
; %bb.73:                               ;   in Loop: Header=BB74_2 Depth=1
	ds_load_u8 v68, v66 offset:1
	s_wait_dscnt 0x1
	v_mov_b32_e32 v65, v63
.LBB74_74:                              ;   in Loop: Header=BB74_2 Depth=1
	s_or_b32 exec_lo, exec_lo, s10
	v_add_nc_u32_e32 v69, 1, v67
	v_add_nc_u32_e32 v70, 1, v66
	s_wait_dscnt 0x0
	v_bfe_i32 v71, v65, 0, 8
	v_bfe_i32 v72, v68, 0, 8
	v_cndmask_b32_e64 v64, v63, v64, s9
	v_cndmask_b32_e64 v67, v69, v67, s9
	v_mov_b32_e32 v63, v58
	v_cndmask_b32_e64 v66, v66, v70, s9
	v_cmp_lt_i16_e64 s9, v72, v71
	v_cndmask_b32_e64 v61, v61, v62, s8
	v_cmp_ge_i32_e64 s10, v67, v23
	s_wait_loadcnt 0x0
	v_cmp_lt_i32_e64 s8, v66, v24
	s_barrier_signal -1
	s_barrier_wait -1
	s_or_b32 s9, s10, s9
	global_inv scope:SCOPE_SE
	s_wait_alu 0xfffe
	s_and_b32 s8, s8, s9
	s_wait_alu 0xfffe
	v_cndmask_b32_e64 v62, v65, v68, s8
	ds_store_b8 v1, v61
	ds_store_b8 v1, v64 offset:1
	ds_store_b8 v1, v62 offset:2
	s_wait_loadcnt_dscnt 0x0
	s_barrier_signal -1
	s_barrier_wait -1
	global_inv scope:SCOPE_SE
	s_and_saveexec_b32 s9, s6
	s_cbranch_execz .LBB74_78
; %bb.75:                               ;   in Loop: Header=BB74_2 Depth=1
	v_mov_b32_e32 v63, v58
	v_mov_b32_e32 v61, v50
	s_mov_b32 s10, 0
.LBB74_76:                              ;   Parent Loop BB74_2 Depth=1
                                        ; =>  This Inner Loop Header: Depth=2
	s_delay_alu instid0(VALU_DEP_1) | instskip(NEXT) | instid1(VALU_DEP_1)
	v_sub_nc_u32_e32 v62, v61, v63
	v_lshrrev_b32_e32 v62, 1, v62
	s_delay_alu instid0(VALU_DEP_1) | instskip(NEXT) | instid1(VALU_DEP_1)
	v_add_nc_u32_e32 v62, v62, v63
	v_add_nc_u32_e32 v64, v11, v62
	v_xad_u32 v65, v62, -1, v35
	v_add_nc_u32_e32 v66, 1, v62
	ds_load_i8 v64, v64
	ds_load_i8 v65, v65 offset:192
	s_wait_dscnt 0x0
	v_cmp_lt_i16_e64 s8, v65, v64
	s_wait_alu 0xf1ff
	s_delay_alu instid0(VALU_DEP_1) | instskip(SKIP_1) | instid1(VALU_DEP_1)
	v_cndmask_b32_e64 v61, v61, v62, s8
	v_cndmask_b32_e64 v63, v66, v63, s8
	v_cmp_ge_i32_e64 s8, v63, v61
	s_or_b32 s10, s8, s10
	s_delay_alu instid0(SALU_CYCLE_1)
	s_and_not1_b32 exec_lo, exec_lo, s10
	s_cbranch_execnz .LBB74_76
; %bb.77:                               ;   in Loop: Header=BB74_2 Depth=1
	s_or_b32 exec_lo, exec_lo, s10
.LBB74_78:                              ;   in Loop: Header=BB74_2 Depth=1
	s_wait_alu 0xfffe
	s_or_b32 exec_lo, exec_lo, s9
	v_add_nc_u32_e32 v65, v63, v11
	v_sub_nc_u32_e32 v67, v35, v63
	v_sub_nc_u32_e32 v66, v42, v63
                                        ; implicit-def: $vgpr63
	ds_load_u8 v61, v65
	ds_load_u8 v62, v67 offset:192
	v_cmp_le_i32_e64 s8, v25, v65
	v_cmp_gt_i32_e64 s10, v26, v66
	s_wait_dscnt 0x1
	v_bfe_i32 v61, v61, 0, 8
	s_wait_dscnt 0x0
	v_bfe_i32 v62, v62, 0, 8
	s_delay_alu instid0(VALU_DEP_1)
	v_cmp_lt_i16_e64 s9, v62, v61
	s_or_b32 s8, s8, s9
	s_wait_alu 0xfffe
	s_and_b32 s8, s10, s8
	s_wait_alu 0xfffe
	s_xor_b32 s9, s8, -1
	s_wait_alu 0xfffe
	s_and_saveexec_b32 s10, s9
	s_delay_alu instid0(SALU_CYCLE_1)
	s_xor_b32 s9, exec_lo, s10
; %bb.79:                               ;   in Loop: Header=BB74_2 Depth=1
	ds_load_u8 v63, v65 offset:1
                                        ; implicit-def: $vgpr67
; %bb.80:                               ;   in Loop: Header=BB74_2 Depth=1
	s_wait_alu 0xfffe
	s_or_saveexec_b32 s9, s9
	v_mov_b32_e32 v64, v62
	s_wait_alu 0xfffe
	s_xor_b32 exec_lo, exec_lo, s9
	s_cbranch_execz .LBB74_82
; %bb.81:                               ;   in Loop: Header=BB74_2 Depth=1
	ds_load_u8 v64, v67 offset:193
	s_wait_dscnt 0x1
	v_mov_b32_e32 v63, v61
.LBB74_82:                              ;   in Loop: Header=BB74_2 Depth=1
	s_or_b32 exec_lo, exec_lo, s9
	v_add_nc_u32_e32 v67, 1, v65
	v_add_nc_u32_e32 v68, 1, v66
	s_wait_dscnt 0x0
	v_bfe_i32 v69, v63, 0, 8
	s_delay_alu instid0(VALU_DEP_3) | instskip(SKIP_2) | instid1(VALU_DEP_3)
	v_cndmask_b32_e64 v67, v67, v65, s8
	v_bfe_i32 v65, v64, 0, 8
	v_cndmask_b32_e64 v66, v66, v68, s8
	v_cmp_ge_i32_e64 s9, v67, v25
	s_delay_alu instid0(VALU_DEP_3) | instskip(NEXT) | instid1(VALU_DEP_3)
	v_cmp_lt_i16_e64 s10, v65, v69
	v_cmp_lt_i32_e64 s11, v66, v26
                                        ; implicit-def: $vgpr65
	s_or_b32 s9, s9, s10
	s_wait_alu 0xfffe
	s_and_b32 s9, s11, s9
	s_wait_alu 0xfffe
	s_xor_b32 s10, s9, -1
	s_delay_alu instid0(SALU_CYCLE_1) | instskip(NEXT) | instid1(SALU_CYCLE_1)
	s_and_saveexec_b32 s11, s10
	s_xor_b32 s10, exec_lo, s11
; %bb.83:                               ;   in Loop: Header=BB74_2 Depth=1
	ds_load_u8 v65, v67 offset:1
; %bb.84:                               ;   in Loop: Header=BB74_2 Depth=1
	s_or_saveexec_b32 s10, s10
	v_mov_b32_e32 v68, v64
	s_xor_b32 exec_lo, exec_lo, s10
	s_cbranch_execz .LBB74_86
; %bb.85:                               ;   in Loop: Header=BB74_2 Depth=1
	ds_load_u8 v68, v66 offset:1
	s_wait_dscnt 0x1
	v_mov_b32_e32 v65, v63
.LBB74_86:                              ;   in Loop: Header=BB74_2 Depth=1
	s_or_b32 exec_lo, exec_lo, s10
	v_add_nc_u32_e32 v69, 1, v67
	v_add_nc_u32_e32 v70, 1, v66
	s_wait_dscnt 0x0
	v_bfe_i32 v71, v65, 0, 8
	v_bfe_i32 v72, v68, 0, 8
	v_cndmask_b32_e64 v64, v63, v64, s9
	v_cndmask_b32_e64 v67, v69, v67, s9
	v_mov_b32_e32 v63, v59
	v_cndmask_b32_e64 v66, v66, v70, s9
	v_cmp_lt_i16_e64 s9, v72, v71
	v_cndmask_b32_e64 v61, v61, v62, s8
	v_cmp_ge_i32_e64 s10, v67, v25
	s_wait_loadcnt 0x0
	v_cmp_lt_i32_e64 s8, v66, v26
	s_barrier_signal -1
	s_barrier_wait -1
	s_or_b32 s9, s10, s9
	global_inv scope:SCOPE_SE
	s_wait_alu 0xfffe
	s_and_b32 s8, s8, s9
	s_wait_alu 0xfffe
	v_cndmask_b32_e64 v62, v65, v68, s8
	ds_store_b8 v1, v61
	ds_store_b8 v1, v64 offset:1
	ds_store_b8 v1, v62 offset:2
	s_wait_loadcnt_dscnt 0x0
	s_barrier_signal -1
	s_barrier_wait -1
	global_inv scope:SCOPE_SE
	s_and_saveexec_b32 s9, s7
	s_cbranch_execz .LBB74_90
; %bb.87:                               ;   in Loop: Header=BB74_2 Depth=1
	v_mov_b32_e32 v63, v59
	v_mov_b32_e32 v61, v51
	s_mov_b32 s10, 0
.LBB74_88:                              ;   Parent Loop BB74_2 Depth=1
                                        ; =>  This Inner Loop Header: Depth=2
	s_delay_alu instid0(VALU_DEP_1) | instskip(NEXT) | instid1(VALU_DEP_1)
	v_sub_nc_u32_e32 v62, v61, v63
	v_lshrrev_b32_e32 v62, 1, v62
	s_delay_alu instid0(VALU_DEP_1) | instskip(NEXT) | instid1(VALU_DEP_1)
	v_add_nc_u32_e32 v62, v62, v63
	v_add_nc_u32_e32 v64, v12, v62
	v_xad_u32 v65, v62, -1, v60
	v_add_nc_u32_e32 v66, 1, v62
	ds_load_i8 v64, v64
	ds_load_i8 v65, v65 offset:384
	s_wait_dscnt 0x0
	v_cmp_lt_i16_e64 s8, v65, v64
	s_wait_alu 0xf1ff
	s_delay_alu instid0(VALU_DEP_1) | instskip(SKIP_1) | instid1(VALU_DEP_1)
	v_cndmask_b32_e64 v61, v61, v62, s8
	v_cndmask_b32_e64 v63, v66, v63, s8
	v_cmp_ge_i32_e64 s8, v63, v61
	s_or_b32 s10, s8, s10
	s_delay_alu instid0(SALU_CYCLE_1)
	s_and_not1_b32 exec_lo, exec_lo, s10
	s_cbranch_execnz .LBB74_88
; %bb.89:                               ;   in Loop: Header=BB74_2 Depth=1
	s_or_b32 exec_lo, exec_lo, s10
.LBB74_90:                              ;   in Loop: Header=BB74_2 Depth=1
	s_wait_alu 0xfffe
	s_or_b32 exec_lo, exec_lo, s9
	v_add_nc_u32_e32 v65, v63, v12
	v_sub_nc_u32_e32 v67, v60, v63
	v_sub_nc_u32_e32 v66, v43, v63
                                        ; implicit-def: $vgpr63
	ds_load_u8 v61, v65
	ds_load_u8 v62, v67 offset:384
	v_cmp_le_i32_e64 s8, v27, v65
	v_cmp_gt_i32_e64 s10, v28, v66
	s_wait_dscnt 0x1
	v_bfe_i32 v61, v61, 0, 8
	s_wait_dscnt 0x0
	v_bfe_i32 v62, v62, 0, 8
	s_delay_alu instid0(VALU_DEP_1)
	v_cmp_lt_i16_e64 s9, v62, v61
	s_or_b32 s8, s8, s9
	s_wait_alu 0xfffe
	s_and_b32 s8, s10, s8
	s_wait_alu 0xfffe
	s_xor_b32 s9, s8, -1
	s_wait_alu 0xfffe
	s_and_saveexec_b32 s10, s9
	s_delay_alu instid0(SALU_CYCLE_1)
	s_xor_b32 s9, exec_lo, s10
; %bb.91:                               ;   in Loop: Header=BB74_2 Depth=1
	ds_load_u8 v63, v65 offset:1
                                        ; implicit-def: $vgpr67
; %bb.92:                               ;   in Loop: Header=BB74_2 Depth=1
	s_wait_alu 0xfffe
	s_or_saveexec_b32 s9, s9
	v_mov_b32_e32 v64, v62
	s_wait_alu 0xfffe
	s_xor_b32 exec_lo, exec_lo, s9
	s_cbranch_execz .LBB74_94
; %bb.93:                               ;   in Loop: Header=BB74_2 Depth=1
	ds_load_u8 v64, v67 offset:385
	s_wait_dscnt 0x1
	v_mov_b32_e32 v63, v61
.LBB74_94:                              ;   in Loop: Header=BB74_2 Depth=1
	s_or_b32 exec_lo, exec_lo, s9
	v_add_nc_u32_e32 v67, 1, v65
	v_add_nc_u32_e32 v68, 1, v66
	s_wait_dscnt 0x0
	v_bfe_i32 v69, v63, 0, 8
	s_delay_alu instid0(VALU_DEP_3) | instskip(SKIP_2) | instid1(VALU_DEP_3)
	v_cndmask_b32_e64 v67, v67, v65, s8
	v_bfe_i32 v65, v64, 0, 8
	v_cndmask_b32_e64 v66, v66, v68, s8
	v_cmp_ge_i32_e64 s9, v67, v27
	s_delay_alu instid0(VALU_DEP_3) | instskip(NEXT) | instid1(VALU_DEP_3)
	v_cmp_lt_i16_e64 s10, v65, v69
	v_cmp_lt_i32_e64 s11, v66, v28
                                        ; implicit-def: $vgpr65
	s_or_b32 s9, s9, s10
	s_wait_alu 0xfffe
	s_and_b32 s9, s11, s9
	s_wait_alu 0xfffe
	s_xor_b32 s10, s9, -1
	s_delay_alu instid0(SALU_CYCLE_1) | instskip(NEXT) | instid1(SALU_CYCLE_1)
	s_and_saveexec_b32 s11, s10
	s_xor_b32 s10, exec_lo, s11
; %bb.95:                               ;   in Loop: Header=BB74_2 Depth=1
	ds_load_u8 v65, v67 offset:1
; %bb.96:                               ;   in Loop: Header=BB74_2 Depth=1
	s_or_saveexec_b32 s10, s10
	v_mov_b32_e32 v68, v64
	s_xor_b32 exec_lo, exec_lo, s10
	s_cbranch_execz .LBB74_98
; %bb.97:                               ;   in Loop: Header=BB74_2 Depth=1
	ds_load_u8 v68, v66 offset:1
	s_wait_dscnt 0x1
	v_mov_b32_e32 v65, v63
.LBB74_98:                              ;   in Loop: Header=BB74_2 Depth=1
	s_or_b32 exec_lo, exec_lo, s10
	v_add_nc_u32_e32 v69, 1, v67
	v_add_nc_u32_e32 v70, 1, v66
	s_wait_dscnt 0x0
	v_bfe_i32 v71, v65, 0, 8
	v_bfe_i32 v72, v68, 0, 8
	v_cndmask_b32_e64 v64, v63, v64, s9
	v_cndmask_b32_e64 v67, v69, v67, s9
	v_mov_b32_e32 v63, v3
	v_cndmask_b32_e64 v66, v66, v70, s9
	v_cmp_lt_i16_e64 s9, v72, v71
	v_cndmask_b32_e64 v61, v61, v62, s8
	v_cmp_ge_i32_e64 s10, v67, v27
	s_wait_loadcnt 0x0
	v_cmp_lt_i32_e64 s8, v66, v28
	s_barrier_signal -1
	s_barrier_wait -1
	s_or_b32 s9, s10, s9
	global_inv scope:SCOPE_SE
	s_wait_alu 0xfffe
	s_and_b32 s8, s8, s9
	s_wait_alu 0xfffe
	v_cndmask_b32_e64 v62, v65, v68, s8
	ds_store_b8 v1, v61
	ds_store_b8 v1, v64 offset:1
	ds_store_b8 v1, v62 offset:2
	s_wait_loadcnt_dscnt 0x0
	s_barrier_signal -1
	s_barrier_wait -1
	global_inv scope:SCOPE_SE
	s_and_saveexec_b32 s9, vcc_lo
	s_cbranch_execz .LBB74_102
; %bb.99:                               ;   in Loop: Header=BB74_2 Depth=1
	v_mov_b32_e32 v63, v3
	v_mov_b32_e32 v61, v4
	s_mov_b32 s10, 0
.LBB74_100:                             ;   Parent Loop BB74_2 Depth=1
                                        ; =>  This Inner Loop Header: Depth=2
	s_delay_alu instid0(VALU_DEP_1) | instskip(NEXT) | instid1(VALU_DEP_1)
	v_sub_nc_u32_e32 v62, v61, v63
	v_lshrrev_b32_e32 v62, 1, v62
	s_delay_alu instid0(VALU_DEP_1) | instskip(NEXT) | instid1(VALU_DEP_1)
	v_add_nc_u32_e32 v62, v62, v63
	v_xad_u32 v64, v62, -1, v1
	v_add_nc_u32_e32 v66, 1, v62
	ds_load_i8 v65, v62
	ds_load_i8 v64, v64 offset:768
	s_wait_dscnt 0x0
	v_cmp_lt_i16_e64 s8, v64, v65
	s_wait_alu 0xf1ff
	s_delay_alu instid0(VALU_DEP_1) | instskip(SKIP_1) | instid1(VALU_DEP_1)
	v_cndmask_b32_e64 v61, v61, v62, s8
	v_cndmask_b32_e64 v63, v66, v63, s8
	v_cmp_ge_i32_e64 s8, v63, v61
	s_or_b32 s10, s8, s10
	s_delay_alu instid0(SALU_CYCLE_1)
	s_and_not1_b32 exec_lo, exec_lo, s10
	s_cbranch_execnz .LBB74_100
; %bb.101:                              ;   in Loop: Header=BB74_2 Depth=1
	s_or_b32 exec_lo, exec_lo, s10
.LBB74_102:                             ;   in Loop: Header=BB74_2 Depth=1
	s_wait_alu 0xfffe
	s_or_b32 exec_lo, exec_lo, s9
	v_sub_nc_u32_e32 v67, v1, v63
	v_sub_nc_u32_e32 v66, v2, v63
	v_cmp_le_i32_e64 s8, 0x300, v63
                                        ; implicit-def: $vgpr64
	ds_load_u8 v61, v63
	ds_load_u8 v62, v67 offset:768
	v_cmp_gt_i32_e64 s10, 0x600, v66
	s_wait_dscnt 0x1
	v_bfe_i32 v61, v61, 0, 8
	s_wait_dscnt 0x0
	v_bfe_i32 v62, v62, 0, 8
	s_delay_alu instid0(VALU_DEP_1)
	v_cmp_lt_i16_e64 s9, v62, v61
	s_or_b32 s8, s8, s9
	s_wait_alu 0xfffe
	s_and_b32 s8, s10, s8
	s_wait_alu 0xfffe
	s_xor_b32 s9, s8, -1
	s_wait_alu 0xfffe
	s_and_saveexec_b32 s10, s9
	s_delay_alu instid0(SALU_CYCLE_1)
	s_xor_b32 s9, exec_lo, s10
; %bb.103:                              ;   in Loop: Header=BB74_2 Depth=1
	ds_load_u8 v64, v63 offset:1
                                        ; implicit-def: $vgpr67
; %bb.104:                              ;   in Loop: Header=BB74_2 Depth=1
	s_wait_alu 0xfffe
	s_or_saveexec_b32 s9, s9
	v_mov_b32_e32 v65, v62
	s_wait_alu 0xfffe
	s_xor_b32 exec_lo, exec_lo, s9
	s_cbranch_execz .LBB74_106
; %bb.105:                              ;   in Loop: Header=BB74_2 Depth=1
	ds_load_u8 v65, v67 offset:769
	s_wait_dscnt 0x1
	v_mov_b32_e32 v64, v61
.LBB74_106:                             ;   in Loop: Header=BB74_2 Depth=1
	s_or_b32 exec_lo, exec_lo, s9
	v_add_nc_u32_e32 v67, 1, v63
	v_add_nc_u32_e32 v69, 1, v66
	s_wait_dscnt 0x0
	v_bfe_i32 v70, v64, 0, 8
	s_delay_alu instid0(VALU_DEP_3) | instskip(SKIP_2) | instid1(VALU_DEP_3)
	v_cndmask_b32_e64 v68, v67, v63, s8
	v_bfe_i32 v67, v65, 0, 8
	v_cndmask_b32_e64 v63, v66, v69, s8
                                        ; implicit-def: $vgpr66
	v_cmp_le_i32_e64 s9, 0x300, v68
	s_delay_alu instid0(VALU_DEP_3) | instskip(NEXT) | instid1(VALU_DEP_3)
	v_cmp_lt_i16_e64 s10, v67, v70
	v_cmp_gt_i32_e64 s11, 0x600, v63
                                        ; implicit-def: $vgpr67
	s_or_b32 s9, s9, s10
	s_wait_alu 0xfffe
	s_and_b32 s9, s11, s9
	s_wait_alu 0xfffe
	s_xor_b32 s10, s9, -1
	s_delay_alu instid0(SALU_CYCLE_1) | instskip(NEXT) | instid1(SALU_CYCLE_1)
	s_and_saveexec_b32 s11, s10
	s_xor_b32 s10, exec_lo, s11
; %bb.107:                              ;   in Loop: Header=BB74_2 Depth=1
	ds_load_u8 v66, v68 offset:1
	v_add_nc_u32_e32 v67, 1, v68
                                        ; implicit-def: $vgpr68
; %bb.108:                              ;   in Loop: Header=BB74_2 Depth=1
	s_or_saveexec_b32 s10, s10
	v_mov_b32_e32 v69, v65
	s_xor_b32 exec_lo, exec_lo, s10
	s_cbranch_execz .LBB74_1
; %bb.109:                              ;   in Loop: Header=BB74_2 Depth=1
	ds_load_u8 v69, v63 offset:1
	s_wait_dscnt 0x1
	v_dual_mov_b32 v66, v64 :: v_dual_add_nc_u32 v63, 1, v63
	v_mov_b32_e32 v67, v68
	s_branch .LBB74_1
.LBB74_110:
	s_add_nc_u64 s[0:1], s[14:15], s[16:17]
	s_wait_alu 0xfffe
	v_add_co_u32 v0, s0, s0, v0
	s_wait_alu 0xf1ff
	v_add_co_ci_u32_e64 v1, null, s1, 0, s0
	s_clause 0x2
	global_store_b8 v[0:1], v61, off
	global_store_b8 v[0:1], v64, off offset:512
	global_store_b8 v[0:1], v62, off offset:1024
	s_endpgm
	.section	.rodata,"a",@progbits
	.p2align	6, 0x0
	.amdhsa_kernel _Z16sort_keys_kernelIaLj512ELj3EN10test_utils4lessELj10EEvPKT_PS2_T2_
		.amdhsa_group_segment_fixed_size 1537
		.amdhsa_private_segment_fixed_size 0
		.amdhsa_kernarg_size 20
		.amdhsa_user_sgpr_count 2
		.amdhsa_user_sgpr_dispatch_ptr 0
		.amdhsa_user_sgpr_queue_ptr 0
		.amdhsa_user_sgpr_kernarg_segment_ptr 1
		.amdhsa_user_sgpr_dispatch_id 0
		.amdhsa_user_sgpr_private_segment_size 0
		.amdhsa_wavefront_size32 1
		.amdhsa_uses_dynamic_stack 0
		.amdhsa_enable_private_segment 0
		.amdhsa_system_sgpr_workgroup_id_x 1
		.amdhsa_system_sgpr_workgroup_id_y 0
		.amdhsa_system_sgpr_workgroup_id_z 0
		.amdhsa_system_sgpr_workgroup_info 0
		.amdhsa_system_vgpr_workitem_id 0
		.amdhsa_next_free_vgpr 81
		.amdhsa_next_free_sgpr 18
		.amdhsa_reserve_vcc 1
		.amdhsa_float_round_mode_32 0
		.amdhsa_float_round_mode_16_64 0
		.amdhsa_float_denorm_mode_32 3
		.amdhsa_float_denorm_mode_16_64 3
		.amdhsa_fp16_overflow 0
		.amdhsa_workgroup_processor_mode 1
		.amdhsa_memory_ordered 1
		.amdhsa_forward_progress 1
		.amdhsa_inst_pref_size 57
		.amdhsa_round_robin_scheduling 0
		.amdhsa_exception_fp_ieee_invalid_op 0
		.amdhsa_exception_fp_denorm_src 0
		.amdhsa_exception_fp_ieee_div_zero 0
		.amdhsa_exception_fp_ieee_overflow 0
		.amdhsa_exception_fp_ieee_underflow 0
		.amdhsa_exception_fp_ieee_inexact 0
		.amdhsa_exception_int_div_zero 0
	.end_amdhsa_kernel
	.section	.text._Z16sort_keys_kernelIaLj512ELj3EN10test_utils4lessELj10EEvPKT_PS2_T2_,"axG",@progbits,_Z16sort_keys_kernelIaLj512ELj3EN10test_utils4lessELj10EEvPKT_PS2_T2_,comdat
.Lfunc_end74:
	.size	_Z16sort_keys_kernelIaLj512ELj3EN10test_utils4lessELj10EEvPKT_PS2_T2_, .Lfunc_end74-_Z16sort_keys_kernelIaLj512ELj3EN10test_utils4lessELj10EEvPKT_PS2_T2_
                                        ; -- End function
	.set _Z16sort_keys_kernelIaLj512ELj3EN10test_utils4lessELj10EEvPKT_PS2_T2_.num_vgpr, 81
	.set _Z16sort_keys_kernelIaLj512ELj3EN10test_utils4lessELj10EEvPKT_PS2_T2_.num_agpr, 0
	.set _Z16sort_keys_kernelIaLj512ELj3EN10test_utils4lessELj10EEvPKT_PS2_T2_.numbered_sgpr, 18
	.set _Z16sort_keys_kernelIaLj512ELj3EN10test_utils4lessELj10EEvPKT_PS2_T2_.num_named_barrier, 0
	.set _Z16sort_keys_kernelIaLj512ELj3EN10test_utils4lessELj10EEvPKT_PS2_T2_.private_seg_size, 0
	.set _Z16sort_keys_kernelIaLj512ELj3EN10test_utils4lessELj10EEvPKT_PS2_T2_.uses_vcc, 1
	.set _Z16sort_keys_kernelIaLj512ELj3EN10test_utils4lessELj10EEvPKT_PS2_T2_.uses_flat_scratch, 0
	.set _Z16sort_keys_kernelIaLj512ELj3EN10test_utils4lessELj10EEvPKT_PS2_T2_.has_dyn_sized_stack, 0
	.set _Z16sort_keys_kernelIaLj512ELj3EN10test_utils4lessELj10EEvPKT_PS2_T2_.has_recursion, 0
	.set _Z16sort_keys_kernelIaLj512ELj3EN10test_utils4lessELj10EEvPKT_PS2_T2_.has_indirect_call, 0
	.section	.AMDGPU.csdata,"",@progbits
; Kernel info:
; codeLenInByte = 7260
; TotalNumSgprs: 20
; NumVgprs: 81
; ScratchSize: 0
; MemoryBound: 0
; FloatMode: 240
; IeeeMode: 1
; LDSByteSize: 1537 bytes/workgroup (compile time only)
; SGPRBlocks: 0
; VGPRBlocks: 10
; NumSGPRsForWavesPerEU: 20
; NumVGPRsForWavesPerEU: 81
; Occupancy: 16
; WaveLimiterHint : 1
; COMPUTE_PGM_RSRC2:SCRATCH_EN: 0
; COMPUTE_PGM_RSRC2:USER_SGPR: 2
; COMPUTE_PGM_RSRC2:TRAP_HANDLER: 0
; COMPUTE_PGM_RSRC2:TGID_X_EN: 1
; COMPUTE_PGM_RSRC2:TGID_Y_EN: 0
; COMPUTE_PGM_RSRC2:TGID_Z_EN: 0
; COMPUTE_PGM_RSRC2:TIDIG_COMP_CNT: 0
	.section	.text._Z17sort_pairs_kernelIaLj512ELj3EN10test_utils4lessELj10EEvPKT_PS2_T2_,"axG",@progbits,_Z17sort_pairs_kernelIaLj512ELj3EN10test_utils4lessELj10EEvPKT_PS2_T2_,comdat
	.protected	_Z17sort_pairs_kernelIaLj512ELj3EN10test_utils4lessELj10EEvPKT_PS2_T2_ ; -- Begin function _Z17sort_pairs_kernelIaLj512ELj3EN10test_utils4lessELj10EEvPKT_PS2_T2_
	.globl	_Z17sort_pairs_kernelIaLj512ELj3EN10test_utils4lessELj10EEvPKT_PS2_T2_
	.p2align	8
	.type	_Z17sort_pairs_kernelIaLj512ELj3EN10test_utils4lessELj10EEvPKT_PS2_T2_,@function
_Z17sort_pairs_kernelIaLj512ELj3EN10test_utils4lessELj10EEvPKT_PS2_T2_: ; @_Z17sort_pairs_kernelIaLj512ELj3EN10test_utils4lessELj10EEvPKT_PS2_T2_
; %bb.0:
	s_load_b128 s[16:19], s[0:1], 0x0
	s_mul_i32 s20, ttmp9, 0x600
	s_mov_b32 s21, 0
	v_and_b32_e32 v3, 0x1fe, v0
	v_and_b32_e32 v5, 0x1fc, v0
	;; [unrolled: 1-line block ×5, first 2 shown]
	v_mul_u32_u24_e32 v12, 3, v3
	v_and_b32_e32 v8, 0x1e0, v0
	v_mul_u32_u24_e32 v13, 3, v5
	v_mul_u32_u24_e32 v14, 3, v6
	v_and_b32_e32 v9, 0x1c0, v0
	v_min_u32_e32 v29, 0x5fd, v12
	v_min_u32_e32 v20, 0x5fa, v12
	v_and_b32_e32 v10, 0x180, v0
	v_cmp_eq_u32_e32 vcc_lo, 1, v4
	v_mul_u32_u24_e32 v15, 3, v7
	v_mul_u32_u24_e32 v16, 3, v8
	v_min_u32_e32 v6, 0x600, v13
	s_wait_kmcnt 0x0
	s_add_nc_u64 s[0:1], s[16:17], s[20:21]
	v_min_u32_e32 v30, 0x5fa, v13
	s_clause 0x2
	global_load_u8 v60, v0, s[0:1]
	global_load_u8 v61, v0, s[0:1] offset:512
	global_load_u8 v64, v0, s[0:1] offset:1024
	v_min_u32_e32 v21, 0x5f4, v13
	v_min_u32_e32 v7, 0x600, v14
	;; [unrolled: 1-line block ×4, first 2 shown]
	v_add_nc_u32_e32 v13, 3, v29
	v_add_nc_u32_e32 v14, 6, v20
	v_and_b32_e32 v37, 3, v0
	v_and_b32_e32 v11, 0x100, v0
	v_cndmask_b32_e64 v52, 0, 3, vcc_lo
	v_mul_u32_u24_e32 v17, 3, v9
	v_mul_u32_u24_e32 v18, 3, v10
	v_min_u32_e32 v5, 0x600, v12
	v_min_u32_e32 v8, 0x600, v15
	;; [unrolled: 1-line block ×7, first 2 shown]
	v_add_nc_u32_e32 v15, 6, v30
	v_add_nc_u32_e32 v16, 12, v21
	v_sub_nc_u32_e32 v62, v14, v13
	v_and_b32_e32 v38, 7, v0
	v_mul_u32_u24_e32 v53, 3, v37
	v_mul_u32_u24_e32 v19, 3, v11
	v_min_u32_e32 v10, 0x600, v17
	v_min_u32_e32 v34, 0x5a0, v17
	;; [unrolled: 1-line block ×6, first 2 shown]
	v_add_nc_u32_e32 v17, 12, v31
	v_add_nc_u32_e32 v18, 24, v22
	v_sub_nc_u32_e32 v44, v13, v5
	v_sub_nc_u32_e32 v63, v16, v15
	;; [unrolled: 1-line block ×3, first 2 shown]
	v_cmp_ge_i32_e64 s0, v52, v62
	v_and_b32_e32 v39, 15, v0
	v_mul_u32_u24_e32 v54, 3, v38
	v_min_u32_e32 v12, 0x600, v19
	v_min_u32_e32 v67, 0x480, v19
	;; [unrolled: 1-line block ×3, first 2 shown]
	v_add_nc_u32_e32 v19, 24, v32
	v_add_nc_u32_e32 v20, 48, v23
	;; [unrolled: 1-line block ×4, first 2 shown]
	v_sub_nc_u32_e32 v45, v15, v6
	v_sub_nc_u32_e32 v65, v18, v17
	v_min_i32_e32 v44, v52, v44
	v_sub_nc_u32_e32 v74, v53, v63
	v_cndmask_b32_e64 v52, 0, v73, s0
	v_cmp_ge_i32_e64 s0, v53, v63
	v_and_b32_e32 v40, 31, v0
	v_mul_u32_u24_e32 v55, 3, v39
	v_add_nc_u32_e32 v21, 48, v33
	v_add_nc_u32_e32 v22, 0x60, v24
	v_sub_nc_u32_e32 v46, v17, v7
	v_sub_nc_u32_e32 v68, v20, v19
	v_min_i32_e32 v45, v53, v45
	v_sub_nc_u32_e32 v75, v54, v65
	s_wait_alu 0xf1ff
	v_cndmask_b32_e64 v53, 0, v74, s0
	v_cmp_ge_i32_e64 s0, v54, v65
	v_and_b32_e32 v41, 63, v0
	v_mul_u32_u24_e32 v56, 3, v40
	v_add_nc_u32_e32 v23, 0x60, v34
	v_add_nc_u32_e32 v24, 0xc0, v25
	v_sub_nc_u32_e32 v47, v19, v8
	v_sub_nc_u32_e32 v69, v22, v21
	v_min_i32_e32 v46, v54, v46
	v_sub_nc_u32_e32 v76, v55, v68
	s_wait_alu 0xf1ff
	v_cndmask_b32_e64 v54, 0, v75, s0
	v_cmp_ge_i32_e64 s0, v55, v68
	v_and_b32_e32 v42, 0x7f, v0
	v_mul_u32_u24_e32 v57, 3, v41
	v_add_nc_u32_e32 v25, 0xc0, v35
	v_add_nc_u32_e32 v26, 0x180, v26
	v_sub_nc_u32_e32 v48, v21, v9
	v_sub_nc_u32_e32 v70, v24, v23
	v_min_i32_e32 v47, v55, v47
	v_sub_nc_u32_e32 v77, v56, v69
	s_wait_alu 0xf1ff
	v_cndmask_b32_e64 v55, 0, v76, s0
	v_cmp_ge_i32_e64 s0, v56, v69
	v_and_b32_e32 v66, 0xff, v0
	v_mul_u32_u24_e32 v58, 3, v42
	v_add_nc_u32_e32 v27, 0x180, v67
	v_add_nc_u32_e32 v28, 0x300, v28
	v_sub_nc_u32_e32 v49, v23, v10
	v_sub_nc_u32_e32 v71, v26, v25
	v_min_i32_e32 v48, v56, v48
	v_sub_nc_u32_e32 v78, v57, v70
	s_wait_alu 0xf1ff
	v_cndmask_b32_e64 v56, 0, v77, s0
	v_cmp_ge_i32_e64 s0, v57, v70
	v_mul_u32_u24_e32 v59, 3, v66
	v_sub_nc_u32_e32 v50, v25, v11
	v_sub_nc_u32_e32 v72, v28, v27
	v_min_i32_e32 v49, v57, v49
	v_sub_nc_u32_e32 v79, v58, v71
	s_wait_alu 0xf1ff
	v_cndmask_b32_e64 v57, 0, v78, s0
	v_cmp_ge_i32_e64 s0, v58, v71
	v_sub_nc_u32_e32 v51, v27, v12
	v_min_i32_e32 v50, v58, v50
	v_sub_nc_u32_e32 v80, v59, v72
	v_mul_u32_u24_e32 v1, 3, v0
	s_wait_alu 0xf1ff
	v_cndmask_b32_e64 v58, 0, v79, s0
	v_cmp_ge_i32_e64 s0, v59, v72
	v_min_i32_e32 v51, v59, v51
	v_mad_u32_u24 v2, v0, 3, 0x300
	v_subrev_nc_u32_e64 v3, 0x300, v1 clamp
	v_min_i32_e32 v4, 0x300, v1
	s_wait_alu 0xf1ff
	v_cndmask_b32_e64 v59, 0, v80, s0
	v_mad_u32_u24 v30, v37, 3, v30
	v_mad_u32_u24 v31, v38, 3, v31
	;; [unrolled: 1-line block ×13, first 2 shown]
	v_cmp_lt_i32_e64 s0, v52, v44
	v_cmp_lt_i32_e64 s1, v53, v45
	;; [unrolled: 1-line block ×8, first 2 shown]
	s_mov_b32 s15, s21
	v_cmp_lt_i32_e32 vcc_lo, v3, v4
	s_wait_loadcnt 0x2
	v_add_nc_u16 v63, v60, 1
	s_wait_loadcnt 0x1
	v_perm_b32 v65, v60, v61, 0xc0c0004
	s_wait_loadcnt 0x0
	v_lshlrev_b32_e32 v68, 16, v64
	v_add_nc_u16 v62, v61, 1
	v_add_nc_u16 v61, v64, 1
	v_mad_u32_u24 v60, v66, 3, v67
	s_delay_alu instid0(VALU_DEP_4)
	v_or_b32_e32 v65, v65, v68
	s_branch .LBB75_2
.LBB75_1:                               ;   in Loop: Header=BB75_2 Depth=1
	s_or_b32 exec_lo, exec_lo, s10
	s_wait_dscnt 0x0
	s_delay_alu instid0(VALU_DEP_1)
	v_bfe_i32 v75, v73, 0, 8
	v_bfe_i32 v76, v74, 0, 8
	v_cndmask_b32_e64 v67, v66, v67, s8
	v_cndmask_b32_e64 v66, v68, v69, s9
	v_cmp_le_i32_e64 s9, 0x300, v71
	v_cndmask_b32_e64 v65, v64, v65, s8
	v_cmp_lt_i16_e64 s10, v76, v75
	v_cmp_gt_i32_e64 s8, 0x600, v70
	s_wait_loadcnt 0x0
	s_barrier_signal -1
	s_barrier_wait -1
	s_or_b32 s9, s9, s10
	global_inv scope:SCOPE_SE
	s_wait_alu 0xfffe
	s_and_b32 s8, s8, s9
	ds_store_b8 v1, v61
	ds_store_b8 v1, v63 offset:1
	ds_store_b8 v1, v62 offset:2
	s_wait_alu 0xfffe
	v_cndmask_b32_e64 v70, v71, v70, s8
	s_wait_loadcnt_dscnt 0x0
	s_barrier_signal -1
	s_barrier_wait -1
	global_inv scope:SCOPE_SE
	ds_load_u8 v63, v65
	ds_load_u8 v62, v72
	;; [unrolled: 1-line block ×3, first 2 shown]
	v_lshlrev_b16 v68, 8, v66
	v_and_b32_e32 v69, 0xff, v67
	v_cndmask_b32_e64 v64, v73, v74, s8
	s_add_co_i32 s15, s15, 1
	s_delay_alu instid0(SALU_CYCLE_1) | instskip(NEXT) | instid1(VALU_DEP_2)
	s_cmp_eq_u32 s15, 10
	v_or_b32_e32 v65, v69, v68
	s_delay_alu instid0(VALU_DEP_2) | instskip(NEXT) | instid1(VALU_DEP_2)
	v_and_b32_e32 v68, 0xff, v64
	v_and_b32_e32 v65, 0xffff, v65
	s_delay_alu instid0(VALU_DEP_2) | instskip(NEXT) | instid1(VALU_DEP_1)
	v_lshlrev_b32_e32 v68, 16, v68
	v_or_b32_e32 v65, v65, v68
	s_cbranch_scc1 .LBB75_110
.LBB75_2:                               ; =>This Loop Header: Depth=1
                                        ;     Child Loop BB75_4 Depth 2
                                        ;     Child Loop BB75_16 Depth 2
	;; [unrolled: 1-line block ×9, first 2 shown]
	s_delay_alu instid0(VALU_DEP_1) | instskip(SKIP_3) | instid1(VALU_DEP_3)
	v_lshrrev_b32_e32 v64, 8, v65
	v_bfe_i32 v66, v65, 0, 8
	v_perm_b32 v67, v65, v65, 0x7060405
	s_barrier_signal -1
	v_bfe_i32 v64, v64, 0, 8
	s_barrier_wait -1
	global_inv scope:SCOPE_SE
	v_cmp_lt_i16_e64 s10, v64, v66
	v_max_i16 v64, v64, v66
	s_wait_alu 0xf1ff
	s_delay_alu instid0(VALU_DEP_2) | instskip(NEXT) | instid1(VALU_DEP_1)
	v_cndmask_b32_e64 v65, v65, v67, s10
	v_lshrrev_b32_e32 v67, 16, v65
	s_delay_alu instid0(VALU_DEP_1) | instskip(SKIP_1) | instid1(VALU_DEP_2)
	v_bfe_i32 v66, v67, 0, 8
	v_perm_b32 v67, v65, v64, 0x7000604
	v_cmp_lt_i16_e64 s9, v66, v64
	v_min_i16 v64, v66, v64
	s_wait_alu 0xf1ff
	s_delay_alu instid0(VALU_DEP_2) | instskip(NEXT) | instid1(VALU_DEP_2)
	v_cndmask_b32_e64 v65, v65, v67, s9
	v_and_b32_e32 v67, 0xff, v64
	s_delay_alu instid0(VALU_DEP_2) | instskip(NEXT) | instid1(VALU_DEP_1)
	v_lshlrev_b16 v66, 8, v65
	v_or_b32_e32 v66, v67, v66
	v_bfe_i32 v67, v65, 0, 8
	s_delay_alu instid0(VALU_DEP_2) | instskip(NEXT) | instid1(VALU_DEP_2)
	v_and_b32_e32 v66, 0xffff, v66
	v_cmp_lt_i16_e64 s8, v64, v67
	s_delay_alu instid0(VALU_DEP_2) | instskip(SKIP_1) | instid1(VALU_DEP_1)
	v_and_or_b32 v66, 0xffff0000, v65, v66
	s_wait_alu 0xf1ff
	v_cndmask_b32_e64 v64, v65, v66, s8
	v_mov_b32_e32 v66, v52
	s_delay_alu instid0(VALU_DEP_2)
	v_lshrrev_b32_e32 v65, 8, v64
	ds_store_b8 v1, v64
	ds_store_b8 v1, v65 offset:1
	ds_store_b8_d16_hi v1, v64 offset:2
	s_wait_loadcnt_dscnt 0x0
	s_barrier_signal -1
	s_barrier_wait -1
	global_inv scope:SCOPE_SE
	s_and_saveexec_b32 s12, s0
	s_cbranch_execz .LBB75_6
; %bb.3:                                ;   in Loop: Header=BB75_2 Depth=1
	v_mov_b32_e32 v66, v52
	v_mov_b32_e32 v64, v44
	s_mov_b32 s13, 0
.LBB75_4:                               ;   Parent Loop BB75_2 Depth=1
                                        ; =>  This Inner Loop Header: Depth=2
	s_delay_alu instid0(VALU_DEP_1) | instskip(NEXT) | instid1(VALU_DEP_1)
	v_sub_nc_u32_e32 v65, v64, v66
	v_lshrrev_b32_e32 v65, 1, v65
	s_delay_alu instid0(VALU_DEP_1) | instskip(NEXT) | instid1(VALU_DEP_1)
	v_add_nc_u32_e32 v65, v65, v66
	v_add_nc_u32_e32 v67, v5, v65
	v_xad_u32 v68, v65, -1, v29
	v_add_nc_u32_e32 v69, 1, v65
	ds_load_i8 v67, v67
	ds_load_i8 v68, v68 offset:3
	s_wait_dscnt 0x0
	v_cmp_lt_i16_e64 s11, v68, v67
	s_wait_alu 0xf1ff
	s_delay_alu instid0(VALU_DEP_1) | instskip(SKIP_1) | instid1(VALU_DEP_1)
	v_cndmask_b32_e64 v64, v64, v65, s11
	v_cndmask_b32_e64 v66, v69, v66, s11
	v_cmp_ge_i32_e64 s11, v66, v64
	s_wait_alu 0xfffe
	s_or_b32 s13, s11, s13
	s_wait_alu 0xfffe
	s_and_not1_b32 exec_lo, exec_lo, s13
	s_cbranch_execnz .LBB75_4
; %bb.5:                                ;   in Loop: Header=BB75_2 Depth=1
	s_or_b32 exec_lo, exec_lo, s13
.LBB75_6:                               ;   in Loop: Header=BB75_2 Depth=1
	s_wait_alu 0xfffe
	s_or_b32 exec_lo, exec_lo, s12
	v_add_nc_u32_e32 v68, v66, v5
	v_sub_nc_u32_e32 v70, v29, v66
	v_sub_nc_u32_e32 v69, v36, v66
                                        ; implicit-def: $vgpr66
	ds_load_u8 v64, v68
	ds_load_u8 v65, v70 offset:3
	v_cmp_le_i32_e64 s11, v13, v68
	v_cmp_gt_i32_e64 s13, v14, v69
	s_wait_dscnt 0x1
	v_bfe_i32 v64, v64, 0, 8
	s_wait_dscnt 0x0
	v_bfe_i32 v65, v65, 0, 8
	s_delay_alu instid0(VALU_DEP_1)
	v_cmp_lt_i16_e64 s12, v65, v64
	s_or_b32 s11, s11, s12
	s_wait_alu 0xfffe
	s_and_b32 s11, s13, s11
	s_wait_alu 0xfffe
	s_xor_b32 s12, s11, -1
	s_wait_alu 0xfffe
	s_and_saveexec_b32 s13, s12
	s_wait_alu 0xfffe
	s_xor_b32 s12, exec_lo, s13
; %bb.7:                                ;   in Loop: Header=BB75_2 Depth=1
	ds_load_u8 v66, v68 offset:1
                                        ; implicit-def: $vgpr70
; %bb.8:                                ;   in Loop: Header=BB75_2 Depth=1
	s_wait_alu 0xfffe
	s_or_saveexec_b32 s12, s12
	v_mov_b32_e32 v67, v65
	s_wait_alu 0xfffe
	s_xor_b32 exec_lo, exec_lo, s12
	s_cbranch_execz .LBB75_10
; %bb.9:                                ;   in Loop: Header=BB75_2 Depth=1
	ds_load_u8 v67, v70 offset:4
	s_wait_dscnt 0x1
	v_mov_b32_e32 v66, v64
.LBB75_10:                              ;   in Loop: Header=BB75_2 Depth=1
	s_or_b32 exec_lo, exec_lo, s12
	v_add_nc_u32_e32 v70, 1, v68
	v_add_nc_u32_e32 v71, 1, v69
	s_wait_dscnt 0x0
	v_bfe_i32 v73, v66, 0, 8
	s_delay_alu instid0(VALU_DEP_3) | instskip(SKIP_2) | instid1(VALU_DEP_3)
	v_cndmask_b32_e64 v72, v70, v68, s11
	v_bfe_i32 v70, v67, 0, 8
	v_cndmask_b32_e64 v71, v69, v71, s11
	v_cmp_ge_i32_e64 s12, v72, v13
	s_delay_alu instid0(VALU_DEP_3) | instskip(NEXT) | instid1(VALU_DEP_3)
	v_cmp_lt_i16_e64 s13, v70, v73
	v_cmp_lt_i32_e64 s14, v71, v14
                                        ; implicit-def: $vgpr70
	s_or_b32 s12, s12, s13
	s_wait_alu 0xfffe
	s_and_b32 s12, s14, s12
	s_wait_alu 0xfffe
	s_xor_b32 s13, s12, -1
	s_wait_alu 0xfffe
	s_and_saveexec_b32 s14, s13
	s_delay_alu instid0(SALU_CYCLE_1)
	s_xor_b32 s13, exec_lo, s14
; %bb.11:                               ;   in Loop: Header=BB75_2 Depth=1
	ds_load_u8 v70, v72 offset:1
; %bb.12:                               ;   in Loop: Header=BB75_2 Depth=1
	s_wait_alu 0xfffe
	s_or_saveexec_b32 s13, s13
	v_mov_b32_e32 v73, v67
	s_wait_alu 0xfffe
	s_xor_b32 exec_lo, exec_lo, s13
	s_cbranch_execz .LBB75_14
; %bb.13:                               ;   in Loop: Header=BB75_2 Depth=1
	ds_load_u8 v73, v71 offset:1
	s_wait_dscnt 0x1
	v_mov_b32_e32 v70, v66
.LBB75_14:                              ;   in Loop: Header=BB75_2 Depth=1
	s_or_b32 exec_lo, exec_lo, s13
	v_perm_b32 v74, v62, v63, 0xc0c0004
	v_perm_b32 v62, v63, v62, 0xc0c0004
	v_and_b32_e32 v63, 0xff, v61
	v_cndmask_b32_e64 v68, v68, v69, s11
	s_wait_dscnt 0x0
	v_bfe_i32 v75, v70, 0, 8
	v_bfe_i32 v76, v73, 0, 8
	v_cndmask_b32_e64 v62, v62, v74, s10
	v_lshlrev_b32_e32 v63, 16, v63
	s_wait_loadcnt 0x0
	s_barrier_signal -1
	s_barrier_wait -1
	v_lshrrev_b16 v74, 8, v62
	v_perm_b32 v61, v62, v61, 0xc0c0004
	v_or_b32_e32 v62, v62, v63
	v_add_nc_u32_e32 v63, 1, v72
	global_inv scope:SCOPE_SE
	v_lshlrev_b32_e32 v74, 16, v74
	v_cndmask_b32_e64 v64, v64, v65, s11
	v_cndmask_b32_e64 v66, v66, v67, s12
	;; [unrolled: 1-line block ×3, first 2 shown]
	s_delay_alu instid0(VALU_DEP_4) | instskip(SKIP_1) | instid1(VALU_DEP_3)
	v_or_b32_e32 v61, v61, v74
	v_cndmask_b32_e64 v74, v72, v71, s12
	v_cmp_ge_i32_e64 s10, v63, v13
	s_delay_alu instid0(VALU_DEP_3) | instskip(SKIP_2) | instid1(VALU_DEP_3)
	v_cndmask_b32_e64 v61, v62, v61, s9
	v_add_nc_u32_e32 v62, 1, v71
	v_cmp_lt_i16_e64 s9, v76, v75
	v_perm_b32 v69, 0, v61, 0xc0c0001
	s_delay_alu instid0(VALU_DEP_3) | instskip(SKIP_1) | instid1(VALU_DEP_2)
	v_cndmask_b32_e64 v62, v71, v62, s12
	s_or_b32 s9, s10, s9
	v_and_or_b32 v69, 0xff0000, v61, v69
	s_delay_alu instid0(VALU_DEP_1) | instskip(NEXT) | instid1(VALU_DEP_3)
	v_cndmask_b32_e64 v61, v61, v69, s8
	v_cmp_lt_i32_e64 s8, v62, v14
	s_delay_alu instid0(VALU_DEP_2)
	v_lshrrev_b32_e32 v69, 8, v61
	s_wait_alu 0xfffe
	s_and_b32 s8, s8, s9
	ds_store_b8 v1, v61
	ds_store_b8 v1, v69 offset:1
	ds_store_b8_d16_hi v1, v61 offset:2
	s_wait_alu 0xfffe
	v_cndmask_b32_e64 v62, v63, v62, s8
	s_wait_loadcnt_dscnt 0x0
	s_barrier_signal -1
	s_barrier_wait -1
	global_inv scope:SCOPE_SE
	ds_load_u8 v61, v68
	ds_load_u8 v62, v62
	;; [unrolled: 1-line block ×3, first 2 shown]
	v_cndmask_b32_e64 v70, v70, v73, s8
	s_wait_loadcnt_dscnt 0x0
	s_barrier_signal -1
	s_barrier_wait -1
	global_inv scope:SCOPE_SE
	ds_store_b8 v1, v64
	ds_store_b8 v1, v66 offset:1
	ds_store_b8 v1, v70 offset:2
	v_mov_b32_e32 v66, v53
	s_wait_loadcnt_dscnt 0x0
	s_barrier_signal -1
	s_barrier_wait -1
	global_inv scope:SCOPE_SE
	s_and_saveexec_b32 s9, s1
	s_cbranch_execz .LBB75_18
; %bb.15:                               ;   in Loop: Header=BB75_2 Depth=1
	v_mov_b32_e32 v66, v53
	v_mov_b32_e32 v64, v45
	s_mov_b32 s10, 0
.LBB75_16:                              ;   Parent Loop BB75_2 Depth=1
                                        ; =>  This Inner Loop Header: Depth=2
	s_delay_alu instid0(VALU_DEP_1) | instskip(NEXT) | instid1(VALU_DEP_1)
	v_sub_nc_u32_e32 v65, v64, v66
	v_lshrrev_b32_e32 v65, 1, v65
	s_delay_alu instid0(VALU_DEP_1) | instskip(NEXT) | instid1(VALU_DEP_1)
	v_add_nc_u32_e32 v65, v65, v66
	v_add_nc_u32_e32 v67, v6, v65
	v_xad_u32 v68, v65, -1, v30
	v_add_nc_u32_e32 v69, 1, v65
	ds_load_i8 v67, v67
	ds_load_i8 v68, v68 offset:6
	s_wait_dscnt 0x0
	v_cmp_lt_i16_e64 s8, v68, v67
	s_wait_alu 0xf1ff
	s_delay_alu instid0(VALU_DEP_1) | instskip(SKIP_1) | instid1(VALU_DEP_1)
	v_cndmask_b32_e64 v64, v64, v65, s8
	v_cndmask_b32_e64 v66, v69, v66, s8
	v_cmp_ge_i32_e64 s8, v66, v64
	s_wait_alu 0xfffe
	s_or_b32 s10, s8, s10
	s_wait_alu 0xfffe
	s_and_not1_b32 exec_lo, exec_lo, s10
	s_cbranch_execnz .LBB75_16
; %bb.17:                               ;   in Loop: Header=BB75_2 Depth=1
	s_or_b32 exec_lo, exec_lo, s10
.LBB75_18:                              ;   in Loop: Header=BB75_2 Depth=1
	s_wait_alu 0xfffe
	s_or_b32 exec_lo, exec_lo, s9
	v_add_nc_u32_e32 v67, v66, v6
	v_sub_nc_u32_e32 v70, v30, v66
	v_sub_nc_u32_e32 v69, v37, v66
                                        ; implicit-def: $vgpr66
	ds_load_u8 v64, v67
	ds_load_u8 v65, v70 offset:6
	v_cmp_le_i32_e64 s8, v15, v67
	v_cmp_gt_i32_e64 s10, v16, v69
	s_wait_dscnt 0x1
	v_bfe_i32 v64, v64, 0, 8
	s_wait_dscnt 0x0
	v_bfe_i32 v65, v65, 0, 8
	s_delay_alu instid0(VALU_DEP_1)
	v_cmp_lt_i16_e64 s9, v65, v64
	s_or_b32 s8, s8, s9
	s_wait_alu 0xfffe
	s_and_b32 s8, s10, s8
	s_wait_alu 0xfffe
	s_xor_b32 s9, s8, -1
	s_wait_alu 0xfffe
	s_and_saveexec_b32 s10, s9
	s_wait_alu 0xfffe
	s_xor_b32 s9, exec_lo, s10
; %bb.19:                               ;   in Loop: Header=BB75_2 Depth=1
	ds_load_u8 v66, v67 offset:1
                                        ; implicit-def: $vgpr70
; %bb.20:                               ;   in Loop: Header=BB75_2 Depth=1
	s_wait_alu 0xfffe
	s_or_saveexec_b32 s9, s9
	v_mov_b32_e32 v68, v65
	s_wait_alu 0xfffe
	s_xor_b32 exec_lo, exec_lo, s9
	s_cbranch_execz .LBB75_22
; %bb.21:                               ;   in Loop: Header=BB75_2 Depth=1
	ds_load_u8 v68, v70 offset:7
	s_wait_dscnt 0x1
	v_mov_b32_e32 v66, v64
.LBB75_22:                              ;   in Loop: Header=BB75_2 Depth=1
	s_or_b32 exec_lo, exec_lo, s9
	v_add_nc_u32_e32 v70, 1, v67
	v_add_nc_u32_e32 v72, 1, v69
	s_wait_dscnt 0x0
	v_bfe_i32 v73, v66, 0, 8
	s_delay_alu instid0(VALU_DEP_3) | instskip(SKIP_2) | instid1(VALU_DEP_3)
	v_cndmask_b32_e64 v71, v70, v67, s8
	v_bfe_i32 v70, v68, 0, 8
	v_cndmask_b32_e64 v72, v69, v72, s8
	v_cmp_ge_i32_e64 s9, v71, v15
	s_delay_alu instid0(VALU_DEP_3) | instskip(NEXT) | instid1(VALU_DEP_3)
	v_cmp_lt_i16_e64 s10, v70, v73
	v_cmp_lt_i32_e64 s11, v72, v16
                                        ; implicit-def: $vgpr70
	s_or_b32 s9, s9, s10
	s_wait_alu 0xfffe
	s_and_b32 s9, s11, s9
	s_wait_alu 0xfffe
	s_xor_b32 s10, s9, -1
	s_wait_alu 0xfffe
	s_and_saveexec_b32 s11, s10
	s_wait_alu 0xfffe
	s_xor_b32 s10, exec_lo, s11
; %bb.23:                               ;   in Loop: Header=BB75_2 Depth=1
	ds_load_u8 v70, v71 offset:1
; %bb.24:                               ;   in Loop: Header=BB75_2 Depth=1
	s_wait_alu 0xfffe
	s_or_saveexec_b32 s10, s10
	v_mov_b32_e32 v73, v68
	s_wait_alu 0xfffe
	s_xor_b32 exec_lo, exec_lo, s10
	s_cbranch_execz .LBB75_26
; %bb.25:                               ;   in Loop: Header=BB75_2 Depth=1
	ds_load_u8 v73, v72 offset:1
	s_wait_dscnt 0x1
	v_mov_b32_e32 v70, v66
.LBB75_26:                              ;   in Loop: Header=BB75_2 Depth=1
	s_or_b32 exec_lo, exec_lo, s10
	v_add_nc_u32_e32 v74, 1, v71
	v_add_nc_u32_e32 v75, 1, v72
	s_wait_dscnt 0x0
	v_bfe_i32 v76, v70, 0, 8
	v_bfe_i32 v77, v73, 0, 8
	v_cndmask_b32_e64 v67, v67, v69, s8
	v_cndmask_b32_e64 v74, v74, v71, s9
	v_cndmask_b32_e64 v71, v71, v72, s9
	v_cndmask_b32_e64 v72, v72, v75, s9
	v_cmp_lt_i16_e64 s10, v77, v76
	s_wait_loadcnt 0x0
	v_cmp_ge_i32_e64 s11, v74, v15
	s_barrier_signal -1
	v_cmp_lt_i32_e64 s12, v72, v16
	s_barrier_wait -1
	global_inv scope:SCOPE_SE
	s_or_b32 s10, s11, s10
	ds_store_b8 v1, v61
	ds_store_b8 v1, v63 offset:1
	ds_store_b8 v1, v62 offset:2
	s_wait_alu 0xfffe
	s_and_b32 s10, s12, s10
	s_wait_loadcnt_dscnt 0x0
	s_wait_alu 0xfffe
	v_cndmask_b32_e64 v69, v70, v73, s10
	v_cndmask_b32_e64 v70, v74, v72, s10
	s_barrier_signal -1
	s_barrier_wait -1
	global_inv scope:SCOPE_SE
	ds_load_u8 v61, v67
	ds_load_u8 v62, v70
	;; [unrolled: 1-line block ×3, first 2 shown]
	v_cndmask_b32_e64 v64, v64, v65, s8
	v_cndmask_b32_e64 v66, v66, v68, s9
	s_wait_loadcnt_dscnt 0x0
	s_barrier_signal -1
	s_barrier_wait -1
	global_inv scope:SCOPE_SE
	ds_store_b8 v1, v64
	ds_store_b8 v1, v66 offset:1
	ds_store_b8 v1, v69 offset:2
	v_mov_b32_e32 v66, v54
	s_wait_loadcnt_dscnt 0x0
	s_barrier_signal -1
	s_barrier_wait -1
	global_inv scope:SCOPE_SE
	s_and_saveexec_b32 s9, s2
	s_cbranch_execz .LBB75_30
; %bb.27:                               ;   in Loop: Header=BB75_2 Depth=1
	v_mov_b32_e32 v66, v54
	v_mov_b32_e32 v64, v46
	s_mov_b32 s10, 0
.LBB75_28:                              ;   Parent Loop BB75_2 Depth=1
                                        ; =>  This Inner Loop Header: Depth=2
	s_delay_alu instid0(VALU_DEP_1) | instskip(NEXT) | instid1(VALU_DEP_1)
	v_sub_nc_u32_e32 v65, v64, v66
	v_lshrrev_b32_e32 v65, 1, v65
	s_delay_alu instid0(VALU_DEP_1) | instskip(NEXT) | instid1(VALU_DEP_1)
	v_add_nc_u32_e32 v65, v65, v66
	v_add_nc_u32_e32 v67, v7, v65
	v_xad_u32 v68, v65, -1, v31
	v_add_nc_u32_e32 v69, 1, v65
	ds_load_i8 v67, v67
	ds_load_i8 v68, v68 offset:12
	s_wait_dscnt 0x0
	v_cmp_lt_i16_e64 s8, v68, v67
	s_wait_alu 0xf1ff
	s_delay_alu instid0(VALU_DEP_1) | instskip(SKIP_1) | instid1(VALU_DEP_1)
	v_cndmask_b32_e64 v64, v64, v65, s8
	v_cndmask_b32_e64 v66, v69, v66, s8
	v_cmp_ge_i32_e64 s8, v66, v64
	s_wait_alu 0xfffe
	s_or_b32 s10, s8, s10
	s_wait_alu 0xfffe
	s_and_not1_b32 exec_lo, exec_lo, s10
	s_cbranch_execnz .LBB75_28
; %bb.29:                               ;   in Loop: Header=BB75_2 Depth=1
	s_or_b32 exec_lo, exec_lo, s10
.LBB75_30:                              ;   in Loop: Header=BB75_2 Depth=1
	s_wait_alu 0xfffe
	s_or_b32 exec_lo, exec_lo, s9
	v_add_nc_u32_e32 v67, v66, v7
	v_sub_nc_u32_e32 v70, v31, v66
	v_sub_nc_u32_e32 v69, v38, v66
                                        ; implicit-def: $vgpr66
	ds_load_u8 v64, v67
	ds_load_u8 v65, v70 offset:12
	v_cmp_le_i32_e64 s8, v17, v67
	v_cmp_gt_i32_e64 s10, v18, v69
	s_wait_dscnt 0x1
	v_bfe_i32 v64, v64, 0, 8
	s_wait_dscnt 0x0
	v_bfe_i32 v65, v65, 0, 8
	s_delay_alu instid0(VALU_DEP_1)
	v_cmp_lt_i16_e64 s9, v65, v64
	s_or_b32 s8, s8, s9
	s_wait_alu 0xfffe
	s_and_b32 s8, s10, s8
	s_wait_alu 0xfffe
	s_xor_b32 s9, s8, -1
	s_wait_alu 0xfffe
	s_and_saveexec_b32 s10, s9
	s_wait_alu 0xfffe
	s_xor_b32 s9, exec_lo, s10
; %bb.31:                               ;   in Loop: Header=BB75_2 Depth=1
	ds_load_u8 v66, v67 offset:1
                                        ; implicit-def: $vgpr70
; %bb.32:                               ;   in Loop: Header=BB75_2 Depth=1
	s_wait_alu 0xfffe
	s_or_saveexec_b32 s9, s9
	v_mov_b32_e32 v68, v65
	s_wait_alu 0xfffe
	s_xor_b32 exec_lo, exec_lo, s9
	s_cbranch_execz .LBB75_34
; %bb.33:                               ;   in Loop: Header=BB75_2 Depth=1
	ds_load_u8 v68, v70 offset:13
	s_wait_dscnt 0x1
	v_mov_b32_e32 v66, v64
.LBB75_34:                              ;   in Loop: Header=BB75_2 Depth=1
	s_or_b32 exec_lo, exec_lo, s9
	v_add_nc_u32_e32 v70, 1, v67
	v_add_nc_u32_e32 v72, 1, v69
	s_wait_dscnt 0x0
	v_bfe_i32 v73, v66, 0, 8
	s_delay_alu instid0(VALU_DEP_3) | instskip(SKIP_2) | instid1(VALU_DEP_3)
	v_cndmask_b32_e64 v71, v70, v67, s8
	v_bfe_i32 v70, v68, 0, 8
	v_cndmask_b32_e64 v72, v69, v72, s8
	v_cmp_ge_i32_e64 s9, v71, v17
	s_delay_alu instid0(VALU_DEP_3) | instskip(NEXT) | instid1(VALU_DEP_3)
	v_cmp_lt_i16_e64 s10, v70, v73
	v_cmp_lt_i32_e64 s11, v72, v18
                                        ; implicit-def: $vgpr70
	s_or_b32 s9, s9, s10
	s_wait_alu 0xfffe
	s_and_b32 s9, s11, s9
	s_wait_alu 0xfffe
	s_xor_b32 s10, s9, -1
	s_wait_alu 0xfffe
	s_and_saveexec_b32 s11, s10
	s_wait_alu 0xfffe
	s_xor_b32 s10, exec_lo, s11
; %bb.35:                               ;   in Loop: Header=BB75_2 Depth=1
	ds_load_u8 v70, v71 offset:1
; %bb.36:                               ;   in Loop: Header=BB75_2 Depth=1
	s_wait_alu 0xfffe
	s_or_saveexec_b32 s10, s10
	v_mov_b32_e32 v73, v68
	s_wait_alu 0xfffe
	s_xor_b32 exec_lo, exec_lo, s10
	s_cbranch_execz .LBB75_38
; %bb.37:                               ;   in Loop: Header=BB75_2 Depth=1
	ds_load_u8 v73, v72 offset:1
	s_wait_dscnt 0x1
	v_mov_b32_e32 v70, v66
.LBB75_38:                              ;   in Loop: Header=BB75_2 Depth=1
	s_or_b32 exec_lo, exec_lo, s10
	v_add_nc_u32_e32 v74, 1, v71
	v_add_nc_u32_e32 v75, 1, v72
	s_wait_dscnt 0x0
	v_bfe_i32 v76, v70, 0, 8
	v_bfe_i32 v77, v73, 0, 8
	v_cndmask_b32_e64 v67, v67, v69, s8
	v_cndmask_b32_e64 v74, v74, v71, s9
	;; [unrolled: 1-line block ×4, first 2 shown]
	v_cmp_lt_i16_e64 s10, v77, v76
	s_wait_loadcnt 0x0
	v_cmp_ge_i32_e64 s11, v74, v17
	s_barrier_signal -1
	v_cmp_lt_i32_e64 s12, v72, v18
	s_barrier_wait -1
	global_inv scope:SCOPE_SE
	s_or_b32 s10, s11, s10
	ds_store_b8 v1, v61
	ds_store_b8 v1, v63 offset:1
	ds_store_b8 v1, v62 offset:2
	s_wait_alu 0xfffe
	s_and_b32 s10, s12, s10
	s_wait_loadcnt_dscnt 0x0
	s_wait_alu 0xfffe
	v_cndmask_b32_e64 v69, v70, v73, s10
	v_cndmask_b32_e64 v70, v74, v72, s10
	s_barrier_signal -1
	s_barrier_wait -1
	global_inv scope:SCOPE_SE
	ds_load_u8 v61, v67
	ds_load_u8 v62, v70
	ds_load_u8 v63, v71
	v_cndmask_b32_e64 v64, v64, v65, s8
	v_cndmask_b32_e64 v66, v66, v68, s9
	s_wait_loadcnt_dscnt 0x0
	s_barrier_signal -1
	s_barrier_wait -1
	global_inv scope:SCOPE_SE
	ds_store_b8 v1, v64
	ds_store_b8 v1, v66 offset:1
	ds_store_b8 v1, v69 offset:2
	v_mov_b32_e32 v66, v55
	s_wait_loadcnt_dscnt 0x0
	s_barrier_signal -1
	s_barrier_wait -1
	global_inv scope:SCOPE_SE
	s_and_saveexec_b32 s9, s3
	s_cbranch_execz .LBB75_42
; %bb.39:                               ;   in Loop: Header=BB75_2 Depth=1
	v_mov_b32_e32 v66, v55
	v_mov_b32_e32 v64, v47
	s_mov_b32 s10, 0
.LBB75_40:                              ;   Parent Loop BB75_2 Depth=1
                                        ; =>  This Inner Loop Header: Depth=2
	s_delay_alu instid0(VALU_DEP_1) | instskip(NEXT) | instid1(VALU_DEP_1)
	v_sub_nc_u32_e32 v65, v64, v66
	v_lshrrev_b32_e32 v65, 1, v65
	s_delay_alu instid0(VALU_DEP_1) | instskip(NEXT) | instid1(VALU_DEP_1)
	v_add_nc_u32_e32 v65, v65, v66
	v_add_nc_u32_e32 v67, v8, v65
	v_xad_u32 v68, v65, -1, v32
	v_add_nc_u32_e32 v69, 1, v65
	ds_load_i8 v67, v67
	ds_load_i8 v68, v68 offset:24
	s_wait_dscnt 0x0
	v_cmp_lt_i16_e64 s8, v68, v67
	s_wait_alu 0xf1ff
	s_delay_alu instid0(VALU_DEP_1) | instskip(SKIP_1) | instid1(VALU_DEP_1)
	v_cndmask_b32_e64 v64, v64, v65, s8
	v_cndmask_b32_e64 v66, v69, v66, s8
	v_cmp_ge_i32_e64 s8, v66, v64
	s_wait_alu 0xfffe
	s_or_b32 s10, s8, s10
	s_wait_alu 0xfffe
	s_and_not1_b32 exec_lo, exec_lo, s10
	s_cbranch_execnz .LBB75_40
; %bb.41:                               ;   in Loop: Header=BB75_2 Depth=1
	s_or_b32 exec_lo, exec_lo, s10
.LBB75_42:                              ;   in Loop: Header=BB75_2 Depth=1
	s_wait_alu 0xfffe
	s_or_b32 exec_lo, exec_lo, s9
	v_add_nc_u32_e32 v67, v66, v8
	v_sub_nc_u32_e32 v70, v32, v66
	v_sub_nc_u32_e32 v69, v39, v66
                                        ; implicit-def: $vgpr66
	ds_load_u8 v64, v67
	ds_load_u8 v65, v70 offset:24
	v_cmp_le_i32_e64 s8, v19, v67
	v_cmp_gt_i32_e64 s10, v20, v69
	s_wait_dscnt 0x1
	v_bfe_i32 v64, v64, 0, 8
	s_wait_dscnt 0x0
	v_bfe_i32 v65, v65, 0, 8
	s_delay_alu instid0(VALU_DEP_1)
	v_cmp_lt_i16_e64 s9, v65, v64
	s_or_b32 s8, s8, s9
	s_wait_alu 0xfffe
	s_and_b32 s8, s10, s8
	s_wait_alu 0xfffe
	s_xor_b32 s9, s8, -1
	s_wait_alu 0xfffe
	s_and_saveexec_b32 s10, s9
	s_wait_alu 0xfffe
	s_xor_b32 s9, exec_lo, s10
; %bb.43:                               ;   in Loop: Header=BB75_2 Depth=1
	ds_load_u8 v66, v67 offset:1
                                        ; implicit-def: $vgpr70
; %bb.44:                               ;   in Loop: Header=BB75_2 Depth=1
	s_wait_alu 0xfffe
	s_or_saveexec_b32 s9, s9
	v_mov_b32_e32 v68, v65
	s_wait_alu 0xfffe
	s_xor_b32 exec_lo, exec_lo, s9
	s_cbranch_execz .LBB75_46
; %bb.45:                               ;   in Loop: Header=BB75_2 Depth=1
	ds_load_u8 v68, v70 offset:25
	s_wait_dscnt 0x1
	v_mov_b32_e32 v66, v64
.LBB75_46:                              ;   in Loop: Header=BB75_2 Depth=1
	s_or_b32 exec_lo, exec_lo, s9
	v_add_nc_u32_e32 v70, 1, v67
	v_add_nc_u32_e32 v72, 1, v69
	s_wait_dscnt 0x0
	v_bfe_i32 v73, v66, 0, 8
	s_delay_alu instid0(VALU_DEP_3) | instskip(SKIP_2) | instid1(VALU_DEP_3)
	v_cndmask_b32_e64 v71, v70, v67, s8
	v_bfe_i32 v70, v68, 0, 8
	v_cndmask_b32_e64 v72, v69, v72, s8
	v_cmp_ge_i32_e64 s9, v71, v19
	s_delay_alu instid0(VALU_DEP_3) | instskip(NEXT) | instid1(VALU_DEP_3)
	v_cmp_lt_i16_e64 s10, v70, v73
	v_cmp_lt_i32_e64 s11, v72, v20
                                        ; implicit-def: $vgpr70
	s_or_b32 s9, s9, s10
	s_wait_alu 0xfffe
	s_and_b32 s9, s11, s9
	s_wait_alu 0xfffe
	s_xor_b32 s10, s9, -1
	s_wait_alu 0xfffe
	s_and_saveexec_b32 s11, s10
	s_wait_alu 0xfffe
	s_xor_b32 s10, exec_lo, s11
; %bb.47:                               ;   in Loop: Header=BB75_2 Depth=1
	ds_load_u8 v70, v71 offset:1
; %bb.48:                               ;   in Loop: Header=BB75_2 Depth=1
	s_wait_alu 0xfffe
	s_or_saveexec_b32 s10, s10
	v_mov_b32_e32 v73, v68
	s_wait_alu 0xfffe
	s_xor_b32 exec_lo, exec_lo, s10
	s_cbranch_execz .LBB75_50
; %bb.49:                               ;   in Loop: Header=BB75_2 Depth=1
	ds_load_u8 v73, v72 offset:1
	s_wait_dscnt 0x1
	v_mov_b32_e32 v70, v66
.LBB75_50:                              ;   in Loop: Header=BB75_2 Depth=1
	s_or_b32 exec_lo, exec_lo, s10
	v_add_nc_u32_e32 v74, 1, v71
	v_add_nc_u32_e32 v75, 1, v72
	s_wait_dscnt 0x0
	v_bfe_i32 v76, v70, 0, 8
	v_bfe_i32 v77, v73, 0, 8
	v_cndmask_b32_e64 v67, v67, v69, s8
	v_cndmask_b32_e64 v74, v74, v71, s9
	;; [unrolled: 1-line block ×4, first 2 shown]
	v_cmp_lt_i16_e64 s10, v77, v76
	s_wait_loadcnt 0x0
	v_cmp_ge_i32_e64 s11, v74, v19
	s_barrier_signal -1
	v_cmp_lt_i32_e64 s12, v72, v20
	s_barrier_wait -1
	global_inv scope:SCOPE_SE
	s_or_b32 s10, s11, s10
	ds_store_b8 v1, v61
	ds_store_b8 v1, v63 offset:1
	ds_store_b8 v1, v62 offset:2
	s_wait_alu 0xfffe
	s_and_b32 s10, s12, s10
	s_wait_loadcnt_dscnt 0x0
	s_wait_alu 0xfffe
	v_cndmask_b32_e64 v69, v70, v73, s10
	v_cndmask_b32_e64 v70, v74, v72, s10
	s_barrier_signal -1
	s_barrier_wait -1
	global_inv scope:SCOPE_SE
	ds_load_u8 v61, v67
	ds_load_u8 v62, v70
	;; [unrolled: 1-line block ×3, first 2 shown]
	v_cndmask_b32_e64 v64, v64, v65, s8
	v_cndmask_b32_e64 v66, v66, v68, s9
	s_wait_loadcnt_dscnt 0x0
	s_barrier_signal -1
	s_barrier_wait -1
	global_inv scope:SCOPE_SE
	ds_store_b8 v1, v64
	ds_store_b8 v1, v66 offset:1
	ds_store_b8 v1, v69 offset:2
	v_mov_b32_e32 v66, v56
	s_wait_loadcnt_dscnt 0x0
	s_barrier_signal -1
	s_barrier_wait -1
	global_inv scope:SCOPE_SE
	s_and_saveexec_b32 s9, s4
	s_cbranch_execz .LBB75_54
; %bb.51:                               ;   in Loop: Header=BB75_2 Depth=1
	v_mov_b32_e32 v66, v56
	v_mov_b32_e32 v64, v48
	s_mov_b32 s10, 0
.LBB75_52:                              ;   Parent Loop BB75_2 Depth=1
                                        ; =>  This Inner Loop Header: Depth=2
	s_delay_alu instid0(VALU_DEP_1) | instskip(NEXT) | instid1(VALU_DEP_1)
	v_sub_nc_u32_e32 v65, v64, v66
	v_lshrrev_b32_e32 v65, 1, v65
	s_delay_alu instid0(VALU_DEP_1) | instskip(NEXT) | instid1(VALU_DEP_1)
	v_add_nc_u32_e32 v65, v65, v66
	v_add_nc_u32_e32 v67, v9, v65
	v_xad_u32 v68, v65, -1, v33
	v_add_nc_u32_e32 v69, 1, v65
	ds_load_i8 v67, v67
	ds_load_i8 v68, v68 offset:48
	s_wait_dscnt 0x0
	v_cmp_lt_i16_e64 s8, v68, v67
	s_wait_alu 0xf1ff
	s_delay_alu instid0(VALU_DEP_1) | instskip(SKIP_1) | instid1(VALU_DEP_1)
	v_cndmask_b32_e64 v64, v64, v65, s8
	v_cndmask_b32_e64 v66, v69, v66, s8
	v_cmp_ge_i32_e64 s8, v66, v64
	s_wait_alu 0xfffe
	s_or_b32 s10, s8, s10
	s_wait_alu 0xfffe
	s_and_not1_b32 exec_lo, exec_lo, s10
	s_cbranch_execnz .LBB75_52
; %bb.53:                               ;   in Loop: Header=BB75_2 Depth=1
	s_or_b32 exec_lo, exec_lo, s10
.LBB75_54:                              ;   in Loop: Header=BB75_2 Depth=1
	s_wait_alu 0xfffe
	s_or_b32 exec_lo, exec_lo, s9
	v_add_nc_u32_e32 v67, v66, v9
	v_sub_nc_u32_e32 v70, v33, v66
	v_sub_nc_u32_e32 v69, v40, v66
                                        ; implicit-def: $vgpr66
	ds_load_u8 v64, v67
	ds_load_u8 v65, v70 offset:48
	v_cmp_le_i32_e64 s8, v21, v67
	v_cmp_gt_i32_e64 s10, v22, v69
	s_wait_dscnt 0x1
	v_bfe_i32 v64, v64, 0, 8
	s_wait_dscnt 0x0
	v_bfe_i32 v65, v65, 0, 8
	s_delay_alu instid0(VALU_DEP_1)
	v_cmp_lt_i16_e64 s9, v65, v64
	s_or_b32 s8, s8, s9
	s_wait_alu 0xfffe
	s_and_b32 s8, s10, s8
	s_wait_alu 0xfffe
	s_xor_b32 s9, s8, -1
	s_wait_alu 0xfffe
	s_and_saveexec_b32 s10, s9
	s_wait_alu 0xfffe
	s_xor_b32 s9, exec_lo, s10
; %bb.55:                               ;   in Loop: Header=BB75_2 Depth=1
	ds_load_u8 v66, v67 offset:1
                                        ; implicit-def: $vgpr70
; %bb.56:                               ;   in Loop: Header=BB75_2 Depth=1
	s_wait_alu 0xfffe
	s_or_saveexec_b32 s9, s9
	v_mov_b32_e32 v68, v65
	s_wait_alu 0xfffe
	s_xor_b32 exec_lo, exec_lo, s9
	s_cbranch_execz .LBB75_58
; %bb.57:                               ;   in Loop: Header=BB75_2 Depth=1
	ds_load_u8 v68, v70 offset:49
	s_wait_dscnt 0x1
	v_mov_b32_e32 v66, v64
.LBB75_58:                              ;   in Loop: Header=BB75_2 Depth=1
	s_or_b32 exec_lo, exec_lo, s9
	v_add_nc_u32_e32 v70, 1, v67
	v_add_nc_u32_e32 v72, 1, v69
	s_wait_dscnt 0x0
	v_bfe_i32 v73, v66, 0, 8
	s_delay_alu instid0(VALU_DEP_3) | instskip(SKIP_2) | instid1(VALU_DEP_3)
	v_cndmask_b32_e64 v71, v70, v67, s8
	v_bfe_i32 v70, v68, 0, 8
	v_cndmask_b32_e64 v72, v69, v72, s8
	v_cmp_ge_i32_e64 s9, v71, v21
	s_delay_alu instid0(VALU_DEP_3) | instskip(NEXT) | instid1(VALU_DEP_3)
	v_cmp_lt_i16_e64 s10, v70, v73
	v_cmp_lt_i32_e64 s11, v72, v22
                                        ; implicit-def: $vgpr70
	s_or_b32 s9, s9, s10
	s_wait_alu 0xfffe
	s_and_b32 s9, s11, s9
	s_wait_alu 0xfffe
	s_xor_b32 s10, s9, -1
	s_wait_alu 0xfffe
	s_and_saveexec_b32 s11, s10
	s_wait_alu 0xfffe
	s_xor_b32 s10, exec_lo, s11
; %bb.59:                               ;   in Loop: Header=BB75_2 Depth=1
	ds_load_u8 v70, v71 offset:1
; %bb.60:                               ;   in Loop: Header=BB75_2 Depth=1
	s_wait_alu 0xfffe
	s_or_saveexec_b32 s10, s10
	v_mov_b32_e32 v73, v68
	s_wait_alu 0xfffe
	s_xor_b32 exec_lo, exec_lo, s10
	s_cbranch_execz .LBB75_62
; %bb.61:                               ;   in Loop: Header=BB75_2 Depth=1
	ds_load_u8 v73, v72 offset:1
	s_wait_dscnt 0x1
	v_mov_b32_e32 v70, v66
.LBB75_62:                              ;   in Loop: Header=BB75_2 Depth=1
	s_or_b32 exec_lo, exec_lo, s10
	v_add_nc_u32_e32 v74, 1, v71
	v_add_nc_u32_e32 v75, 1, v72
	s_wait_dscnt 0x0
	v_bfe_i32 v76, v70, 0, 8
	v_bfe_i32 v77, v73, 0, 8
	v_cndmask_b32_e64 v67, v67, v69, s8
	v_cndmask_b32_e64 v74, v74, v71, s9
	v_cndmask_b32_e64 v71, v71, v72, s9
	v_cndmask_b32_e64 v72, v72, v75, s9
	v_cmp_lt_i16_e64 s10, v77, v76
	s_wait_loadcnt 0x0
	v_cmp_ge_i32_e64 s11, v74, v21
	s_barrier_signal -1
	v_cmp_lt_i32_e64 s12, v72, v22
	s_barrier_wait -1
	global_inv scope:SCOPE_SE
	s_or_b32 s10, s11, s10
	ds_store_b8 v1, v61
	ds_store_b8 v1, v63 offset:1
	ds_store_b8 v1, v62 offset:2
	s_wait_alu 0xfffe
	s_and_b32 s10, s12, s10
	s_wait_loadcnt_dscnt 0x0
	s_wait_alu 0xfffe
	v_cndmask_b32_e64 v69, v70, v73, s10
	v_cndmask_b32_e64 v70, v74, v72, s10
	s_barrier_signal -1
	s_barrier_wait -1
	global_inv scope:SCOPE_SE
	ds_load_u8 v61, v67
	ds_load_u8 v62, v70
	;; [unrolled: 1-line block ×3, first 2 shown]
	v_cndmask_b32_e64 v64, v64, v65, s8
	v_cndmask_b32_e64 v66, v66, v68, s9
	s_wait_loadcnt_dscnt 0x0
	s_barrier_signal -1
	s_barrier_wait -1
	global_inv scope:SCOPE_SE
	ds_store_b8 v1, v64
	ds_store_b8 v1, v66 offset:1
	ds_store_b8 v1, v69 offset:2
	v_mov_b32_e32 v66, v57
	s_wait_loadcnt_dscnt 0x0
	s_barrier_signal -1
	s_barrier_wait -1
	global_inv scope:SCOPE_SE
	s_and_saveexec_b32 s9, s5
	s_cbranch_execz .LBB75_66
; %bb.63:                               ;   in Loop: Header=BB75_2 Depth=1
	v_mov_b32_e32 v66, v57
	v_mov_b32_e32 v64, v49
	s_mov_b32 s10, 0
.LBB75_64:                              ;   Parent Loop BB75_2 Depth=1
                                        ; =>  This Inner Loop Header: Depth=2
	s_delay_alu instid0(VALU_DEP_1) | instskip(NEXT) | instid1(VALU_DEP_1)
	v_sub_nc_u32_e32 v65, v64, v66
	v_lshrrev_b32_e32 v65, 1, v65
	s_delay_alu instid0(VALU_DEP_1) | instskip(NEXT) | instid1(VALU_DEP_1)
	v_add_nc_u32_e32 v65, v65, v66
	v_add_nc_u32_e32 v67, v10, v65
	v_xad_u32 v68, v65, -1, v34
	v_add_nc_u32_e32 v69, 1, v65
	ds_load_i8 v67, v67
	ds_load_i8 v68, v68 offset:96
	s_wait_dscnt 0x0
	v_cmp_lt_i16_e64 s8, v68, v67
	s_wait_alu 0xf1ff
	s_delay_alu instid0(VALU_DEP_1) | instskip(SKIP_1) | instid1(VALU_DEP_1)
	v_cndmask_b32_e64 v64, v64, v65, s8
	v_cndmask_b32_e64 v66, v69, v66, s8
	v_cmp_ge_i32_e64 s8, v66, v64
	s_wait_alu 0xfffe
	s_or_b32 s10, s8, s10
	s_wait_alu 0xfffe
	s_and_not1_b32 exec_lo, exec_lo, s10
	s_cbranch_execnz .LBB75_64
; %bb.65:                               ;   in Loop: Header=BB75_2 Depth=1
	s_or_b32 exec_lo, exec_lo, s10
.LBB75_66:                              ;   in Loop: Header=BB75_2 Depth=1
	s_wait_alu 0xfffe
	s_or_b32 exec_lo, exec_lo, s9
	v_add_nc_u32_e32 v67, v66, v10
	v_sub_nc_u32_e32 v70, v34, v66
	v_sub_nc_u32_e32 v69, v41, v66
                                        ; implicit-def: $vgpr66
	ds_load_u8 v64, v67
	ds_load_u8 v65, v70 offset:96
	v_cmp_le_i32_e64 s8, v23, v67
	v_cmp_gt_i32_e64 s10, v24, v69
	s_wait_dscnt 0x1
	v_bfe_i32 v64, v64, 0, 8
	s_wait_dscnt 0x0
	v_bfe_i32 v65, v65, 0, 8
	s_delay_alu instid0(VALU_DEP_1)
	v_cmp_lt_i16_e64 s9, v65, v64
	s_or_b32 s8, s8, s9
	s_wait_alu 0xfffe
	s_and_b32 s8, s10, s8
	s_wait_alu 0xfffe
	s_xor_b32 s9, s8, -1
	s_wait_alu 0xfffe
	s_and_saveexec_b32 s10, s9
	s_wait_alu 0xfffe
	s_xor_b32 s9, exec_lo, s10
; %bb.67:                               ;   in Loop: Header=BB75_2 Depth=1
	ds_load_u8 v66, v67 offset:1
                                        ; implicit-def: $vgpr70
; %bb.68:                               ;   in Loop: Header=BB75_2 Depth=1
	s_wait_alu 0xfffe
	s_or_saveexec_b32 s9, s9
	v_mov_b32_e32 v68, v65
	s_wait_alu 0xfffe
	s_xor_b32 exec_lo, exec_lo, s9
	s_cbranch_execz .LBB75_70
; %bb.69:                               ;   in Loop: Header=BB75_2 Depth=1
	ds_load_u8 v68, v70 offset:97
	s_wait_dscnt 0x1
	v_mov_b32_e32 v66, v64
.LBB75_70:                              ;   in Loop: Header=BB75_2 Depth=1
	s_or_b32 exec_lo, exec_lo, s9
	v_add_nc_u32_e32 v70, 1, v67
	v_add_nc_u32_e32 v72, 1, v69
	s_wait_dscnt 0x0
	v_bfe_i32 v73, v66, 0, 8
	s_delay_alu instid0(VALU_DEP_3) | instskip(SKIP_2) | instid1(VALU_DEP_3)
	v_cndmask_b32_e64 v71, v70, v67, s8
	v_bfe_i32 v70, v68, 0, 8
	v_cndmask_b32_e64 v72, v69, v72, s8
	v_cmp_ge_i32_e64 s9, v71, v23
	s_delay_alu instid0(VALU_DEP_3) | instskip(NEXT) | instid1(VALU_DEP_3)
	v_cmp_lt_i16_e64 s10, v70, v73
	v_cmp_lt_i32_e64 s11, v72, v24
                                        ; implicit-def: $vgpr70
	s_or_b32 s9, s9, s10
	s_wait_alu 0xfffe
	s_and_b32 s9, s11, s9
	s_wait_alu 0xfffe
	s_xor_b32 s10, s9, -1
	s_wait_alu 0xfffe
	s_and_saveexec_b32 s11, s10
	s_wait_alu 0xfffe
	s_xor_b32 s10, exec_lo, s11
; %bb.71:                               ;   in Loop: Header=BB75_2 Depth=1
	ds_load_u8 v70, v71 offset:1
; %bb.72:                               ;   in Loop: Header=BB75_2 Depth=1
	s_wait_alu 0xfffe
	s_or_saveexec_b32 s10, s10
	v_mov_b32_e32 v73, v68
	s_wait_alu 0xfffe
	s_xor_b32 exec_lo, exec_lo, s10
	s_cbranch_execz .LBB75_74
; %bb.73:                               ;   in Loop: Header=BB75_2 Depth=1
	ds_load_u8 v73, v72 offset:1
	s_wait_dscnt 0x1
	v_mov_b32_e32 v70, v66
.LBB75_74:                              ;   in Loop: Header=BB75_2 Depth=1
	s_or_b32 exec_lo, exec_lo, s10
	v_add_nc_u32_e32 v74, 1, v71
	v_add_nc_u32_e32 v75, 1, v72
	s_wait_dscnt 0x0
	v_bfe_i32 v76, v70, 0, 8
	v_bfe_i32 v77, v73, 0, 8
	v_cndmask_b32_e64 v67, v67, v69, s8
	v_cndmask_b32_e64 v74, v74, v71, s9
	v_cndmask_b32_e64 v71, v71, v72, s9
	v_cndmask_b32_e64 v72, v72, v75, s9
	v_cmp_lt_i16_e64 s10, v77, v76
	s_wait_loadcnt 0x0
	v_cmp_ge_i32_e64 s11, v74, v23
	s_barrier_signal -1
	v_cmp_lt_i32_e64 s12, v72, v24
	s_barrier_wait -1
	global_inv scope:SCOPE_SE
	s_or_b32 s10, s11, s10
	ds_store_b8 v1, v61
	ds_store_b8 v1, v63 offset:1
	ds_store_b8 v1, v62 offset:2
	s_wait_alu 0xfffe
	s_and_b32 s10, s12, s10
	s_wait_loadcnt_dscnt 0x0
	s_wait_alu 0xfffe
	v_cndmask_b32_e64 v69, v70, v73, s10
	v_cndmask_b32_e64 v70, v74, v72, s10
	s_barrier_signal -1
	s_barrier_wait -1
	global_inv scope:SCOPE_SE
	ds_load_u8 v61, v67
	ds_load_u8 v62, v70
	;; [unrolled: 1-line block ×3, first 2 shown]
	v_cndmask_b32_e64 v64, v64, v65, s8
	v_cndmask_b32_e64 v66, v66, v68, s9
	s_wait_loadcnt_dscnt 0x0
	s_barrier_signal -1
	s_barrier_wait -1
	global_inv scope:SCOPE_SE
	ds_store_b8 v1, v64
	ds_store_b8 v1, v66 offset:1
	ds_store_b8 v1, v69 offset:2
	v_mov_b32_e32 v66, v58
	s_wait_loadcnt_dscnt 0x0
	s_barrier_signal -1
	s_barrier_wait -1
	global_inv scope:SCOPE_SE
	s_and_saveexec_b32 s9, s6
	s_cbranch_execz .LBB75_78
; %bb.75:                               ;   in Loop: Header=BB75_2 Depth=1
	v_mov_b32_e32 v66, v58
	v_mov_b32_e32 v64, v50
	s_mov_b32 s10, 0
.LBB75_76:                              ;   Parent Loop BB75_2 Depth=1
                                        ; =>  This Inner Loop Header: Depth=2
	s_delay_alu instid0(VALU_DEP_1) | instskip(NEXT) | instid1(VALU_DEP_1)
	v_sub_nc_u32_e32 v65, v64, v66
	v_lshrrev_b32_e32 v65, 1, v65
	s_delay_alu instid0(VALU_DEP_1) | instskip(NEXT) | instid1(VALU_DEP_1)
	v_add_nc_u32_e32 v65, v65, v66
	v_add_nc_u32_e32 v67, v11, v65
	v_xad_u32 v68, v65, -1, v35
	v_add_nc_u32_e32 v69, 1, v65
	ds_load_i8 v67, v67
	ds_load_i8 v68, v68 offset:192
	s_wait_dscnt 0x0
	v_cmp_lt_i16_e64 s8, v68, v67
	s_wait_alu 0xf1ff
	s_delay_alu instid0(VALU_DEP_1) | instskip(SKIP_1) | instid1(VALU_DEP_1)
	v_cndmask_b32_e64 v64, v64, v65, s8
	v_cndmask_b32_e64 v66, v69, v66, s8
	v_cmp_ge_i32_e64 s8, v66, v64
	s_wait_alu 0xfffe
	s_or_b32 s10, s8, s10
	s_wait_alu 0xfffe
	s_and_not1_b32 exec_lo, exec_lo, s10
	s_cbranch_execnz .LBB75_76
; %bb.77:                               ;   in Loop: Header=BB75_2 Depth=1
	s_or_b32 exec_lo, exec_lo, s10
.LBB75_78:                              ;   in Loop: Header=BB75_2 Depth=1
	s_wait_alu 0xfffe
	s_or_b32 exec_lo, exec_lo, s9
	v_add_nc_u32_e32 v67, v66, v11
	v_sub_nc_u32_e32 v70, v35, v66
	v_sub_nc_u32_e32 v69, v42, v66
                                        ; implicit-def: $vgpr66
	ds_load_u8 v64, v67
	ds_load_u8 v65, v70 offset:192
	v_cmp_le_i32_e64 s8, v25, v67
	v_cmp_gt_i32_e64 s10, v26, v69
	s_wait_dscnt 0x1
	v_bfe_i32 v64, v64, 0, 8
	s_wait_dscnt 0x0
	v_bfe_i32 v65, v65, 0, 8
	s_delay_alu instid0(VALU_DEP_1)
	v_cmp_lt_i16_e64 s9, v65, v64
	s_or_b32 s8, s8, s9
	s_wait_alu 0xfffe
	s_and_b32 s8, s10, s8
	s_wait_alu 0xfffe
	s_xor_b32 s9, s8, -1
	s_wait_alu 0xfffe
	s_and_saveexec_b32 s10, s9
	s_wait_alu 0xfffe
	s_xor_b32 s9, exec_lo, s10
; %bb.79:                               ;   in Loop: Header=BB75_2 Depth=1
	ds_load_u8 v66, v67 offset:1
                                        ; implicit-def: $vgpr70
; %bb.80:                               ;   in Loop: Header=BB75_2 Depth=1
	s_wait_alu 0xfffe
	s_or_saveexec_b32 s9, s9
	v_mov_b32_e32 v68, v65
	s_wait_alu 0xfffe
	s_xor_b32 exec_lo, exec_lo, s9
	s_cbranch_execz .LBB75_82
; %bb.81:                               ;   in Loop: Header=BB75_2 Depth=1
	ds_load_u8 v68, v70 offset:193
	s_wait_dscnt 0x1
	v_mov_b32_e32 v66, v64
.LBB75_82:                              ;   in Loop: Header=BB75_2 Depth=1
	s_or_b32 exec_lo, exec_lo, s9
	v_add_nc_u32_e32 v70, 1, v67
	v_add_nc_u32_e32 v72, 1, v69
	s_wait_dscnt 0x0
	v_bfe_i32 v73, v66, 0, 8
	s_delay_alu instid0(VALU_DEP_3) | instskip(SKIP_2) | instid1(VALU_DEP_3)
	v_cndmask_b32_e64 v71, v70, v67, s8
	v_bfe_i32 v70, v68, 0, 8
	v_cndmask_b32_e64 v72, v69, v72, s8
	v_cmp_ge_i32_e64 s9, v71, v25
	s_delay_alu instid0(VALU_DEP_3) | instskip(NEXT) | instid1(VALU_DEP_3)
	v_cmp_lt_i16_e64 s10, v70, v73
	v_cmp_lt_i32_e64 s11, v72, v26
                                        ; implicit-def: $vgpr70
	s_or_b32 s9, s9, s10
	s_wait_alu 0xfffe
	s_and_b32 s9, s11, s9
	s_wait_alu 0xfffe
	s_xor_b32 s10, s9, -1
	s_wait_alu 0xfffe
	s_and_saveexec_b32 s11, s10
	s_wait_alu 0xfffe
	s_xor_b32 s10, exec_lo, s11
; %bb.83:                               ;   in Loop: Header=BB75_2 Depth=1
	ds_load_u8 v70, v71 offset:1
; %bb.84:                               ;   in Loop: Header=BB75_2 Depth=1
	s_wait_alu 0xfffe
	s_or_saveexec_b32 s10, s10
	v_mov_b32_e32 v73, v68
	s_wait_alu 0xfffe
	s_xor_b32 exec_lo, exec_lo, s10
	s_cbranch_execz .LBB75_86
; %bb.85:                               ;   in Loop: Header=BB75_2 Depth=1
	ds_load_u8 v73, v72 offset:1
	s_wait_dscnt 0x1
	v_mov_b32_e32 v70, v66
.LBB75_86:                              ;   in Loop: Header=BB75_2 Depth=1
	s_or_b32 exec_lo, exec_lo, s10
	v_add_nc_u32_e32 v74, 1, v71
	v_add_nc_u32_e32 v75, 1, v72
	s_wait_dscnt 0x0
	v_bfe_i32 v76, v70, 0, 8
	v_bfe_i32 v77, v73, 0, 8
	v_cndmask_b32_e64 v67, v67, v69, s8
	v_cndmask_b32_e64 v74, v74, v71, s9
	;; [unrolled: 1-line block ×4, first 2 shown]
	v_cmp_lt_i16_e64 s10, v77, v76
	s_wait_loadcnt 0x0
	v_cmp_ge_i32_e64 s11, v74, v25
	s_barrier_signal -1
	v_cmp_lt_i32_e64 s12, v72, v26
	s_barrier_wait -1
	global_inv scope:SCOPE_SE
	s_or_b32 s10, s11, s10
	ds_store_b8 v1, v61
	ds_store_b8 v1, v63 offset:1
	ds_store_b8 v1, v62 offset:2
	s_wait_alu 0xfffe
	s_and_b32 s10, s12, s10
	s_wait_loadcnt_dscnt 0x0
	s_wait_alu 0xfffe
	v_cndmask_b32_e64 v69, v70, v73, s10
	v_cndmask_b32_e64 v70, v74, v72, s10
	s_barrier_signal -1
	s_barrier_wait -1
	global_inv scope:SCOPE_SE
	ds_load_u8 v61, v67
	ds_load_u8 v62, v70
	;; [unrolled: 1-line block ×3, first 2 shown]
	v_cndmask_b32_e64 v64, v64, v65, s8
	v_cndmask_b32_e64 v66, v66, v68, s9
	s_wait_loadcnt_dscnt 0x0
	s_barrier_signal -1
	s_barrier_wait -1
	global_inv scope:SCOPE_SE
	ds_store_b8 v1, v64
	ds_store_b8 v1, v66 offset:1
	ds_store_b8 v1, v69 offset:2
	v_mov_b32_e32 v66, v59
	s_wait_loadcnt_dscnt 0x0
	s_barrier_signal -1
	s_barrier_wait -1
	global_inv scope:SCOPE_SE
	s_and_saveexec_b32 s9, s7
	s_cbranch_execz .LBB75_90
; %bb.87:                               ;   in Loop: Header=BB75_2 Depth=1
	v_mov_b32_e32 v66, v59
	v_mov_b32_e32 v64, v51
	s_mov_b32 s10, 0
.LBB75_88:                              ;   Parent Loop BB75_2 Depth=1
                                        ; =>  This Inner Loop Header: Depth=2
	s_delay_alu instid0(VALU_DEP_1) | instskip(NEXT) | instid1(VALU_DEP_1)
	v_sub_nc_u32_e32 v65, v64, v66
	v_lshrrev_b32_e32 v65, 1, v65
	s_delay_alu instid0(VALU_DEP_1) | instskip(NEXT) | instid1(VALU_DEP_1)
	v_add_nc_u32_e32 v65, v65, v66
	v_add_nc_u32_e32 v67, v12, v65
	v_xad_u32 v68, v65, -1, v60
	v_add_nc_u32_e32 v69, 1, v65
	ds_load_i8 v67, v67
	ds_load_i8 v68, v68 offset:384
	s_wait_dscnt 0x0
	v_cmp_lt_i16_e64 s8, v68, v67
	s_wait_alu 0xf1ff
	s_delay_alu instid0(VALU_DEP_1) | instskip(SKIP_1) | instid1(VALU_DEP_1)
	v_cndmask_b32_e64 v64, v64, v65, s8
	v_cndmask_b32_e64 v66, v69, v66, s8
	v_cmp_ge_i32_e64 s8, v66, v64
	s_wait_alu 0xfffe
	s_or_b32 s10, s8, s10
	s_wait_alu 0xfffe
	s_and_not1_b32 exec_lo, exec_lo, s10
	s_cbranch_execnz .LBB75_88
; %bb.89:                               ;   in Loop: Header=BB75_2 Depth=1
	s_or_b32 exec_lo, exec_lo, s10
.LBB75_90:                              ;   in Loop: Header=BB75_2 Depth=1
	s_wait_alu 0xfffe
	s_or_b32 exec_lo, exec_lo, s9
	v_add_nc_u32_e32 v67, v66, v12
	v_sub_nc_u32_e32 v70, v60, v66
	v_sub_nc_u32_e32 v69, v43, v66
                                        ; implicit-def: $vgpr66
	ds_load_u8 v64, v67
	ds_load_u8 v65, v70 offset:384
	v_cmp_le_i32_e64 s8, v27, v67
	v_cmp_gt_i32_e64 s10, v28, v69
	s_wait_dscnt 0x1
	v_bfe_i32 v64, v64, 0, 8
	s_wait_dscnt 0x0
	v_bfe_i32 v65, v65, 0, 8
	s_delay_alu instid0(VALU_DEP_1)
	v_cmp_lt_i16_e64 s9, v65, v64
	s_or_b32 s8, s8, s9
	s_wait_alu 0xfffe
	s_and_b32 s8, s10, s8
	s_wait_alu 0xfffe
	s_xor_b32 s9, s8, -1
	s_wait_alu 0xfffe
	s_and_saveexec_b32 s10, s9
	s_wait_alu 0xfffe
	s_xor_b32 s9, exec_lo, s10
; %bb.91:                               ;   in Loop: Header=BB75_2 Depth=1
	ds_load_u8 v66, v67 offset:1
                                        ; implicit-def: $vgpr70
; %bb.92:                               ;   in Loop: Header=BB75_2 Depth=1
	s_wait_alu 0xfffe
	s_or_saveexec_b32 s9, s9
	v_mov_b32_e32 v68, v65
	s_wait_alu 0xfffe
	s_xor_b32 exec_lo, exec_lo, s9
	s_cbranch_execz .LBB75_94
; %bb.93:                               ;   in Loop: Header=BB75_2 Depth=1
	ds_load_u8 v68, v70 offset:385
	s_wait_dscnt 0x1
	v_mov_b32_e32 v66, v64
.LBB75_94:                              ;   in Loop: Header=BB75_2 Depth=1
	s_or_b32 exec_lo, exec_lo, s9
	v_add_nc_u32_e32 v70, 1, v67
	v_add_nc_u32_e32 v72, 1, v69
	s_wait_dscnt 0x0
	v_bfe_i32 v73, v66, 0, 8
	s_delay_alu instid0(VALU_DEP_3) | instskip(SKIP_2) | instid1(VALU_DEP_3)
	v_cndmask_b32_e64 v71, v70, v67, s8
	v_bfe_i32 v70, v68, 0, 8
	v_cndmask_b32_e64 v72, v69, v72, s8
	v_cmp_ge_i32_e64 s9, v71, v27
	s_delay_alu instid0(VALU_DEP_3) | instskip(NEXT) | instid1(VALU_DEP_3)
	v_cmp_lt_i16_e64 s10, v70, v73
	v_cmp_lt_i32_e64 s11, v72, v28
                                        ; implicit-def: $vgpr70
	s_or_b32 s9, s9, s10
	s_wait_alu 0xfffe
	s_and_b32 s9, s11, s9
	s_wait_alu 0xfffe
	s_xor_b32 s10, s9, -1
	s_wait_alu 0xfffe
	s_and_saveexec_b32 s11, s10
	s_wait_alu 0xfffe
	s_xor_b32 s10, exec_lo, s11
; %bb.95:                               ;   in Loop: Header=BB75_2 Depth=1
	ds_load_u8 v70, v71 offset:1
; %bb.96:                               ;   in Loop: Header=BB75_2 Depth=1
	s_wait_alu 0xfffe
	s_or_saveexec_b32 s10, s10
	v_mov_b32_e32 v73, v68
	s_wait_alu 0xfffe
	s_xor_b32 exec_lo, exec_lo, s10
	s_cbranch_execz .LBB75_98
; %bb.97:                               ;   in Loop: Header=BB75_2 Depth=1
	ds_load_u8 v73, v72 offset:1
	s_wait_dscnt 0x1
	v_mov_b32_e32 v70, v66
.LBB75_98:                              ;   in Loop: Header=BB75_2 Depth=1
	s_or_b32 exec_lo, exec_lo, s10
	v_add_nc_u32_e32 v74, 1, v71
	v_add_nc_u32_e32 v75, 1, v72
	s_wait_dscnt 0x0
	v_bfe_i32 v76, v70, 0, 8
	v_bfe_i32 v77, v73, 0, 8
	v_cndmask_b32_e64 v67, v67, v69, s8
	v_cndmask_b32_e64 v74, v74, v71, s9
	;; [unrolled: 1-line block ×4, first 2 shown]
	v_cmp_lt_i16_e64 s10, v77, v76
	s_wait_loadcnt 0x0
	v_cmp_ge_i32_e64 s11, v74, v27
	s_barrier_signal -1
	v_cmp_lt_i32_e64 s12, v72, v28
	s_barrier_wait -1
	global_inv scope:SCOPE_SE
	s_or_b32 s10, s11, s10
	ds_store_b8 v1, v61
	ds_store_b8 v1, v63 offset:1
	ds_store_b8 v1, v62 offset:2
	s_wait_alu 0xfffe
	s_and_b32 s10, s12, s10
	s_wait_loadcnt_dscnt 0x0
	s_wait_alu 0xfffe
	v_cndmask_b32_e64 v69, v70, v73, s10
	v_cndmask_b32_e64 v70, v74, v72, s10
	s_barrier_signal -1
	s_barrier_wait -1
	global_inv scope:SCOPE_SE
	ds_load_u8 v61, v67
	ds_load_u8 v62, v70
	;; [unrolled: 1-line block ×3, first 2 shown]
	v_cndmask_b32_e64 v64, v64, v65, s8
	v_cndmask_b32_e64 v66, v66, v68, s9
	s_wait_loadcnt_dscnt 0x0
	s_barrier_signal -1
	s_barrier_wait -1
	global_inv scope:SCOPE_SE
	ds_store_b8 v1, v64
	ds_store_b8 v1, v66 offset:1
	ds_store_b8 v1, v69 offset:2
	v_mov_b32_e32 v64, v3
	s_wait_loadcnt_dscnt 0x0
	s_barrier_signal -1
	s_barrier_wait -1
	global_inv scope:SCOPE_SE
	s_and_saveexec_b32 s9, vcc_lo
	s_cbranch_execz .LBB75_102
; %bb.99:                               ;   in Loop: Header=BB75_2 Depth=1
	v_dual_mov_b32 v64, v3 :: v_dual_mov_b32 v65, v4
	s_mov_b32 s10, 0
.LBB75_100:                             ;   Parent Loop BB75_2 Depth=1
                                        ; =>  This Inner Loop Header: Depth=2
	s_delay_alu instid0(VALU_DEP_1) | instskip(NEXT) | instid1(VALU_DEP_1)
	v_sub_nc_u32_e32 v66, v65, v64
	v_lshrrev_b32_e32 v66, 1, v66
	s_delay_alu instid0(VALU_DEP_1) | instskip(NEXT) | instid1(VALU_DEP_1)
	v_add_nc_u32_e32 v66, v66, v64
	v_xad_u32 v67, v66, -1, v1
	v_add_nc_u32_e32 v69, 1, v66
	ds_load_i8 v68, v66
	ds_load_i8 v67, v67 offset:768
	s_wait_dscnt 0x0
	v_cmp_lt_i16_e64 s8, v67, v68
	s_wait_alu 0xf1ff
	s_delay_alu instid0(VALU_DEP_1) | instskip(SKIP_1) | instid1(VALU_DEP_1)
	v_cndmask_b32_e64 v65, v65, v66, s8
	v_cndmask_b32_e64 v64, v69, v64, s8
	v_cmp_ge_i32_e64 s8, v64, v65
	s_wait_alu 0xfffe
	s_or_b32 s10, s8, s10
	s_wait_alu 0xfffe
	s_and_not1_b32 exec_lo, exec_lo, s10
	s_cbranch_execnz .LBB75_100
; %bb.101:                              ;   in Loop: Header=BB75_2 Depth=1
	s_or_b32 exec_lo, exec_lo, s10
.LBB75_102:                             ;   in Loop: Header=BB75_2 Depth=1
	s_wait_alu 0xfffe
	s_or_b32 exec_lo, exec_lo, s9
	v_sub_nc_u32_e32 v70, v1, v64
	v_cmp_le_i32_e64 s8, 0x300, v64
                                        ; implicit-def: $vgpr68
	ds_load_u8 v65, v64
	ds_load_u8 v67, v70 offset:768
	s_wait_dscnt 0x1
	v_bfe_i32 v66, v65, 0, 8
	s_wait_dscnt 0x0
	v_bfe_i32 v67, v67, 0, 8
	v_sub_nc_u32_e32 v65, v2, v64
	s_delay_alu instid0(VALU_DEP_2) | instskip(NEXT) | instid1(VALU_DEP_2)
	v_cmp_lt_i16_e64 s9, v67, v66
	v_cmp_gt_i32_e64 s10, 0x600, v65
	s_or_b32 s8, s8, s9
	s_wait_alu 0xfffe
	s_and_b32 s8, s10, s8
	s_wait_alu 0xfffe
	s_xor_b32 s9, s8, -1
	s_wait_alu 0xfffe
	s_and_saveexec_b32 s10, s9
	s_wait_alu 0xfffe
	s_xor_b32 s9, exec_lo, s10
; %bb.103:                              ;   in Loop: Header=BB75_2 Depth=1
	ds_load_u8 v68, v64 offset:1
                                        ; implicit-def: $vgpr70
; %bb.104:                              ;   in Loop: Header=BB75_2 Depth=1
	s_wait_alu 0xfffe
	s_or_saveexec_b32 s9, s9
	v_mov_b32_e32 v69, v67
	s_wait_alu 0xfffe
	s_xor_b32 exec_lo, exec_lo, s9
	s_cbranch_execz .LBB75_106
; %bb.105:                              ;   in Loop: Header=BB75_2 Depth=1
	ds_load_u8 v69, v70 offset:769
	s_wait_dscnt 0x1
	v_mov_b32_e32 v68, v66
.LBB75_106:                             ;   in Loop: Header=BB75_2 Depth=1
	s_or_b32 exec_lo, exec_lo, s9
	v_add_nc_u32_e32 v70, 1, v64
	v_add_nc_u32_e32 v71, 1, v65
	s_wait_dscnt 0x0
	v_bfe_i32 v72, v68, 0, 8
	v_bfe_i32 v73, v69, 0, 8
	v_cndmask_b32_e64 v75, v70, v64, s8
	v_cndmask_b32_e64 v70, v65, v71, s8
                                        ; implicit-def: $vgpr71
	s_delay_alu instid0(VALU_DEP_3) | instskip(NEXT) | instid1(VALU_DEP_3)
	v_cmp_lt_i16_e64 s10, v73, v72
                                        ; implicit-def: $vgpr73
	v_cmp_le_i32_e64 s9, 0x300, v75
	s_delay_alu instid0(VALU_DEP_3)
	v_cmp_gt_i32_e64 s11, 0x600, v70
	s_or_b32 s9, s9, s10
	s_wait_alu 0xfffe
	s_and_b32 s9, s11, s9
	s_wait_alu 0xfffe
	s_xor_b32 s10, s9, -1
	s_wait_alu 0xfffe
	s_and_saveexec_b32 s11, s10
	s_wait_alu 0xfffe
	s_xor_b32 s10, exec_lo, s11
; %bb.107:                              ;   in Loop: Header=BB75_2 Depth=1
	ds_load_u8 v73, v75 offset:1
	v_add_nc_u32_e32 v71, 1, v75
; %bb.108:                              ;   in Loop: Header=BB75_2 Depth=1
	s_wait_alu 0xfffe
	s_or_saveexec_b32 s10, s10
	v_mov_b32_e32 v72, v75
	v_mov_b32_e32 v74, v69
	s_wait_alu 0xfffe
	s_xor_b32 exec_lo, exec_lo, s10
	s_cbranch_execz .LBB75_1
; %bb.109:                              ;   in Loop: Header=BB75_2 Depth=1
	ds_load_u8 v74, v70 offset:1
	s_wait_dscnt 0x1
	v_dual_mov_b32 v72, v70 :: v_dual_add_nc_u32 v73, 1, v70
	s_delay_alu instid0(VALU_DEP_1)
	v_dual_mov_b32 v71, v75 :: v_dual_mov_b32 v70, v73
	v_mov_b32_e32 v73, v68
	s_branch .LBB75_1
.LBB75_110:
	s_add_nc_u64 s[0:1], s[18:19], s[20:21]
	s_wait_dscnt 0x2
	v_add_nc_u16 v2, v67, v63
	s_wait_alu 0xfffe
	v_add_co_u32 v0, s0, s0, v0
	s_wait_alu 0xf1ff
	v_add_co_ci_u32_e64 v1, null, s1, 0, s0
	s_wait_dscnt 0x1
	v_add_nc_u16 v3, v66, v62
	s_wait_dscnt 0x0
	v_add_nc_u16 v4, v64, v61
	s_clause 0x2
	global_store_b8 v[0:1], v2, off
	global_store_b8 v[0:1], v3, off offset:512
	global_store_b8 v[0:1], v4, off offset:1024
	s_endpgm
	.section	.rodata,"a",@progbits
	.p2align	6, 0x0
	.amdhsa_kernel _Z17sort_pairs_kernelIaLj512ELj3EN10test_utils4lessELj10EEvPKT_PS2_T2_
		.amdhsa_group_segment_fixed_size 1537
		.amdhsa_private_segment_fixed_size 0
		.amdhsa_kernarg_size 20
		.amdhsa_user_sgpr_count 2
		.amdhsa_user_sgpr_dispatch_ptr 0
		.amdhsa_user_sgpr_queue_ptr 0
		.amdhsa_user_sgpr_kernarg_segment_ptr 1
		.amdhsa_user_sgpr_dispatch_id 0
		.amdhsa_user_sgpr_private_segment_size 0
		.amdhsa_wavefront_size32 1
		.amdhsa_uses_dynamic_stack 0
		.amdhsa_enable_private_segment 0
		.amdhsa_system_sgpr_workgroup_id_x 1
		.amdhsa_system_sgpr_workgroup_id_y 0
		.amdhsa_system_sgpr_workgroup_id_z 0
		.amdhsa_system_sgpr_workgroup_info 0
		.amdhsa_system_vgpr_workitem_id 0
		.amdhsa_next_free_vgpr 81
		.amdhsa_next_free_sgpr 22
		.amdhsa_reserve_vcc 1
		.amdhsa_float_round_mode_32 0
		.amdhsa_float_round_mode_16_64 0
		.amdhsa_float_denorm_mode_32 3
		.amdhsa_float_denorm_mode_16_64 3
		.amdhsa_fp16_overflow 0
		.amdhsa_workgroup_processor_mode 1
		.amdhsa_memory_ordered 1
		.amdhsa_forward_progress 1
		.amdhsa_inst_pref_size 69
		.amdhsa_round_robin_scheduling 0
		.amdhsa_exception_fp_ieee_invalid_op 0
		.amdhsa_exception_fp_denorm_src 0
		.amdhsa_exception_fp_ieee_div_zero 0
		.amdhsa_exception_fp_ieee_overflow 0
		.amdhsa_exception_fp_ieee_underflow 0
		.amdhsa_exception_fp_ieee_inexact 0
		.amdhsa_exception_int_div_zero 0
	.end_amdhsa_kernel
	.section	.text._Z17sort_pairs_kernelIaLj512ELj3EN10test_utils4lessELj10EEvPKT_PS2_T2_,"axG",@progbits,_Z17sort_pairs_kernelIaLj512ELj3EN10test_utils4lessELj10EEvPKT_PS2_T2_,comdat
.Lfunc_end75:
	.size	_Z17sort_pairs_kernelIaLj512ELj3EN10test_utils4lessELj10EEvPKT_PS2_T2_, .Lfunc_end75-_Z17sort_pairs_kernelIaLj512ELj3EN10test_utils4lessELj10EEvPKT_PS2_T2_
                                        ; -- End function
	.set _Z17sort_pairs_kernelIaLj512ELj3EN10test_utils4lessELj10EEvPKT_PS2_T2_.num_vgpr, 81
	.set _Z17sort_pairs_kernelIaLj512ELj3EN10test_utils4lessELj10EEvPKT_PS2_T2_.num_agpr, 0
	.set _Z17sort_pairs_kernelIaLj512ELj3EN10test_utils4lessELj10EEvPKT_PS2_T2_.numbered_sgpr, 22
	.set _Z17sort_pairs_kernelIaLj512ELj3EN10test_utils4lessELj10EEvPKT_PS2_T2_.num_named_barrier, 0
	.set _Z17sort_pairs_kernelIaLj512ELj3EN10test_utils4lessELj10EEvPKT_PS2_T2_.private_seg_size, 0
	.set _Z17sort_pairs_kernelIaLj512ELj3EN10test_utils4lessELj10EEvPKT_PS2_T2_.uses_vcc, 1
	.set _Z17sort_pairs_kernelIaLj512ELj3EN10test_utils4lessELj10EEvPKT_PS2_T2_.uses_flat_scratch, 0
	.set _Z17sort_pairs_kernelIaLj512ELj3EN10test_utils4lessELj10EEvPKT_PS2_T2_.has_dyn_sized_stack, 0
	.set _Z17sort_pairs_kernelIaLj512ELj3EN10test_utils4lessELj10EEvPKT_PS2_T2_.has_recursion, 0
	.set _Z17sort_pairs_kernelIaLj512ELj3EN10test_utils4lessELj10EEvPKT_PS2_T2_.has_indirect_call, 0
	.section	.AMDGPU.csdata,"",@progbits
; Kernel info:
; codeLenInByte = 8708
; TotalNumSgprs: 24
; NumVgprs: 81
; ScratchSize: 0
; MemoryBound: 0
; FloatMode: 240
; IeeeMode: 1
; LDSByteSize: 1537 bytes/workgroup (compile time only)
; SGPRBlocks: 0
; VGPRBlocks: 10
; NumSGPRsForWavesPerEU: 24
; NumVGPRsForWavesPerEU: 81
; Occupancy: 16
; WaveLimiterHint : 1
; COMPUTE_PGM_RSRC2:SCRATCH_EN: 0
; COMPUTE_PGM_RSRC2:USER_SGPR: 2
; COMPUTE_PGM_RSRC2:TRAP_HANDLER: 0
; COMPUTE_PGM_RSRC2:TGID_X_EN: 1
; COMPUTE_PGM_RSRC2:TGID_Y_EN: 0
; COMPUTE_PGM_RSRC2:TGID_Z_EN: 0
; COMPUTE_PGM_RSRC2:TIDIG_COMP_CNT: 0
	.section	.text._Z16sort_keys_kernelIaLj512ELj4EN10test_utils4lessELj10EEvPKT_PS2_T2_,"axG",@progbits,_Z16sort_keys_kernelIaLj512ELj4EN10test_utils4lessELj10EEvPKT_PS2_T2_,comdat
	.protected	_Z16sort_keys_kernelIaLj512ELj4EN10test_utils4lessELj10EEvPKT_PS2_T2_ ; -- Begin function _Z16sort_keys_kernelIaLj512ELj4EN10test_utils4lessELj10EEvPKT_PS2_T2_
	.globl	_Z16sort_keys_kernelIaLj512ELj4EN10test_utils4lessELj10EEvPKT_PS2_T2_
	.p2align	8
	.type	_Z16sort_keys_kernelIaLj512ELj4EN10test_utils4lessELj10EEvPKT_PS2_T2_,@function
_Z16sort_keys_kernelIaLj512ELj4EN10test_utils4lessELj10EEvPKT_PS2_T2_: ; @_Z16sort_keys_kernelIaLj512ELj4EN10test_utils4lessELj10EEvPKT_PS2_T2_
; %bb.0:
	s_load_b128 s[12:15], s[0:1], 0x0
	s_lshl_b32 s16, ttmp9, 11
	s_mov_b32 s17, 0
	v_lshlrev_b32_e32 v1, 2, v0
	s_mov_b32 s18, s17
	s_delay_alu instid0(VALU_DEP_1)
	v_and_b32_e32 v2, 0x7f8, v1
	v_and_b32_e32 v3, 0x7f0, v1
	;; [unrolled: 1-line block ×5, first 2 shown]
	v_or_b32_e32 v12, 4, v2
	v_add_nc_u32_e32 v13, 8, v2
	v_or_b32_e32 v14, 8, v3
	v_add_nc_u32_e32 v15, 16, v3
	v_and_b32_e32 v5, 0x7c0, v1
	v_or_b32_e32 v16, 16, v4
	v_sub_nc_u32_e32 v56, v13, v12
	s_wait_kmcnt 0x0
	s_add_nc_u64 s[0:1], s[12:13], s[16:17]
	v_add_nc_u32_e32 v17, 32, v4
	s_clause 0x3
	global_load_u8 v52, v0, s[0:1] offset:512
	global_load_u8 v53, v0, s[0:1] offset:1024
	global_load_u8 v54, v0, s[0:1]
	global_load_u8 v55, v0, s[0:1] offset:1536
	v_sub_nc_u32_e32 v36, v12, v2
	v_sub_nc_u32_e32 v57, v15, v14
	;; [unrolled: 1-line block ×3, first 2 shown]
	v_cmp_ge_i32_e64 s0, v44, v56
	v_and_b32_e32 v46, 28, v1
	v_and_b32_e32 v6, 0x780, v1
	v_or_b32_e32 v18, 32, v5
	v_add_nc_u32_e32 v19, 64, v5
	v_add_nc_u32_e32 v28, v12, v44
	v_sub_nc_u32_e32 v37, v14, v3
	v_sub_nc_u32_e32 v58, v17, v16
	v_min_i32_e32 v36, v44, v36
	v_sub_nc_u32_e32 v65, v45, v57
	v_cndmask_b32_e64 v44, 0, v64, s0
	v_cmp_ge_i32_e64 s0, v45, v57
	v_and_b32_e32 v47, 60, v1
	v_and_b32_e32 v7, 0x700, v1
	v_or_b32_e32 v20, 64, v6
	v_add_nc_u32_e32 v21, 0x80, v6
	v_add_nc_u32_e32 v29, v14, v45
	v_sub_nc_u32_e32 v38, v16, v4
	v_sub_nc_u32_e32 v59, v19, v18
	v_min_i32_e32 v37, v45, v37
	v_sub_nc_u32_e32 v66, v46, v58
	s_wait_alu 0xf1ff
	v_cndmask_b32_e64 v45, 0, v65, s0
	v_cmp_ge_i32_e64 s0, v46, v58
	v_and_b32_e32 v48, 0x7c, v1
	v_and_b32_e32 v8, 0x600, v1
	v_or_b32_e32 v22, 0x80, v7
	v_add_nc_u32_e32 v23, 0x100, v7
	v_add_nc_u32_e32 v30, v16, v46
	v_sub_nc_u32_e32 v39, v18, v5
	v_sub_nc_u32_e32 v60, v21, v20
	v_min_i32_e32 v38, v46, v38
	v_sub_nc_u32_e32 v67, v47, v59
	s_wait_alu 0xf1ff
	;; [unrolled: 12-line block ×3, first 2 shown]
	v_cndmask_b32_e64 v47, 0, v67, s0
	v_cmp_ge_i32_e64 s0, v48, v60
	v_and_b32_e32 v50, 0x1fc, v1
	v_or_b32_e32 v26, 0x200, v9
	v_add_nc_u32_e32 v27, 0x400, v9
	v_add_nc_u32_e32 v32, v20, v48
	v_sub_nc_u32_e32 v41, v22, v7
	v_sub_nc_u32_e32 v62, v25, v24
	v_min_i32_e32 v40, v48, v40
	v_sub_nc_u32_e32 v69, v49, v61
	s_wait_alu 0xf1ff
	v_cndmask_b32_e64 v48, 0, v68, s0
	v_cmp_ge_i32_e64 s0, v49, v61
	v_and_b32_e32 v51, 0x3fc, v1
	v_add_nc_u32_e32 v33, v22, v49
	v_sub_nc_u32_e32 v42, v24, v8
	v_sub_nc_u32_e32 v63, v27, v26
	v_min_i32_e32 v41, v49, v41
	v_sub_nc_u32_e32 v70, v50, v62
	s_wait_alu 0xf1ff
	v_cndmask_b32_e64 v49, 0, v69, s0
	v_cmp_ge_i32_e64 s0, v50, v62
	v_add_nc_u32_e32 v34, v24, v50
	v_sub_nc_u32_e32 v43, v26, v9
	v_min_i32_e32 v42, v50, v42
	v_sub_nc_u32_e32 v71, v51, v63
	s_wait_alu 0xf1ff
	v_cndmask_b32_e64 v50, 0, v70, s0
	v_cmp_ge_i32_e64 s0, v51, v63
	v_add_nc_u32_e32 v35, v26, v51
	v_min_i32_e32 v43, v51, v43
	v_subrev_nc_u32_e64 v10, 0x400, v1 clamp
	v_min_i32_e32 v11, 0x400, v1
	s_wait_alu 0xf1ff
	v_cndmask_b32_e64 v51, 0, v71, s0
	v_cmp_lt_i32_e64 s0, v44, v36
	v_cmp_lt_i32_e64 s1, v45, v37
	;; [unrolled: 1-line block ×8, first 2 shown]
	v_cmp_lt_i32_e32 vcc_lo, v10, v11
	s_wait_loadcnt 0x1
	v_perm_b32 v52, v54, v52, 0xc0c0004
	s_wait_loadcnt 0x0
	v_perm_b32 v53, v53, v55, 0xc0c0004
	s_delay_alu instid0(VALU_DEP_1)
	v_lshl_or_b32 v57, v53, 16, v52
	v_add_nc_u32_e32 v52, 0x400, v1
	s_branch .LBB76_2
.LBB76_1:                               ;   in Loop: Header=BB76_2 Depth=1
	s_or_b32 exec_lo, exec_lo, s11
	s_wait_dscnt 0x0
	v_bfe_i32 v62, v60, 0, 8
	v_bfe_i32 v64, v63, 0, 8
	v_cmp_le_i32_e64 s11, 0x400, v61
	v_cmp_gt_i32_e64 s13, 0x800, v59
	v_cndmask_b32_e64 v53, v53, v54, s8
	v_cndmask_b32_e64 v54, v55, v56, s9
	v_cmp_lt_i16_e64 s12, v64, v62
	v_cndmask_b32_e64 v55, v57, v58, s10
	s_add_co_i32 s18, s18, 1
	v_and_b32_e32 v58, 0xff, v53
	v_lshlrev_b16 v57, 8, v54
	s_or_b32 s8, s11, s12
	v_and_b32_e32 v59, 0xff, v55
	s_wait_alu 0xfffe
	s_and_b32 s8, s13, s8
	s_cmp_eq_u32 s18, 10
	s_wait_alu 0xfffe
	v_cndmask_b32_e64 v56, v60, v63, s8
	v_or_b32_e32 v57, v58, v57
	s_delay_alu instid0(VALU_DEP_2) | instskip(NEXT) | instid1(VALU_DEP_2)
	v_lshlrev_b16 v60, 8, v56
	v_and_b32_e32 v57, 0xffff, v57
	s_delay_alu instid0(VALU_DEP_2) | instskip(NEXT) | instid1(VALU_DEP_1)
	v_or_b32_e32 v58, v59, v60
	v_lshlrev_b32_e32 v58, 16, v58
	s_delay_alu instid0(VALU_DEP_1)
	v_or_b32_e32 v57, v57, v58
	s_cbranch_scc1 .LBB76_146
.LBB76_2:                               ; =>This Loop Header: Depth=1
                                        ;     Child Loop BB76_4 Depth 2
                                        ;     Child Loop BB76_20 Depth 2
	;; [unrolled: 1-line block ×9, first 2 shown]
	s_delay_alu instid0(VALU_DEP_1) | instskip(SKIP_3) | instid1(VALU_DEP_3)
	v_lshrrev_b32_e32 v53, 8, v57
	v_bfe_i32 v54, v57, 0, 8
	v_perm_b32 v55, v57, v57, 0x7060405
	s_barrier_signal -1
	v_bfe_i32 v53, v53, 0, 8
	s_barrier_wait -1
	global_inv scope:SCOPE_SE
	v_cmp_lt_i16_e64 s8, v53, v54
	s_wait_alu 0xf1ff
	s_delay_alu instid0(VALU_DEP_1) | instskip(NEXT) | instid1(VALU_DEP_1)
	v_cndmask_b32_e64 v55, v57, v55, s8
	v_lshrrev_b32_e32 v56, 16, v55
	v_lshrrev_b32_e32 v58, 24, v55
	s_delay_alu instid0(VALU_DEP_2) | instskip(NEXT) | instid1(VALU_DEP_2)
	v_perm_b32 v57, 0, v56, 0xc0c0001
	v_bfe_i32 v58, v58, 0, 8
	v_bfe_i32 v56, v56, 0, 8
	s_delay_alu instid0(VALU_DEP_3) | instskip(NEXT) | instid1(VALU_DEP_2)
	v_lshlrev_b32_e32 v57, 16, v57
	v_cmp_lt_i16_e64 s8, v58, v56
	v_min_i16 v59, v58, v56
	v_max_i16 v56, v58, v56
	s_delay_alu instid0(VALU_DEP_4) | instskip(NEXT) | instid1(VALU_DEP_3)
	v_and_or_b32 v57, 0xffff, v55, v57
	v_lshlrev_b16 v60, 8, v59
	s_wait_alu 0xf1ff
	s_delay_alu instid0(VALU_DEP_2) | instskip(SKIP_2) | instid1(VALU_DEP_3)
	v_cndmask_b32_e64 v55, v55, v57, s8
	v_max_i16 v57, v53, v54
	v_min_i16 v53, v53, v54
	v_and_b32_e32 v61, 0xff, v55
	s_delay_alu instid0(VALU_DEP_3)
	v_min_i16 v54, v59, v57
	v_perm_b32 v63, v57, v55, 0xc0c0304
	v_max_i16 v58, v59, v57
	v_cmp_lt_i16_e64 s8, v59, v57
	v_or_b32_e32 v60, v61, v60
	v_lshlrev_b16 v61, 8, v53
	v_and_b32_e32 v62, 0xff, v54
	v_cmp_gt_i16_e64 s9, v57, v56
	s_delay_alu instid0(VALU_DEP_4) | instskip(NEXT) | instid1(VALU_DEP_3)
	v_and_b32_e32 v60, 0xffff, v60
	v_or_b32_e32 v61, v62, v61
	v_and_b32_e32 v62, 0xff, v56
	s_wait_alu 0xf1ff
	v_cndmask_b32_e64 v56, v58, v56, s9
	v_lshl_or_b32 v60, v63, 16, v60
	v_lshlrev_b16 v63, 8, v58
	v_and_b32_e32 v61, 0xffff, v61
	s_delay_alu instid0(VALU_DEP_4) | instskip(NEXT) | instid1(VALU_DEP_4)
	v_lshlrev_b16 v58, 8, v56
	v_cndmask_b32_e64 v55, v55, v60, s8
	s_delay_alu instid0(VALU_DEP_4) | instskip(SKIP_1) | instid1(VALU_DEP_3)
	v_or_b32_e32 v60, v62, v63
	v_cmp_lt_i16_e64 s8, v59, v53
	v_and_or_b32 v61, 0xffff0000, v55, v61
	s_delay_alu instid0(VALU_DEP_3) | instskip(SKIP_1) | instid1(VALU_DEP_3)
	v_lshlrev_b32_e32 v60, 16, v60
	s_wait_alu 0xf1ff
	v_cndmask_b32_e64 v53, v54, v53, s8
	s_delay_alu instid0(VALU_DEP_3) | instskip(NEXT) | instid1(VALU_DEP_2)
	v_cndmask_b32_e64 v55, v55, v61, s8
	v_cmp_lt_i16_e64 s8, v56, v53
	s_delay_alu instid0(VALU_DEP_2) | instskip(NEXT) | instid1(VALU_DEP_1)
	v_and_or_b32 v59, 0xffff, v55, v60
	v_cndmask_b32_e64 v55, v55, v59, s9
	s_delay_alu instid0(VALU_DEP_1) | instskip(NEXT) | instid1(VALU_DEP_1)
	v_and_b32_e32 v57, 0xff, v55
	v_or_b32_e32 v54, v57, v58
	v_perm_b32 v57, v53, v55, 0xc0c0304
	s_delay_alu instid0(VALU_DEP_2) | instskip(NEXT) | instid1(VALU_DEP_1)
	v_dual_mov_b32 v53, v44 :: v_dual_and_b32 v54, 0xffff, v54
	v_lshl_or_b32 v54, v57, 16, v54
	s_wait_alu 0xf1ff
	s_delay_alu instid0(VALU_DEP_1)
	v_cndmask_b32_e64 v54, v55, v54, s8
	ds_store_b32 v1, v54
	s_wait_loadcnt_dscnt 0x0
	s_barrier_signal -1
	s_barrier_wait -1
	global_inv scope:SCOPE_SE
	s_and_saveexec_b32 s9, s0
	s_cbranch_execz .LBB76_6
; %bb.3:                                ;   in Loop: Header=BB76_2 Depth=1
	v_dual_mov_b32 v53, v44 :: v_dual_mov_b32 v54, v36
	s_mov_b32 s10, 0
.LBB76_4:                               ;   Parent Loop BB76_2 Depth=1
                                        ; =>  This Inner Loop Header: Depth=2
	s_delay_alu instid0(VALU_DEP_1) | instskip(NEXT) | instid1(VALU_DEP_1)
	v_sub_nc_u32_e32 v55, v54, v53
	v_lshrrev_b32_e32 v55, 1, v55
	s_delay_alu instid0(VALU_DEP_1) | instskip(NEXT) | instid1(VALU_DEP_1)
	v_add_nc_u32_e32 v55, v55, v53
	v_add_nc_u32_e32 v56, v2, v55
	v_xad_u32 v57, v55, -1, v28
	v_add_nc_u32_e32 v58, 1, v55
	ds_load_i8 v56, v56
	ds_load_i8 v57, v57
	s_wait_dscnt 0x0
	v_cmp_lt_i16_e64 s8, v57, v56
	s_wait_alu 0xf1ff
	s_delay_alu instid0(VALU_DEP_1) | instskip(SKIP_1) | instid1(VALU_DEP_1)
	v_cndmask_b32_e64 v54, v54, v55, s8
	v_cndmask_b32_e64 v53, v58, v53, s8
	v_cmp_ge_i32_e64 s8, v53, v54
	s_wait_alu 0xfffe
	s_or_b32 s10, s8, s10
	s_wait_alu 0xfffe
	s_and_not1_b32 exec_lo, exec_lo, s10
	s_cbranch_execnz .LBB76_4
; %bb.5:                                ;   in Loop: Header=BB76_2 Depth=1
	s_or_b32 exec_lo, exec_lo, s10
.LBB76_6:                               ;   in Loop: Header=BB76_2 Depth=1
	s_wait_alu 0xfffe
	s_or_b32 exec_lo, exec_lo, s9
	v_add_nc_u32_e32 v58, v53, v2
	v_sub_nc_u32_e32 v57, v28, v53
                                        ; implicit-def: $vgpr55
	ds_load_u8 v53, v58
	ds_load_u8 v54, v57
	v_cmp_le_i32_e64 s8, v12, v58
	v_cmp_gt_i32_e64 s10, v13, v57
	s_wait_dscnt 0x1
	v_bfe_i32 v53, v53, 0, 8
	s_wait_dscnt 0x0
	v_bfe_i32 v54, v54, 0, 8
	s_delay_alu instid0(VALU_DEP_1)
	v_cmp_lt_i16_e64 s9, v54, v53
	s_or_b32 s8, s8, s9
	s_wait_alu 0xfffe
	s_and_b32 s8, s10, s8
	s_wait_alu 0xfffe
	s_xor_b32 s9, s8, -1
	s_wait_alu 0xfffe
	s_and_saveexec_b32 s10, s9
	s_wait_alu 0xfffe
	s_xor_b32 s9, exec_lo, s10
; %bb.7:                                ;   in Loop: Header=BB76_2 Depth=1
	ds_load_u8 v55, v58 offset:1
; %bb.8:                                ;   in Loop: Header=BB76_2 Depth=1
	s_wait_alu 0xfffe
	s_or_saveexec_b32 s9, s9
	v_mov_b32_e32 v56, v54
	s_wait_alu 0xfffe
	s_xor_b32 exec_lo, exec_lo, s9
	s_cbranch_execz .LBB76_10
; %bb.9:                                ;   in Loop: Header=BB76_2 Depth=1
	ds_load_u8 v56, v57 offset:1
	s_wait_dscnt 0x1
	v_mov_b32_e32 v55, v53
.LBB76_10:                              ;   in Loop: Header=BB76_2 Depth=1
	s_or_b32 exec_lo, exec_lo, s9
	v_add_nc_u32_e32 v59, 1, v58
	v_add_nc_u32_e32 v61, 1, v57
	s_wait_dscnt 0x0
	v_bfe_i32 v62, v55, 0, 8
	s_delay_alu instid0(VALU_DEP_3) | instskip(SKIP_2) | instid1(VALU_DEP_3)
	v_cndmask_b32_e64 v60, v59, v58, s8
	v_bfe_i32 v58, v56, 0, 8
	v_cndmask_b32_e64 v59, v57, v61, s8
                                        ; implicit-def: $vgpr57
	v_cmp_ge_i32_e64 s9, v60, v12
	s_delay_alu instid0(VALU_DEP_3) | instskip(NEXT) | instid1(VALU_DEP_3)
	v_cmp_lt_i16_e64 s10, v58, v62
	v_cmp_lt_i32_e64 s11, v59, v13
	s_or_b32 s9, s9, s10
	s_wait_alu 0xfffe
	s_and_b32 s9, s11, s9
	s_wait_alu 0xfffe
	s_xor_b32 s10, s9, -1
	s_wait_alu 0xfffe
	s_and_saveexec_b32 s11, s10
	s_wait_alu 0xfffe
	s_xor_b32 s10, exec_lo, s11
; %bb.11:                               ;   in Loop: Header=BB76_2 Depth=1
	ds_load_u8 v57, v60 offset:1
; %bb.12:                               ;   in Loop: Header=BB76_2 Depth=1
	s_wait_alu 0xfffe
	s_or_saveexec_b32 s10, s10
	v_mov_b32_e32 v58, v56
	s_wait_alu 0xfffe
	s_xor_b32 exec_lo, exec_lo, s10
	s_cbranch_execz .LBB76_14
; %bb.13:                               ;   in Loop: Header=BB76_2 Depth=1
	ds_load_u8 v58, v59 offset:1
	s_wait_dscnt 0x1
	v_mov_b32_e32 v57, v55
.LBB76_14:                              ;   in Loop: Header=BB76_2 Depth=1
	s_or_b32 exec_lo, exec_lo, s10
	v_add_nc_u32_e32 v61, 1, v60
	v_add_nc_u32_e32 v62, 1, v59
	s_wait_dscnt 0x0
	v_bfe_i32 v63, v57, 0, 8
	v_bfe_i32 v64, v58, 0, 8
	v_cndmask_b32_e64 v61, v61, v60, s9
	v_cndmask_b32_e64 v60, v59, v62, s9
                                        ; implicit-def: $vgpr59
	s_delay_alu instid0(VALU_DEP_3) | instskip(NEXT) | instid1(VALU_DEP_3)
	v_cmp_lt_i16_e64 s11, v64, v63
	v_cmp_ge_i32_e64 s10, v61, v12
	s_delay_alu instid0(VALU_DEP_3)
	v_cmp_lt_i32_e64 s12, v60, v13
	s_or_b32 s10, s10, s11
	s_wait_alu 0xfffe
	s_and_b32 s10, s12, s10
	s_wait_alu 0xfffe
	s_xor_b32 s11, s10, -1
	s_wait_alu 0xfffe
	s_and_saveexec_b32 s12, s11
	s_delay_alu instid0(SALU_CYCLE_1)
	s_xor_b32 s11, exec_lo, s12
; %bb.15:                               ;   in Loop: Header=BB76_2 Depth=1
	ds_load_u8 v59, v61 offset:1
; %bb.16:                               ;   in Loop: Header=BB76_2 Depth=1
	s_wait_alu 0xfffe
	s_or_saveexec_b32 s11, s11
	v_mov_b32_e32 v62, v58
	s_wait_alu 0xfffe
	s_xor_b32 exec_lo, exec_lo, s11
	s_cbranch_execz .LBB76_18
; %bb.17:                               ;   in Loop: Header=BB76_2 Depth=1
	ds_load_u8 v62, v60 offset:1
	s_wait_dscnt 0x1
	v_mov_b32_e32 v59, v57
.LBB76_18:                              ;   in Loop: Header=BB76_2 Depth=1
	s_or_b32 exec_lo, exec_lo, s11
	v_add_nc_u32_e32 v63, 1, v61
	v_add_nc_u32_e32 v64, 1, v60
	s_wait_dscnt 0x0
	v_bfe_i32 v65, v59, 0, 8
	v_bfe_i32 v66, v62, 0, 8
	v_cndmask_b32_e64 v57, v57, v58, s10
	v_cndmask_b32_e64 v61, v63, v61, s10
	v_cndmask_b32_e64 v58, v60, v64, s10
	v_cndmask_b32_e64 v55, v55, v56, s9
	v_cmp_lt_i16_e64 s9, v66, v65
	v_cndmask_b32_e64 v53, v53, v54, s8
	v_cmp_ge_i32_e64 s10, v61, v12
	v_cmp_lt_i32_e64 s8, v58, v13
	s_wait_loadcnt 0x0
	s_barrier_signal -1
	s_barrier_wait -1
	s_or_b32 s9, s10, s9
	global_inv scope:SCOPE_SE
	s_wait_alu 0xfffe
	s_and_b32 s8, s8, s9
	s_wait_alu 0xfffe
	v_cndmask_b32_e64 v54, v59, v62, s8
	ds_store_b8 v1, v53
	ds_store_b8 v1, v55 offset:1
	ds_store_b8 v1, v57 offset:2
	;; [unrolled: 1-line block ×3, first 2 shown]
	v_mov_b32_e32 v53, v45
	s_wait_loadcnt_dscnt 0x0
	s_barrier_signal -1
	s_barrier_wait -1
	global_inv scope:SCOPE_SE
	s_and_saveexec_b32 s9, s1
	s_cbranch_execz .LBB76_22
; %bb.19:                               ;   in Loop: Header=BB76_2 Depth=1
	v_dual_mov_b32 v53, v45 :: v_dual_mov_b32 v54, v37
	s_mov_b32 s10, 0
.LBB76_20:                              ;   Parent Loop BB76_2 Depth=1
                                        ; =>  This Inner Loop Header: Depth=2
	s_delay_alu instid0(VALU_DEP_1) | instskip(NEXT) | instid1(VALU_DEP_1)
	v_sub_nc_u32_e32 v55, v54, v53
	v_lshrrev_b32_e32 v55, 1, v55
	s_delay_alu instid0(VALU_DEP_1) | instskip(NEXT) | instid1(VALU_DEP_1)
	v_add_nc_u32_e32 v55, v55, v53
	v_add_nc_u32_e32 v56, v3, v55
	v_xad_u32 v57, v55, -1, v29
	v_add_nc_u32_e32 v58, 1, v55
	ds_load_i8 v56, v56
	ds_load_i8 v57, v57
	s_wait_dscnt 0x0
	v_cmp_lt_i16_e64 s8, v57, v56
	s_wait_alu 0xf1ff
	s_delay_alu instid0(VALU_DEP_1) | instskip(SKIP_1) | instid1(VALU_DEP_1)
	v_cndmask_b32_e64 v54, v54, v55, s8
	v_cndmask_b32_e64 v53, v58, v53, s8
	v_cmp_ge_i32_e64 s8, v53, v54
	s_wait_alu 0xfffe
	s_or_b32 s10, s8, s10
	s_wait_alu 0xfffe
	s_and_not1_b32 exec_lo, exec_lo, s10
	s_cbranch_execnz .LBB76_20
; %bb.21:                               ;   in Loop: Header=BB76_2 Depth=1
	s_or_b32 exec_lo, exec_lo, s10
.LBB76_22:                              ;   in Loop: Header=BB76_2 Depth=1
	s_wait_alu 0xfffe
	s_or_b32 exec_lo, exec_lo, s9
	v_add_nc_u32_e32 v58, v53, v3
	v_sub_nc_u32_e32 v57, v29, v53
                                        ; implicit-def: $vgpr55
	ds_load_u8 v53, v58
	ds_load_u8 v54, v57
	v_cmp_le_i32_e64 s8, v14, v58
	v_cmp_gt_i32_e64 s10, v15, v57
	s_wait_dscnt 0x1
	v_bfe_i32 v53, v53, 0, 8
	s_wait_dscnt 0x0
	v_bfe_i32 v54, v54, 0, 8
	s_delay_alu instid0(VALU_DEP_1)
	v_cmp_lt_i16_e64 s9, v54, v53
	s_or_b32 s8, s8, s9
	s_wait_alu 0xfffe
	s_and_b32 s8, s10, s8
	s_wait_alu 0xfffe
	s_xor_b32 s9, s8, -1
	s_wait_alu 0xfffe
	s_and_saveexec_b32 s10, s9
	s_wait_alu 0xfffe
	s_xor_b32 s9, exec_lo, s10
; %bb.23:                               ;   in Loop: Header=BB76_2 Depth=1
	ds_load_u8 v55, v58 offset:1
; %bb.24:                               ;   in Loop: Header=BB76_2 Depth=1
	s_wait_alu 0xfffe
	s_or_saveexec_b32 s9, s9
	v_mov_b32_e32 v56, v54
	s_wait_alu 0xfffe
	s_xor_b32 exec_lo, exec_lo, s9
	s_cbranch_execz .LBB76_26
; %bb.25:                               ;   in Loop: Header=BB76_2 Depth=1
	ds_load_u8 v56, v57 offset:1
	s_wait_dscnt 0x1
	v_mov_b32_e32 v55, v53
.LBB76_26:                              ;   in Loop: Header=BB76_2 Depth=1
	s_or_b32 exec_lo, exec_lo, s9
	v_add_nc_u32_e32 v59, 1, v58
	v_add_nc_u32_e32 v61, 1, v57
	s_wait_dscnt 0x0
	v_bfe_i32 v62, v55, 0, 8
	s_delay_alu instid0(VALU_DEP_3) | instskip(SKIP_2) | instid1(VALU_DEP_3)
	v_cndmask_b32_e64 v60, v59, v58, s8
	v_bfe_i32 v58, v56, 0, 8
	v_cndmask_b32_e64 v59, v57, v61, s8
                                        ; implicit-def: $vgpr57
	v_cmp_ge_i32_e64 s9, v60, v14
	s_delay_alu instid0(VALU_DEP_3) | instskip(NEXT) | instid1(VALU_DEP_3)
	v_cmp_lt_i16_e64 s10, v58, v62
	v_cmp_lt_i32_e64 s11, v59, v15
	s_or_b32 s9, s9, s10
	s_wait_alu 0xfffe
	s_and_b32 s9, s11, s9
	s_wait_alu 0xfffe
	s_xor_b32 s10, s9, -1
	s_wait_alu 0xfffe
	s_and_saveexec_b32 s11, s10
	s_wait_alu 0xfffe
	s_xor_b32 s10, exec_lo, s11
; %bb.27:                               ;   in Loop: Header=BB76_2 Depth=1
	ds_load_u8 v57, v60 offset:1
; %bb.28:                               ;   in Loop: Header=BB76_2 Depth=1
	s_wait_alu 0xfffe
	s_or_saveexec_b32 s10, s10
	v_mov_b32_e32 v58, v56
	s_wait_alu 0xfffe
	s_xor_b32 exec_lo, exec_lo, s10
	s_cbranch_execz .LBB76_30
; %bb.29:                               ;   in Loop: Header=BB76_2 Depth=1
	ds_load_u8 v58, v59 offset:1
	s_wait_dscnt 0x1
	v_mov_b32_e32 v57, v55
.LBB76_30:                              ;   in Loop: Header=BB76_2 Depth=1
	s_or_b32 exec_lo, exec_lo, s10
	v_add_nc_u32_e32 v61, 1, v60
	v_add_nc_u32_e32 v62, 1, v59
	s_wait_dscnt 0x0
	v_bfe_i32 v63, v57, 0, 8
	v_bfe_i32 v64, v58, 0, 8
	v_cndmask_b32_e64 v61, v61, v60, s9
	v_cndmask_b32_e64 v60, v59, v62, s9
                                        ; implicit-def: $vgpr59
	s_delay_alu instid0(VALU_DEP_3) | instskip(NEXT) | instid1(VALU_DEP_3)
	v_cmp_lt_i16_e64 s11, v64, v63
	v_cmp_ge_i32_e64 s10, v61, v14
	s_delay_alu instid0(VALU_DEP_3)
	v_cmp_lt_i32_e64 s12, v60, v15
	s_or_b32 s10, s10, s11
	s_wait_alu 0xfffe
	s_and_b32 s10, s12, s10
	s_wait_alu 0xfffe
	s_xor_b32 s11, s10, -1
	s_wait_alu 0xfffe
	s_and_saveexec_b32 s12, s11
	s_delay_alu instid0(SALU_CYCLE_1)
	s_xor_b32 s11, exec_lo, s12
; %bb.31:                               ;   in Loop: Header=BB76_2 Depth=1
	ds_load_u8 v59, v61 offset:1
; %bb.32:                               ;   in Loop: Header=BB76_2 Depth=1
	s_wait_alu 0xfffe
	s_or_saveexec_b32 s11, s11
	v_mov_b32_e32 v62, v58
	s_wait_alu 0xfffe
	s_xor_b32 exec_lo, exec_lo, s11
	s_cbranch_execz .LBB76_34
; %bb.33:                               ;   in Loop: Header=BB76_2 Depth=1
	ds_load_u8 v62, v60 offset:1
	s_wait_dscnt 0x1
	v_mov_b32_e32 v59, v57
.LBB76_34:                              ;   in Loop: Header=BB76_2 Depth=1
	s_or_b32 exec_lo, exec_lo, s11
	v_add_nc_u32_e32 v63, 1, v61
	v_add_nc_u32_e32 v64, 1, v60
	s_wait_dscnt 0x0
	v_bfe_i32 v65, v59, 0, 8
	v_bfe_i32 v66, v62, 0, 8
	v_cndmask_b32_e64 v57, v57, v58, s10
	v_cndmask_b32_e64 v61, v63, v61, s10
	;; [unrolled: 1-line block ×4, first 2 shown]
	v_cmp_lt_i16_e64 s9, v66, v65
	v_cndmask_b32_e64 v53, v53, v54, s8
	v_cmp_ge_i32_e64 s10, v61, v14
	v_cmp_lt_i32_e64 s8, v58, v15
	s_wait_loadcnt 0x0
	s_barrier_signal -1
	s_barrier_wait -1
	s_or_b32 s9, s10, s9
	global_inv scope:SCOPE_SE
	s_wait_alu 0xfffe
	s_and_b32 s8, s8, s9
	s_wait_alu 0xfffe
	v_cndmask_b32_e64 v54, v59, v62, s8
	ds_store_b8 v1, v53
	ds_store_b8 v1, v55 offset:1
	ds_store_b8 v1, v57 offset:2
	;; [unrolled: 1-line block ×3, first 2 shown]
	v_mov_b32_e32 v53, v46
	s_wait_loadcnt_dscnt 0x0
	s_barrier_signal -1
	s_barrier_wait -1
	global_inv scope:SCOPE_SE
	s_and_saveexec_b32 s9, s2
	s_cbranch_execz .LBB76_38
; %bb.35:                               ;   in Loop: Header=BB76_2 Depth=1
	v_dual_mov_b32 v53, v46 :: v_dual_mov_b32 v54, v38
	s_mov_b32 s10, 0
.LBB76_36:                              ;   Parent Loop BB76_2 Depth=1
                                        ; =>  This Inner Loop Header: Depth=2
	s_delay_alu instid0(VALU_DEP_1) | instskip(NEXT) | instid1(VALU_DEP_1)
	v_sub_nc_u32_e32 v55, v54, v53
	v_lshrrev_b32_e32 v55, 1, v55
	s_delay_alu instid0(VALU_DEP_1) | instskip(NEXT) | instid1(VALU_DEP_1)
	v_add_nc_u32_e32 v55, v55, v53
	v_add_nc_u32_e32 v56, v4, v55
	v_xad_u32 v57, v55, -1, v30
	v_add_nc_u32_e32 v58, 1, v55
	ds_load_i8 v56, v56
	ds_load_i8 v57, v57
	s_wait_dscnt 0x0
	v_cmp_lt_i16_e64 s8, v57, v56
	s_wait_alu 0xf1ff
	s_delay_alu instid0(VALU_DEP_1) | instskip(SKIP_1) | instid1(VALU_DEP_1)
	v_cndmask_b32_e64 v54, v54, v55, s8
	v_cndmask_b32_e64 v53, v58, v53, s8
	v_cmp_ge_i32_e64 s8, v53, v54
	s_wait_alu 0xfffe
	s_or_b32 s10, s8, s10
	s_wait_alu 0xfffe
	s_and_not1_b32 exec_lo, exec_lo, s10
	s_cbranch_execnz .LBB76_36
; %bb.37:                               ;   in Loop: Header=BB76_2 Depth=1
	s_or_b32 exec_lo, exec_lo, s10
.LBB76_38:                              ;   in Loop: Header=BB76_2 Depth=1
	s_wait_alu 0xfffe
	s_or_b32 exec_lo, exec_lo, s9
	v_add_nc_u32_e32 v58, v53, v4
	v_sub_nc_u32_e32 v57, v30, v53
                                        ; implicit-def: $vgpr55
	ds_load_u8 v53, v58
	ds_load_u8 v54, v57
	v_cmp_le_i32_e64 s8, v16, v58
	v_cmp_gt_i32_e64 s10, v17, v57
	s_wait_dscnt 0x1
	v_bfe_i32 v53, v53, 0, 8
	s_wait_dscnt 0x0
	v_bfe_i32 v54, v54, 0, 8
	s_delay_alu instid0(VALU_DEP_1)
	v_cmp_lt_i16_e64 s9, v54, v53
	s_or_b32 s8, s8, s9
	s_wait_alu 0xfffe
	s_and_b32 s8, s10, s8
	s_wait_alu 0xfffe
	s_xor_b32 s9, s8, -1
	s_wait_alu 0xfffe
	s_and_saveexec_b32 s10, s9
	s_wait_alu 0xfffe
	s_xor_b32 s9, exec_lo, s10
; %bb.39:                               ;   in Loop: Header=BB76_2 Depth=1
	ds_load_u8 v55, v58 offset:1
; %bb.40:                               ;   in Loop: Header=BB76_2 Depth=1
	s_wait_alu 0xfffe
	s_or_saveexec_b32 s9, s9
	v_mov_b32_e32 v56, v54
	s_wait_alu 0xfffe
	s_xor_b32 exec_lo, exec_lo, s9
	s_cbranch_execz .LBB76_42
; %bb.41:                               ;   in Loop: Header=BB76_2 Depth=1
	ds_load_u8 v56, v57 offset:1
	s_wait_dscnt 0x1
	v_mov_b32_e32 v55, v53
.LBB76_42:                              ;   in Loop: Header=BB76_2 Depth=1
	s_or_b32 exec_lo, exec_lo, s9
	v_add_nc_u32_e32 v59, 1, v58
	v_add_nc_u32_e32 v61, 1, v57
	s_wait_dscnt 0x0
	v_bfe_i32 v62, v55, 0, 8
	s_delay_alu instid0(VALU_DEP_3) | instskip(SKIP_2) | instid1(VALU_DEP_3)
	v_cndmask_b32_e64 v60, v59, v58, s8
	v_bfe_i32 v58, v56, 0, 8
	v_cndmask_b32_e64 v59, v57, v61, s8
                                        ; implicit-def: $vgpr57
	v_cmp_ge_i32_e64 s9, v60, v16
	s_delay_alu instid0(VALU_DEP_3) | instskip(NEXT) | instid1(VALU_DEP_3)
	v_cmp_lt_i16_e64 s10, v58, v62
	v_cmp_lt_i32_e64 s11, v59, v17
	s_or_b32 s9, s9, s10
	s_wait_alu 0xfffe
	s_and_b32 s9, s11, s9
	s_wait_alu 0xfffe
	s_xor_b32 s10, s9, -1
	s_wait_alu 0xfffe
	s_and_saveexec_b32 s11, s10
	s_wait_alu 0xfffe
	s_xor_b32 s10, exec_lo, s11
; %bb.43:                               ;   in Loop: Header=BB76_2 Depth=1
	ds_load_u8 v57, v60 offset:1
; %bb.44:                               ;   in Loop: Header=BB76_2 Depth=1
	s_wait_alu 0xfffe
	s_or_saveexec_b32 s10, s10
	v_mov_b32_e32 v58, v56
	s_wait_alu 0xfffe
	s_xor_b32 exec_lo, exec_lo, s10
	s_cbranch_execz .LBB76_46
; %bb.45:                               ;   in Loop: Header=BB76_2 Depth=1
	ds_load_u8 v58, v59 offset:1
	s_wait_dscnt 0x1
	v_mov_b32_e32 v57, v55
.LBB76_46:                              ;   in Loop: Header=BB76_2 Depth=1
	s_or_b32 exec_lo, exec_lo, s10
	v_add_nc_u32_e32 v61, 1, v60
	v_add_nc_u32_e32 v62, 1, v59
	s_wait_dscnt 0x0
	v_bfe_i32 v63, v57, 0, 8
	v_bfe_i32 v64, v58, 0, 8
	v_cndmask_b32_e64 v61, v61, v60, s9
	v_cndmask_b32_e64 v60, v59, v62, s9
                                        ; implicit-def: $vgpr59
	s_delay_alu instid0(VALU_DEP_3) | instskip(NEXT) | instid1(VALU_DEP_3)
	v_cmp_lt_i16_e64 s11, v64, v63
	v_cmp_ge_i32_e64 s10, v61, v16
	s_delay_alu instid0(VALU_DEP_3)
	v_cmp_lt_i32_e64 s12, v60, v17
	s_or_b32 s10, s10, s11
	s_wait_alu 0xfffe
	s_and_b32 s10, s12, s10
	s_wait_alu 0xfffe
	s_xor_b32 s11, s10, -1
	s_wait_alu 0xfffe
	s_and_saveexec_b32 s12, s11
	s_delay_alu instid0(SALU_CYCLE_1)
	s_xor_b32 s11, exec_lo, s12
; %bb.47:                               ;   in Loop: Header=BB76_2 Depth=1
	ds_load_u8 v59, v61 offset:1
; %bb.48:                               ;   in Loop: Header=BB76_2 Depth=1
	s_wait_alu 0xfffe
	s_or_saveexec_b32 s11, s11
	v_mov_b32_e32 v62, v58
	s_wait_alu 0xfffe
	s_xor_b32 exec_lo, exec_lo, s11
	s_cbranch_execz .LBB76_50
; %bb.49:                               ;   in Loop: Header=BB76_2 Depth=1
	ds_load_u8 v62, v60 offset:1
	s_wait_dscnt 0x1
	v_mov_b32_e32 v59, v57
.LBB76_50:                              ;   in Loop: Header=BB76_2 Depth=1
	s_or_b32 exec_lo, exec_lo, s11
	v_add_nc_u32_e32 v63, 1, v61
	v_add_nc_u32_e32 v64, 1, v60
	s_wait_dscnt 0x0
	v_bfe_i32 v65, v59, 0, 8
	v_bfe_i32 v66, v62, 0, 8
	v_cndmask_b32_e64 v57, v57, v58, s10
	v_cndmask_b32_e64 v61, v63, v61, s10
	;; [unrolled: 1-line block ×4, first 2 shown]
	v_cmp_lt_i16_e64 s9, v66, v65
	v_cndmask_b32_e64 v53, v53, v54, s8
	v_cmp_ge_i32_e64 s10, v61, v16
	v_cmp_lt_i32_e64 s8, v58, v17
	s_wait_loadcnt 0x0
	s_barrier_signal -1
	s_barrier_wait -1
	s_or_b32 s9, s10, s9
	global_inv scope:SCOPE_SE
	s_wait_alu 0xfffe
	s_and_b32 s8, s8, s9
	s_wait_alu 0xfffe
	v_cndmask_b32_e64 v54, v59, v62, s8
	ds_store_b8 v1, v53
	ds_store_b8 v1, v55 offset:1
	ds_store_b8 v1, v57 offset:2
	;; [unrolled: 1-line block ×3, first 2 shown]
	v_mov_b32_e32 v53, v47
	s_wait_loadcnt_dscnt 0x0
	s_barrier_signal -1
	s_barrier_wait -1
	global_inv scope:SCOPE_SE
	s_and_saveexec_b32 s9, s3
	s_cbranch_execz .LBB76_54
; %bb.51:                               ;   in Loop: Header=BB76_2 Depth=1
	v_dual_mov_b32 v53, v47 :: v_dual_mov_b32 v54, v39
	s_mov_b32 s10, 0
.LBB76_52:                              ;   Parent Loop BB76_2 Depth=1
                                        ; =>  This Inner Loop Header: Depth=2
	s_delay_alu instid0(VALU_DEP_1) | instskip(NEXT) | instid1(VALU_DEP_1)
	v_sub_nc_u32_e32 v55, v54, v53
	v_lshrrev_b32_e32 v55, 1, v55
	s_delay_alu instid0(VALU_DEP_1) | instskip(NEXT) | instid1(VALU_DEP_1)
	v_add_nc_u32_e32 v55, v55, v53
	v_add_nc_u32_e32 v56, v5, v55
	v_xad_u32 v57, v55, -1, v31
	v_add_nc_u32_e32 v58, 1, v55
	ds_load_i8 v56, v56
	ds_load_i8 v57, v57
	s_wait_dscnt 0x0
	v_cmp_lt_i16_e64 s8, v57, v56
	s_wait_alu 0xf1ff
	s_delay_alu instid0(VALU_DEP_1) | instskip(SKIP_1) | instid1(VALU_DEP_1)
	v_cndmask_b32_e64 v54, v54, v55, s8
	v_cndmask_b32_e64 v53, v58, v53, s8
	v_cmp_ge_i32_e64 s8, v53, v54
	s_wait_alu 0xfffe
	s_or_b32 s10, s8, s10
	s_wait_alu 0xfffe
	s_and_not1_b32 exec_lo, exec_lo, s10
	s_cbranch_execnz .LBB76_52
; %bb.53:                               ;   in Loop: Header=BB76_2 Depth=1
	s_or_b32 exec_lo, exec_lo, s10
.LBB76_54:                              ;   in Loop: Header=BB76_2 Depth=1
	s_wait_alu 0xfffe
	s_or_b32 exec_lo, exec_lo, s9
	v_add_nc_u32_e32 v58, v53, v5
	v_sub_nc_u32_e32 v57, v31, v53
                                        ; implicit-def: $vgpr55
	ds_load_u8 v53, v58
	ds_load_u8 v54, v57
	v_cmp_le_i32_e64 s8, v18, v58
	v_cmp_gt_i32_e64 s10, v19, v57
	s_wait_dscnt 0x1
	v_bfe_i32 v53, v53, 0, 8
	s_wait_dscnt 0x0
	v_bfe_i32 v54, v54, 0, 8
	s_delay_alu instid0(VALU_DEP_1)
	v_cmp_lt_i16_e64 s9, v54, v53
	s_or_b32 s8, s8, s9
	s_wait_alu 0xfffe
	s_and_b32 s8, s10, s8
	s_wait_alu 0xfffe
	s_xor_b32 s9, s8, -1
	s_wait_alu 0xfffe
	s_and_saveexec_b32 s10, s9
	s_wait_alu 0xfffe
	s_xor_b32 s9, exec_lo, s10
; %bb.55:                               ;   in Loop: Header=BB76_2 Depth=1
	ds_load_u8 v55, v58 offset:1
; %bb.56:                               ;   in Loop: Header=BB76_2 Depth=1
	s_wait_alu 0xfffe
	s_or_saveexec_b32 s9, s9
	v_mov_b32_e32 v56, v54
	s_wait_alu 0xfffe
	s_xor_b32 exec_lo, exec_lo, s9
	s_cbranch_execz .LBB76_58
; %bb.57:                               ;   in Loop: Header=BB76_2 Depth=1
	ds_load_u8 v56, v57 offset:1
	s_wait_dscnt 0x1
	v_mov_b32_e32 v55, v53
.LBB76_58:                              ;   in Loop: Header=BB76_2 Depth=1
	s_or_b32 exec_lo, exec_lo, s9
	v_add_nc_u32_e32 v59, 1, v58
	v_add_nc_u32_e32 v61, 1, v57
	s_wait_dscnt 0x0
	v_bfe_i32 v62, v55, 0, 8
	s_delay_alu instid0(VALU_DEP_3) | instskip(SKIP_2) | instid1(VALU_DEP_3)
	v_cndmask_b32_e64 v60, v59, v58, s8
	v_bfe_i32 v58, v56, 0, 8
	v_cndmask_b32_e64 v59, v57, v61, s8
                                        ; implicit-def: $vgpr57
	v_cmp_ge_i32_e64 s9, v60, v18
	s_delay_alu instid0(VALU_DEP_3) | instskip(NEXT) | instid1(VALU_DEP_3)
	v_cmp_lt_i16_e64 s10, v58, v62
	v_cmp_lt_i32_e64 s11, v59, v19
	s_or_b32 s9, s9, s10
	s_wait_alu 0xfffe
	s_and_b32 s9, s11, s9
	s_wait_alu 0xfffe
	s_xor_b32 s10, s9, -1
	s_wait_alu 0xfffe
	s_and_saveexec_b32 s11, s10
	s_wait_alu 0xfffe
	s_xor_b32 s10, exec_lo, s11
; %bb.59:                               ;   in Loop: Header=BB76_2 Depth=1
	ds_load_u8 v57, v60 offset:1
; %bb.60:                               ;   in Loop: Header=BB76_2 Depth=1
	s_wait_alu 0xfffe
	s_or_saveexec_b32 s10, s10
	v_mov_b32_e32 v58, v56
	s_wait_alu 0xfffe
	s_xor_b32 exec_lo, exec_lo, s10
	s_cbranch_execz .LBB76_62
; %bb.61:                               ;   in Loop: Header=BB76_2 Depth=1
	ds_load_u8 v58, v59 offset:1
	s_wait_dscnt 0x1
	v_mov_b32_e32 v57, v55
.LBB76_62:                              ;   in Loop: Header=BB76_2 Depth=1
	s_or_b32 exec_lo, exec_lo, s10
	v_add_nc_u32_e32 v61, 1, v60
	v_add_nc_u32_e32 v62, 1, v59
	s_wait_dscnt 0x0
	v_bfe_i32 v63, v57, 0, 8
	v_bfe_i32 v64, v58, 0, 8
	v_cndmask_b32_e64 v61, v61, v60, s9
	v_cndmask_b32_e64 v60, v59, v62, s9
                                        ; implicit-def: $vgpr59
	s_delay_alu instid0(VALU_DEP_3) | instskip(NEXT) | instid1(VALU_DEP_3)
	v_cmp_lt_i16_e64 s11, v64, v63
	v_cmp_ge_i32_e64 s10, v61, v18
	s_delay_alu instid0(VALU_DEP_3)
	v_cmp_lt_i32_e64 s12, v60, v19
	s_or_b32 s10, s10, s11
	s_wait_alu 0xfffe
	s_and_b32 s10, s12, s10
	s_wait_alu 0xfffe
	s_xor_b32 s11, s10, -1
	s_wait_alu 0xfffe
	s_and_saveexec_b32 s12, s11
	s_delay_alu instid0(SALU_CYCLE_1)
	s_xor_b32 s11, exec_lo, s12
; %bb.63:                               ;   in Loop: Header=BB76_2 Depth=1
	ds_load_u8 v59, v61 offset:1
; %bb.64:                               ;   in Loop: Header=BB76_2 Depth=1
	s_wait_alu 0xfffe
	s_or_saveexec_b32 s11, s11
	v_mov_b32_e32 v62, v58
	s_wait_alu 0xfffe
	s_xor_b32 exec_lo, exec_lo, s11
	s_cbranch_execz .LBB76_66
; %bb.65:                               ;   in Loop: Header=BB76_2 Depth=1
	ds_load_u8 v62, v60 offset:1
	s_wait_dscnt 0x1
	v_mov_b32_e32 v59, v57
.LBB76_66:                              ;   in Loop: Header=BB76_2 Depth=1
	s_or_b32 exec_lo, exec_lo, s11
	v_add_nc_u32_e32 v63, 1, v61
	v_add_nc_u32_e32 v64, 1, v60
	s_wait_dscnt 0x0
	v_bfe_i32 v65, v59, 0, 8
	v_bfe_i32 v66, v62, 0, 8
	v_cndmask_b32_e64 v57, v57, v58, s10
	v_cndmask_b32_e64 v61, v63, v61, s10
	;; [unrolled: 1-line block ×4, first 2 shown]
	v_cmp_lt_i16_e64 s9, v66, v65
	v_cndmask_b32_e64 v53, v53, v54, s8
	v_cmp_ge_i32_e64 s10, v61, v18
	v_cmp_lt_i32_e64 s8, v58, v19
	s_wait_loadcnt 0x0
	s_barrier_signal -1
	s_barrier_wait -1
	s_or_b32 s9, s10, s9
	global_inv scope:SCOPE_SE
	s_wait_alu 0xfffe
	s_and_b32 s8, s8, s9
	s_wait_alu 0xfffe
	v_cndmask_b32_e64 v54, v59, v62, s8
	ds_store_b8 v1, v53
	ds_store_b8 v1, v55 offset:1
	ds_store_b8 v1, v57 offset:2
	;; [unrolled: 1-line block ×3, first 2 shown]
	v_mov_b32_e32 v53, v48
	s_wait_loadcnt_dscnt 0x0
	s_barrier_signal -1
	s_barrier_wait -1
	global_inv scope:SCOPE_SE
	s_and_saveexec_b32 s9, s4
	s_cbranch_execz .LBB76_70
; %bb.67:                               ;   in Loop: Header=BB76_2 Depth=1
	v_dual_mov_b32 v53, v48 :: v_dual_mov_b32 v54, v40
	s_mov_b32 s10, 0
.LBB76_68:                              ;   Parent Loop BB76_2 Depth=1
                                        ; =>  This Inner Loop Header: Depth=2
	s_delay_alu instid0(VALU_DEP_1) | instskip(NEXT) | instid1(VALU_DEP_1)
	v_sub_nc_u32_e32 v55, v54, v53
	v_lshrrev_b32_e32 v55, 1, v55
	s_delay_alu instid0(VALU_DEP_1) | instskip(NEXT) | instid1(VALU_DEP_1)
	v_add_nc_u32_e32 v55, v55, v53
	v_add_nc_u32_e32 v56, v6, v55
	v_xad_u32 v57, v55, -1, v32
	v_add_nc_u32_e32 v58, 1, v55
	ds_load_i8 v56, v56
	ds_load_i8 v57, v57
	s_wait_dscnt 0x0
	v_cmp_lt_i16_e64 s8, v57, v56
	s_wait_alu 0xf1ff
	s_delay_alu instid0(VALU_DEP_1) | instskip(SKIP_1) | instid1(VALU_DEP_1)
	v_cndmask_b32_e64 v54, v54, v55, s8
	v_cndmask_b32_e64 v53, v58, v53, s8
	v_cmp_ge_i32_e64 s8, v53, v54
	s_wait_alu 0xfffe
	s_or_b32 s10, s8, s10
	s_wait_alu 0xfffe
	s_and_not1_b32 exec_lo, exec_lo, s10
	s_cbranch_execnz .LBB76_68
; %bb.69:                               ;   in Loop: Header=BB76_2 Depth=1
	s_or_b32 exec_lo, exec_lo, s10
.LBB76_70:                              ;   in Loop: Header=BB76_2 Depth=1
	s_wait_alu 0xfffe
	s_or_b32 exec_lo, exec_lo, s9
	v_add_nc_u32_e32 v58, v53, v6
	v_sub_nc_u32_e32 v57, v32, v53
                                        ; implicit-def: $vgpr55
	ds_load_u8 v53, v58
	ds_load_u8 v54, v57
	v_cmp_le_i32_e64 s8, v20, v58
	v_cmp_gt_i32_e64 s10, v21, v57
	s_wait_dscnt 0x1
	v_bfe_i32 v53, v53, 0, 8
	s_wait_dscnt 0x0
	v_bfe_i32 v54, v54, 0, 8
	s_delay_alu instid0(VALU_DEP_1)
	v_cmp_lt_i16_e64 s9, v54, v53
	s_or_b32 s8, s8, s9
	s_wait_alu 0xfffe
	s_and_b32 s8, s10, s8
	s_wait_alu 0xfffe
	s_xor_b32 s9, s8, -1
	s_wait_alu 0xfffe
	s_and_saveexec_b32 s10, s9
	s_wait_alu 0xfffe
	s_xor_b32 s9, exec_lo, s10
; %bb.71:                               ;   in Loop: Header=BB76_2 Depth=1
	ds_load_u8 v55, v58 offset:1
; %bb.72:                               ;   in Loop: Header=BB76_2 Depth=1
	s_wait_alu 0xfffe
	s_or_saveexec_b32 s9, s9
	v_mov_b32_e32 v56, v54
	s_wait_alu 0xfffe
	s_xor_b32 exec_lo, exec_lo, s9
	s_cbranch_execz .LBB76_74
; %bb.73:                               ;   in Loop: Header=BB76_2 Depth=1
	ds_load_u8 v56, v57 offset:1
	s_wait_dscnt 0x1
	v_mov_b32_e32 v55, v53
.LBB76_74:                              ;   in Loop: Header=BB76_2 Depth=1
	s_or_b32 exec_lo, exec_lo, s9
	v_add_nc_u32_e32 v59, 1, v58
	v_add_nc_u32_e32 v61, 1, v57
	s_wait_dscnt 0x0
	v_bfe_i32 v62, v55, 0, 8
	s_delay_alu instid0(VALU_DEP_3) | instskip(SKIP_2) | instid1(VALU_DEP_3)
	v_cndmask_b32_e64 v60, v59, v58, s8
	v_bfe_i32 v58, v56, 0, 8
	v_cndmask_b32_e64 v59, v57, v61, s8
                                        ; implicit-def: $vgpr57
	v_cmp_ge_i32_e64 s9, v60, v20
	s_delay_alu instid0(VALU_DEP_3) | instskip(NEXT) | instid1(VALU_DEP_3)
	v_cmp_lt_i16_e64 s10, v58, v62
	v_cmp_lt_i32_e64 s11, v59, v21
	s_or_b32 s9, s9, s10
	s_wait_alu 0xfffe
	s_and_b32 s9, s11, s9
	s_wait_alu 0xfffe
	s_xor_b32 s10, s9, -1
	s_wait_alu 0xfffe
	s_and_saveexec_b32 s11, s10
	s_wait_alu 0xfffe
	s_xor_b32 s10, exec_lo, s11
; %bb.75:                               ;   in Loop: Header=BB76_2 Depth=1
	ds_load_u8 v57, v60 offset:1
; %bb.76:                               ;   in Loop: Header=BB76_2 Depth=1
	s_wait_alu 0xfffe
	s_or_saveexec_b32 s10, s10
	v_mov_b32_e32 v58, v56
	s_wait_alu 0xfffe
	s_xor_b32 exec_lo, exec_lo, s10
	s_cbranch_execz .LBB76_78
; %bb.77:                               ;   in Loop: Header=BB76_2 Depth=1
	ds_load_u8 v58, v59 offset:1
	s_wait_dscnt 0x1
	v_mov_b32_e32 v57, v55
.LBB76_78:                              ;   in Loop: Header=BB76_2 Depth=1
	s_or_b32 exec_lo, exec_lo, s10
	v_add_nc_u32_e32 v61, 1, v60
	v_add_nc_u32_e32 v62, 1, v59
	s_wait_dscnt 0x0
	v_bfe_i32 v63, v57, 0, 8
	v_bfe_i32 v64, v58, 0, 8
	v_cndmask_b32_e64 v61, v61, v60, s9
	v_cndmask_b32_e64 v60, v59, v62, s9
                                        ; implicit-def: $vgpr59
	s_delay_alu instid0(VALU_DEP_3) | instskip(NEXT) | instid1(VALU_DEP_3)
	v_cmp_lt_i16_e64 s11, v64, v63
	v_cmp_ge_i32_e64 s10, v61, v20
	s_delay_alu instid0(VALU_DEP_3)
	v_cmp_lt_i32_e64 s12, v60, v21
	s_or_b32 s10, s10, s11
	s_wait_alu 0xfffe
	s_and_b32 s10, s12, s10
	s_wait_alu 0xfffe
	s_xor_b32 s11, s10, -1
	s_wait_alu 0xfffe
	s_and_saveexec_b32 s12, s11
	s_delay_alu instid0(SALU_CYCLE_1)
	s_xor_b32 s11, exec_lo, s12
; %bb.79:                               ;   in Loop: Header=BB76_2 Depth=1
	ds_load_u8 v59, v61 offset:1
; %bb.80:                               ;   in Loop: Header=BB76_2 Depth=1
	s_wait_alu 0xfffe
	s_or_saveexec_b32 s11, s11
	v_mov_b32_e32 v62, v58
	s_wait_alu 0xfffe
	s_xor_b32 exec_lo, exec_lo, s11
	s_cbranch_execz .LBB76_82
; %bb.81:                               ;   in Loop: Header=BB76_2 Depth=1
	ds_load_u8 v62, v60 offset:1
	s_wait_dscnt 0x1
	v_mov_b32_e32 v59, v57
.LBB76_82:                              ;   in Loop: Header=BB76_2 Depth=1
	s_or_b32 exec_lo, exec_lo, s11
	v_add_nc_u32_e32 v63, 1, v61
	v_add_nc_u32_e32 v64, 1, v60
	s_wait_dscnt 0x0
	v_bfe_i32 v65, v59, 0, 8
	v_bfe_i32 v66, v62, 0, 8
	v_cndmask_b32_e64 v57, v57, v58, s10
	v_cndmask_b32_e64 v61, v63, v61, s10
	;; [unrolled: 1-line block ×4, first 2 shown]
	v_cmp_lt_i16_e64 s9, v66, v65
	v_cndmask_b32_e64 v53, v53, v54, s8
	v_cmp_ge_i32_e64 s10, v61, v20
	v_cmp_lt_i32_e64 s8, v58, v21
	s_wait_loadcnt 0x0
	s_barrier_signal -1
	s_barrier_wait -1
	s_or_b32 s9, s10, s9
	global_inv scope:SCOPE_SE
	s_wait_alu 0xfffe
	s_and_b32 s8, s8, s9
	s_wait_alu 0xfffe
	v_cndmask_b32_e64 v54, v59, v62, s8
	ds_store_b8 v1, v53
	ds_store_b8 v1, v55 offset:1
	ds_store_b8 v1, v57 offset:2
	;; [unrolled: 1-line block ×3, first 2 shown]
	v_mov_b32_e32 v53, v49
	s_wait_loadcnt_dscnt 0x0
	s_barrier_signal -1
	s_barrier_wait -1
	global_inv scope:SCOPE_SE
	s_and_saveexec_b32 s9, s5
	s_cbranch_execz .LBB76_86
; %bb.83:                               ;   in Loop: Header=BB76_2 Depth=1
	v_dual_mov_b32 v53, v49 :: v_dual_mov_b32 v54, v41
	s_mov_b32 s10, 0
.LBB76_84:                              ;   Parent Loop BB76_2 Depth=1
                                        ; =>  This Inner Loop Header: Depth=2
	s_delay_alu instid0(VALU_DEP_1) | instskip(NEXT) | instid1(VALU_DEP_1)
	v_sub_nc_u32_e32 v55, v54, v53
	v_lshrrev_b32_e32 v55, 1, v55
	s_delay_alu instid0(VALU_DEP_1) | instskip(NEXT) | instid1(VALU_DEP_1)
	v_add_nc_u32_e32 v55, v55, v53
	v_add_nc_u32_e32 v56, v7, v55
	v_xad_u32 v57, v55, -1, v33
	v_add_nc_u32_e32 v58, 1, v55
	ds_load_i8 v56, v56
	ds_load_i8 v57, v57
	s_wait_dscnt 0x0
	v_cmp_lt_i16_e64 s8, v57, v56
	s_wait_alu 0xf1ff
	s_delay_alu instid0(VALU_DEP_1) | instskip(SKIP_1) | instid1(VALU_DEP_1)
	v_cndmask_b32_e64 v54, v54, v55, s8
	v_cndmask_b32_e64 v53, v58, v53, s8
	v_cmp_ge_i32_e64 s8, v53, v54
	s_wait_alu 0xfffe
	s_or_b32 s10, s8, s10
	s_wait_alu 0xfffe
	s_and_not1_b32 exec_lo, exec_lo, s10
	s_cbranch_execnz .LBB76_84
; %bb.85:                               ;   in Loop: Header=BB76_2 Depth=1
	s_or_b32 exec_lo, exec_lo, s10
.LBB76_86:                              ;   in Loop: Header=BB76_2 Depth=1
	s_wait_alu 0xfffe
	s_or_b32 exec_lo, exec_lo, s9
	v_add_nc_u32_e32 v58, v53, v7
	v_sub_nc_u32_e32 v57, v33, v53
                                        ; implicit-def: $vgpr55
	ds_load_u8 v53, v58
	ds_load_u8 v54, v57
	v_cmp_le_i32_e64 s8, v22, v58
	v_cmp_gt_i32_e64 s10, v23, v57
	s_wait_dscnt 0x1
	v_bfe_i32 v53, v53, 0, 8
	s_wait_dscnt 0x0
	v_bfe_i32 v54, v54, 0, 8
	s_delay_alu instid0(VALU_DEP_1)
	v_cmp_lt_i16_e64 s9, v54, v53
	s_or_b32 s8, s8, s9
	s_wait_alu 0xfffe
	s_and_b32 s8, s10, s8
	s_wait_alu 0xfffe
	s_xor_b32 s9, s8, -1
	s_wait_alu 0xfffe
	s_and_saveexec_b32 s10, s9
	s_wait_alu 0xfffe
	s_xor_b32 s9, exec_lo, s10
; %bb.87:                               ;   in Loop: Header=BB76_2 Depth=1
	ds_load_u8 v55, v58 offset:1
; %bb.88:                               ;   in Loop: Header=BB76_2 Depth=1
	s_wait_alu 0xfffe
	s_or_saveexec_b32 s9, s9
	v_mov_b32_e32 v56, v54
	s_wait_alu 0xfffe
	s_xor_b32 exec_lo, exec_lo, s9
	s_cbranch_execz .LBB76_90
; %bb.89:                               ;   in Loop: Header=BB76_2 Depth=1
	ds_load_u8 v56, v57 offset:1
	s_wait_dscnt 0x1
	v_mov_b32_e32 v55, v53
.LBB76_90:                              ;   in Loop: Header=BB76_2 Depth=1
	s_or_b32 exec_lo, exec_lo, s9
	v_add_nc_u32_e32 v59, 1, v58
	v_add_nc_u32_e32 v61, 1, v57
	s_wait_dscnt 0x0
	v_bfe_i32 v62, v55, 0, 8
	s_delay_alu instid0(VALU_DEP_3) | instskip(SKIP_2) | instid1(VALU_DEP_3)
	v_cndmask_b32_e64 v60, v59, v58, s8
	v_bfe_i32 v58, v56, 0, 8
	v_cndmask_b32_e64 v59, v57, v61, s8
                                        ; implicit-def: $vgpr57
	v_cmp_ge_i32_e64 s9, v60, v22
	s_delay_alu instid0(VALU_DEP_3) | instskip(NEXT) | instid1(VALU_DEP_3)
	v_cmp_lt_i16_e64 s10, v58, v62
	v_cmp_lt_i32_e64 s11, v59, v23
	s_or_b32 s9, s9, s10
	s_wait_alu 0xfffe
	s_and_b32 s9, s11, s9
	s_wait_alu 0xfffe
	s_xor_b32 s10, s9, -1
	s_wait_alu 0xfffe
	s_and_saveexec_b32 s11, s10
	s_wait_alu 0xfffe
	s_xor_b32 s10, exec_lo, s11
; %bb.91:                               ;   in Loop: Header=BB76_2 Depth=1
	ds_load_u8 v57, v60 offset:1
; %bb.92:                               ;   in Loop: Header=BB76_2 Depth=1
	s_wait_alu 0xfffe
	s_or_saveexec_b32 s10, s10
	v_mov_b32_e32 v58, v56
	s_wait_alu 0xfffe
	s_xor_b32 exec_lo, exec_lo, s10
	s_cbranch_execz .LBB76_94
; %bb.93:                               ;   in Loop: Header=BB76_2 Depth=1
	ds_load_u8 v58, v59 offset:1
	s_wait_dscnt 0x1
	v_mov_b32_e32 v57, v55
.LBB76_94:                              ;   in Loop: Header=BB76_2 Depth=1
	s_or_b32 exec_lo, exec_lo, s10
	v_add_nc_u32_e32 v61, 1, v60
	v_add_nc_u32_e32 v62, 1, v59
	s_wait_dscnt 0x0
	v_bfe_i32 v63, v57, 0, 8
	v_bfe_i32 v64, v58, 0, 8
	v_cndmask_b32_e64 v61, v61, v60, s9
	v_cndmask_b32_e64 v60, v59, v62, s9
                                        ; implicit-def: $vgpr59
	s_delay_alu instid0(VALU_DEP_3) | instskip(NEXT) | instid1(VALU_DEP_3)
	v_cmp_lt_i16_e64 s11, v64, v63
	v_cmp_ge_i32_e64 s10, v61, v22
	s_delay_alu instid0(VALU_DEP_3)
	v_cmp_lt_i32_e64 s12, v60, v23
	s_or_b32 s10, s10, s11
	s_wait_alu 0xfffe
	s_and_b32 s10, s12, s10
	s_wait_alu 0xfffe
	s_xor_b32 s11, s10, -1
	s_wait_alu 0xfffe
	s_and_saveexec_b32 s12, s11
	s_delay_alu instid0(SALU_CYCLE_1)
	s_xor_b32 s11, exec_lo, s12
; %bb.95:                               ;   in Loop: Header=BB76_2 Depth=1
	ds_load_u8 v59, v61 offset:1
; %bb.96:                               ;   in Loop: Header=BB76_2 Depth=1
	s_wait_alu 0xfffe
	s_or_saveexec_b32 s11, s11
	v_mov_b32_e32 v62, v58
	s_wait_alu 0xfffe
	s_xor_b32 exec_lo, exec_lo, s11
	s_cbranch_execz .LBB76_98
; %bb.97:                               ;   in Loop: Header=BB76_2 Depth=1
	ds_load_u8 v62, v60 offset:1
	s_wait_dscnt 0x1
	v_mov_b32_e32 v59, v57
.LBB76_98:                              ;   in Loop: Header=BB76_2 Depth=1
	s_or_b32 exec_lo, exec_lo, s11
	v_add_nc_u32_e32 v63, 1, v61
	v_add_nc_u32_e32 v64, 1, v60
	s_wait_dscnt 0x0
	v_bfe_i32 v65, v59, 0, 8
	v_bfe_i32 v66, v62, 0, 8
	v_cndmask_b32_e64 v57, v57, v58, s10
	v_cndmask_b32_e64 v61, v63, v61, s10
	;; [unrolled: 1-line block ×4, first 2 shown]
	v_cmp_lt_i16_e64 s9, v66, v65
	v_cndmask_b32_e64 v53, v53, v54, s8
	v_cmp_ge_i32_e64 s10, v61, v22
	v_cmp_lt_i32_e64 s8, v58, v23
	s_wait_loadcnt 0x0
	s_barrier_signal -1
	s_barrier_wait -1
	s_or_b32 s9, s10, s9
	global_inv scope:SCOPE_SE
	s_wait_alu 0xfffe
	s_and_b32 s8, s8, s9
	s_wait_alu 0xfffe
	v_cndmask_b32_e64 v54, v59, v62, s8
	ds_store_b8 v1, v53
	ds_store_b8 v1, v55 offset:1
	ds_store_b8 v1, v57 offset:2
	;; [unrolled: 1-line block ×3, first 2 shown]
	v_mov_b32_e32 v53, v50
	s_wait_loadcnt_dscnt 0x0
	s_barrier_signal -1
	s_barrier_wait -1
	global_inv scope:SCOPE_SE
	s_and_saveexec_b32 s9, s6
	s_cbranch_execz .LBB76_102
; %bb.99:                               ;   in Loop: Header=BB76_2 Depth=1
	v_dual_mov_b32 v53, v50 :: v_dual_mov_b32 v54, v42
	s_mov_b32 s10, 0
.LBB76_100:                             ;   Parent Loop BB76_2 Depth=1
                                        ; =>  This Inner Loop Header: Depth=2
	s_delay_alu instid0(VALU_DEP_1) | instskip(NEXT) | instid1(VALU_DEP_1)
	v_sub_nc_u32_e32 v55, v54, v53
	v_lshrrev_b32_e32 v55, 1, v55
	s_delay_alu instid0(VALU_DEP_1) | instskip(NEXT) | instid1(VALU_DEP_1)
	v_add_nc_u32_e32 v55, v55, v53
	v_add_nc_u32_e32 v56, v8, v55
	v_xad_u32 v57, v55, -1, v34
	v_add_nc_u32_e32 v58, 1, v55
	ds_load_i8 v56, v56
	ds_load_i8 v57, v57
	s_wait_dscnt 0x0
	v_cmp_lt_i16_e64 s8, v57, v56
	s_wait_alu 0xf1ff
	s_delay_alu instid0(VALU_DEP_1) | instskip(SKIP_1) | instid1(VALU_DEP_1)
	v_cndmask_b32_e64 v54, v54, v55, s8
	v_cndmask_b32_e64 v53, v58, v53, s8
	v_cmp_ge_i32_e64 s8, v53, v54
	s_wait_alu 0xfffe
	s_or_b32 s10, s8, s10
	s_wait_alu 0xfffe
	s_and_not1_b32 exec_lo, exec_lo, s10
	s_cbranch_execnz .LBB76_100
; %bb.101:                              ;   in Loop: Header=BB76_2 Depth=1
	s_or_b32 exec_lo, exec_lo, s10
.LBB76_102:                             ;   in Loop: Header=BB76_2 Depth=1
	s_wait_alu 0xfffe
	s_or_b32 exec_lo, exec_lo, s9
	v_add_nc_u32_e32 v58, v53, v8
	v_sub_nc_u32_e32 v57, v34, v53
                                        ; implicit-def: $vgpr55
	ds_load_u8 v53, v58
	ds_load_u8 v54, v57
	v_cmp_le_i32_e64 s8, v24, v58
	v_cmp_gt_i32_e64 s10, v25, v57
	s_wait_dscnt 0x1
	v_bfe_i32 v53, v53, 0, 8
	s_wait_dscnt 0x0
	v_bfe_i32 v54, v54, 0, 8
	s_delay_alu instid0(VALU_DEP_1)
	v_cmp_lt_i16_e64 s9, v54, v53
	s_or_b32 s8, s8, s9
	s_wait_alu 0xfffe
	s_and_b32 s8, s10, s8
	s_wait_alu 0xfffe
	s_xor_b32 s9, s8, -1
	s_wait_alu 0xfffe
	s_and_saveexec_b32 s10, s9
	s_wait_alu 0xfffe
	s_xor_b32 s9, exec_lo, s10
; %bb.103:                              ;   in Loop: Header=BB76_2 Depth=1
	ds_load_u8 v55, v58 offset:1
; %bb.104:                              ;   in Loop: Header=BB76_2 Depth=1
	s_wait_alu 0xfffe
	s_or_saveexec_b32 s9, s9
	v_mov_b32_e32 v56, v54
	s_wait_alu 0xfffe
	s_xor_b32 exec_lo, exec_lo, s9
	s_cbranch_execz .LBB76_106
; %bb.105:                              ;   in Loop: Header=BB76_2 Depth=1
	ds_load_u8 v56, v57 offset:1
	s_wait_dscnt 0x1
	v_mov_b32_e32 v55, v53
.LBB76_106:                             ;   in Loop: Header=BB76_2 Depth=1
	s_or_b32 exec_lo, exec_lo, s9
	v_add_nc_u32_e32 v59, 1, v58
	v_add_nc_u32_e32 v61, 1, v57
	s_wait_dscnt 0x0
	v_bfe_i32 v62, v55, 0, 8
	s_delay_alu instid0(VALU_DEP_3) | instskip(SKIP_2) | instid1(VALU_DEP_3)
	v_cndmask_b32_e64 v60, v59, v58, s8
	v_bfe_i32 v58, v56, 0, 8
	v_cndmask_b32_e64 v59, v57, v61, s8
                                        ; implicit-def: $vgpr57
	v_cmp_ge_i32_e64 s9, v60, v24
	s_delay_alu instid0(VALU_DEP_3) | instskip(NEXT) | instid1(VALU_DEP_3)
	v_cmp_lt_i16_e64 s10, v58, v62
	v_cmp_lt_i32_e64 s11, v59, v25
	s_or_b32 s9, s9, s10
	s_wait_alu 0xfffe
	s_and_b32 s9, s11, s9
	s_wait_alu 0xfffe
	s_xor_b32 s10, s9, -1
	s_wait_alu 0xfffe
	s_and_saveexec_b32 s11, s10
	s_wait_alu 0xfffe
	s_xor_b32 s10, exec_lo, s11
; %bb.107:                              ;   in Loop: Header=BB76_2 Depth=1
	ds_load_u8 v57, v60 offset:1
; %bb.108:                              ;   in Loop: Header=BB76_2 Depth=1
	s_wait_alu 0xfffe
	s_or_saveexec_b32 s10, s10
	v_mov_b32_e32 v58, v56
	s_wait_alu 0xfffe
	s_xor_b32 exec_lo, exec_lo, s10
	s_cbranch_execz .LBB76_110
; %bb.109:                              ;   in Loop: Header=BB76_2 Depth=1
	ds_load_u8 v58, v59 offset:1
	s_wait_dscnt 0x1
	v_mov_b32_e32 v57, v55
.LBB76_110:                             ;   in Loop: Header=BB76_2 Depth=1
	s_or_b32 exec_lo, exec_lo, s10
	v_add_nc_u32_e32 v61, 1, v60
	v_add_nc_u32_e32 v62, 1, v59
	s_wait_dscnt 0x0
	v_bfe_i32 v63, v57, 0, 8
	v_bfe_i32 v64, v58, 0, 8
	v_cndmask_b32_e64 v61, v61, v60, s9
	v_cndmask_b32_e64 v60, v59, v62, s9
                                        ; implicit-def: $vgpr59
	s_delay_alu instid0(VALU_DEP_3) | instskip(NEXT) | instid1(VALU_DEP_3)
	v_cmp_lt_i16_e64 s11, v64, v63
	v_cmp_ge_i32_e64 s10, v61, v24
	s_delay_alu instid0(VALU_DEP_3)
	v_cmp_lt_i32_e64 s12, v60, v25
	s_or_b32 s10, s10, s11
	s_wait_alu 0xfffe
	s_and_b32 s10, s12, s10
	s_wait_alu 0xfffe
	s_xor_b32 s11, s10, -1
	s_wait_alu 0xfffe
	s_and_saveexec_b32 s12, s11
	s_delay_alu instid0(SALU_CYCLE_1)
	s_xor_b32 s11, exec_lo, s12
; %bb.111:                              ;   in Loop: Header=BB76_2 Depth=1
	ds_load_u8 v59, v61 offset:1
; %bb.112:                              ;   in Loop: Header=BB76_2 Depth=1
	s_wait_alu 0xfffe
	s_or_saveexec_b32 s11, s11
	v_mov_b32_e32 v62, v58
	s_wait_alu 0xfffe
	s_xor_b32 exec_lo, exec_lo, s11
	s_cbranch_execz .LBB76_114
; %bb.113:                              ;   in Loop: Header=BB76_2 Depth=1
	ds_load_u8 v62, v60 offset:1
	s_wait_dscnt 0x1
	v_mov_b32_e32 v59, v57
.LBB76_114:                             ;   in Loop: Header=BB76_2 Depth=1
	s_or_b32 exec_lo, exec_lo, s11
	v_add_nc_u32_e32 v63, 1, v61
	v_add_nc_u32_e32 v64, 1, v60
	s_wait_dscnt 0x0
	v_bfe_i32 v65, v59, 0, 8
	v_bfe_i32 v66, v62, 0, 8
	v_cndmask_b32_e64 v57, v57, v58, s10
	v_cndmask_b32_e64 v61, v63, v61, s10
	;; [unrolled: 1-line block ×4, first 2 shown]
	v_cmp_lt_i16_e64 s9, v66, v65
	v_cndmask_b32_e64 v53, v53, v54, s8
	v_cmp_ge_i32_e64 s10, v61, v24
	v_cmp_lt_i32_e64 s8, v58, v25
	s_wait_loadcnt 0x0
	s_barrier_signal -1
	s_barrier_wait -1
	s_or_b32 s9, s10, s9
	global_inv scope:SCOPE_SE
	s_wait_alu 0xfffe
	s_and_b32 s8, s8, s9
	s_wait_alu 0xfffe
	v_cndmask_b32_e64 v54, v59, v62, s8
	ds_store_b8 v1, v53
	ds_store_b8 v1, v55 offset:1
	ds_store_b8 v1, v57 offset:2
	;; [unrolled: 1-line block ×3, first 2 shown]
	v_mov_b32_e32 v53, v51
	s_wait_loadcnt_dscnt 0x0
	s_barrier_signal -1
	s_barrier_wait -1
	global_inv scope:SCOPE_SE
	s_and_saveexec_b32 s9, s7
	s_cbranch_execz .LBB76_118
; %bb.115:                              ;   in Loop: Header=BB76_2 Depth=1
	v_dual_mov_b32 v53, v51 :: v_dual_mov_b32 v54, v43
	s_mov_b32 s10, 0
.LBB76_116:                             ;   Parent Loop BB76_2 Depth=1
                                        ; =>  This Inner Loop Header: Depth=2
	s_delay_alu instid0(VALU_DEP_1) | instskip(NEXT) | instid1(VALU_DEP_1)
	v_sub_nc_u32_e32 v55, v54, v53
	v_lshrrev_b32_e32 v55, 1, v55
	s_delay_alu instid0(VALU_DEP_1) | instskip(NEXT) | instid1(VALU_DEP_1)
	v_add_nc_u32_e32 v55, v55, v53
	v_add_nc_u32_e32 v56, v9, v55
	v_xad_u32 v57, v55, -1, v35
	v_add_nc_u32_e32 v58, 1, v55
	ds_load_i8 v56, v56
	ds_load_i8 v57, v57
	s_wait_dscnt 0x0
	v_cmp_lt_i16_e64 s8, v57, v56
	s_wait_alu 0xf1ff
	s_delay_alu instid0(VALU_DEP_1) | instskip(SKIP_1) | instid1(VALU_DEP_1)
	v_cndmask_b32_e64 v54, v54, v55, s8
	v_cndmask_b32_e64 v53, v58, v53, s8
	v_cmp_ge_i32_e64 s8, v53, v54
	s_wait_alu 0xfffe
	s_or_b32 s10, s8, s10
	s_wait_alu 0xfffe
	s_and_not1_b32 exec_lo, exec_lo, s10
	s_cbranch_execnz .LBB76_116
; %bb.117:                              ;   in Loop: Header=BB76_2 Depth=1
	s_or_b32 exec_lo, exec_lo, s10
.LBB76_118:                             ;   in Loop: Header=BB76_2 Depth=1
	s_wait_alu 0xfffe
	s_or_b32 exec_lo, exec_lo, s9
	v_add_nc_u32_e32 v58, v53, v9
	v_sub_nc_u32_e32 v57, v35, v53
                                        ; implicit-def: $vgpr55
	ds_load_u8 v53, v58
	ds_load_u8 v54, v57
	v_cmp_le_i32_e64 s8, v26, v58
	v_cmp_gt_i32_e64 s10, v27, v57
	s_wait_dscnt 0x1
	v_bfe_i32 v53, v53, 0, 8
	s_wait_dscnt 0x0
	v_bfe_i32 v54, v54, 0, 8
	s_delay_alu instid0(VALU_DEP_1)
	v_cmp_lt_i16_e64 s9, v54, v53
	s_or_b32 s8, s8, s9
	s_wait_alu 0xfffe
	s_and_b32 s8, s10, s8
	s_wait_alu 0xfffe
	s_xor_b32 s9, s8, -1
	s_wait_alu 0xfffe
	s_and_saveexec_b32 s10, s9
	s_wait_alu 0xfffe
	s_xor_b32 s9, exec_lo, s10
; %bb.119:                              ;   in Loop: Header=BB76_2 Depth=1
	ds_load_u8 v55, v58 offset:1
; %bb.120:                              ;   in Loop: Header=BB76_2 Depth=1
	s_wait_alu 0xfffe
	s_or_saveexec_b32 s9, s9
	v_mov_b32_e32 v56, v54
	s_wait_alu 0xfffe
	s_xor_b32 exec_lo, exec_lo, s9
	s_cbranch_execz .LBB76_122
; %bb.121:                              ;   in Loop: Header=BB76_2 Depth=1
	ds_load_u8 v56, v57 offset:1
	s_wait_dscnt 0x1
	v_mov_b32_e32 v55, v53
.LBB76_122:                             ;   in Loop: Header=BB76_2 Depth=1
	s_or_b32 exec_lo, exec_lo, s9
	v_add_nc_u32_e32 v59, 1, v58
	v_add_nc_u32_e32 v61, 1, v57
	s_wait_dscnt 0x0
	v_bfe_i32 v62, v55, 0, 8
	s_delay_alu instid0(VALU_DEP_3) | instskip(SKIP_2) | instid1(VALU_DEP_3)
	v_cndmask_b32_e64 v60, v59, v58, s8
	v_bfe_i32 v58, v56, 0, 8
	v_cndmask_b32_e64 v59, v57, v61, s8
                                        ; implicit-def: $vgpr57
	v_cmp_ge_i32_e64 s9, v60, v26
	s_delay_alu instid0(VALU_DEP_3) | instskip(NEXT) | instid1(VALU_DEP_3)
	v_cmp_lt_i16_e64 s10, v58, v62
	v_cmp_lt_i32_e64 s11, v59, v27
	s_or_b32 s9, s9, s10
	s_wait_alu 0xfffe
	s_and_b32 s9, s11, s9
	s_wait_alu 0xfffe
	s_xor_b32 s10, s9, -1
	s_wait_alu 0xfffe
	s_and_saveexec_b32 s11, s10
	s_wait_alu 0xfffe
	s_xor_b32 s10, exec_lo, s11
; %bb.123:                              ;   in Loop: Header=BB76_2 Depth=1
	ds_load_u8 v57, v60 offset:1
; %bb.124:                              ;   in Loop: Header=BB76_2 Depth=1
	s_wait_alu 0xfffe
	s_or_saveexec_b32 s10, s10
	v_mov_b32_e32 v58, v56
	s_wait_alu 0xfffe
	s_xor_b32 exec_lo, exec_lo, s10
	s_cbranch_execz .LBB76_126
; %bb.125:                              ;   in Loop: Header=BB76_2 Depth=1
	ds_load_u8 v58, v59 offset:1
	s_wait_dscnt 0x1
	v_mov_b32_e32 v57, v55
.LBB76_126:                             ;   in Loop: Header=BB76_2 Depth=1
	s_or_b32 exec_lo, exec_lo, s10
	v_add_nc_u32_e32 v61, 1, v60
	v_add_nc_u32_e32 v62, 1, v59
	s_wait_dscnt 0x0
	v_bfe_i32 v63, v57, 0, 8
	v_bfe_i32 v64, v58, 0, 8
	v_cndmask_b32_e64 v61, v61, v60, s9
	v_cndmask_b32_e64 v60, v59, v62, s9
                                        ; implicit-def: $vgpr59
	s_delay_alu instid0(VALU_DEP_3) | instskip(NEXT) | instid1(VALU_DEP_3)
	v_cmp_lt_i16_e64 s11, v64, v63
	v_cmp_ge_i32_e64 s10, v61, v26
	s_delay_alu instid0(VALU_DEP_3)
	v_cmp_lt_i32_e64 s12, v60, v27
	s_or_b32 s10, s10, s11
	s_wait_alu 0xfffe
	s_and_b32 s10, s12, s10
	s_wait_alu 0xfffe
	s_xor_b32 s11, s10, -1
	s_wait_alu 0xfffe
	s_and_saveexec_b32 s12, s11
	s_delay_alu instid0(SALU_CYCLE_1)
	s_xor_b32 s11, exec_lo, s12
; %bb.127:                              ;   in Loop: Header=BB76_2 Depth=1
	ds_load_u8 v59, v61 offset:1
; %bb.128:                              ;   in Loop: Header=BB76_2 Depth=1
	s_wait_alu 0xfffe
	s_or_saveexec_b32 s11, s11
	v_mov_b32_e32 v62, v58
	s_wait_alu 0xfffe
	s_xor_b32 exec_lo, exec_lo, s11
	s_cbranch_execz .LBB76_130
; %bb.129:                              ;   in Loop: Header=BB76_2 Depth=1
	ds_load_u8 v62, v60 offset:1
	s_wait_dscnt 0x1
	v_mov_b32_e32 v59, v57
.LBB76_130:                             ;   in Loop: Header=BB76_2 Depth=1
	s_or_b32 exec_lo, exec_lo, s11
	v_add_nc_u32_e32 v63, 1, v61
	v_add_nc_u32_e32 v64, 1, v60
	s_wait_dscnt 0x0
	v_bfe_i32 v65, v59, 0, 8
	v_bfe_i32 v66, v62, 0, 8
	v_cndmask_b32_e64 v57, v57, v58, s10
	v_cndmask_b32_e64 v61, v63, v61, s10
	;; [unrolled: 1-line block ×4, first 2 shown]
	v_cmp_lt_i16_e64 s9, v66, v65
	v_cndmask_b32_e64 v53, v53, v54, s8
	v_cmp_ge_i32_e64 s10, v61, v26
	v_cmp_lt_i32_e64 s8, v58, v27
	s_wait_loadcnt 0x0
	s_barrier_signal -1
	s_barrier_wait -1
	s_or_b32 s9, s10, s9
	global_inv scope:SCOPE_SE
	s_wait_alu 0xfffe
	s_and_b32 s8, s8, s9
	s_wait_alu 0xfffe
	v_cndmask_b32_e64 v54, v59, v62, s8
	ds_store_b8 v1, v53
	ds_store_b8 v1, v55 offset:1
	ds_store_b8 v1, v57 offset:2
	;; [unrolled: 1-line block ×3, first 2 shown]
	v_mov_b32_e32 v57, v10
	s_wait_loadcnt_dscnt 0x0
	s_barrier_signal -1
	s_barrier_wait -1
	global_inv scope:SCOPE_SE
	s_and_saveexec_b32 s9, vcc_lo
	s_cbranch_execz .LBB76_134
; %bb.131:                              ;   in Loop: Header=BB76_2 Depth=1
	v_mov_b32_e32 v57, v10
	v_mov_b32_e32 v53, v11
	s_mov_b32 s10, 0
.LBB76_132:                             ;   Parent Loop BB76_2 Depth=1
                                        ; =>  This Inner Loop Header: Depth=2
	s_delay_alu instid0(VALU_DEP_1) | instskip(NEXT) | instid1(VALU_DEP_1)
	v_sub_nc_u32_e32 v54, v53, v57
	v_lshrrev_b32_e32 v54, 1, v54
	s_delay_alu instid0(VALU_DEP_1) | instskip(NEXT) | instid1(VALU_DEP_1)
	v_add_nc_u32_e32 v54, v54, v57
	v_xad_u32 v55, v54, -1, v52
	v_add_nc_u32_e32 v58, 1, v54
	ds_load_i8 v56, v54
	ds_load_i8 v55, v55
	s_wait_dscnt 0x0
	v_cmp_lt_i16_e64 s8, v55, v56
	s_wait_alu 0xf1ff
	s_delay_alu instid0(VALU_DEP_1) | instskip(SKIP_1) | instid1(VALU_DEP_1)
	v_cndmask_b32_e64 v53, v53, v54, s8
	v_cndmask_b32_e64 v57, v58, v57, s8
	v_cmp_ge_i32_e64 s8, v57, v53
	s_wait_alu 0xfffe
	s_or_b32 s10, s8, s10
	s_wait_alu 0xfffe
	s_and_not1_b32 exec_lo, exec_lo, s10
	s_cbranch_execnz .LBB76_132
; %bb.133:                              ;   in Loop: Header=BB76_2 Depth=1
	s_or_b32 exec_lo, exec_lo, s10
.LBB76_134:                             ;   in Loop: Header=BB76_2 Depth=1
	s_wait_alu 0xfffe
	s_or_b32 exec_lo, exec_lo, s9
	v_sub_nc_u32_e32 v58, v52, v57
	v_cmp_le_i32_e64 s8, 0x400, v57
                                        ; implicit-def: $vgpr55
	ds_load_u8 v53, v57
	ds_load_u8 v54, v58
	v_cmp_gt_i32_e64 s10, 0x800, v58
	s_wait_dscnt 0x1
	v_bfe_i32 v53, v53, 0, 8
	s_wait_dscnt 0x0
	v_bfe_i32 v54, v54, 0, 8
	s_delay_alu instid0(VALU_DEP_1)
	v_cmp_lt_i16_e64 s9, v54, v53
	s_or_b32 s8, s8, s9
	s_wait_alu 0xfffe
	s_and_b32 s8, s10, s8
	s_wait_alu 0xfffe
	s_xor_b32 s9, s8, -1
	s_wait_alu 0xfffe
	s_and_saveexec_b32 s10, s9
	s_wait_alu 0xfffe
	s_xor_b32 s9, exec_lo, s10
; %bb.135:                              ;   in Loop: Header=BB76_2 Depth=1
	ds_load_u8 v55, v57 offset:1
; %bb.136:                              ;   in Loop: Header=BB76_2 Depth=1
	s_wait_alu 0xfffe
	s_or_saveexec_b32 s9, s9
	v_mov_b32_e32 v56, v54
	s_wait_alu 0xfffe
	s_xor_b32 exec_lo, exec_lo, s9
	s_cbranch_execz .LBB76_138
; %bb.137:                              ;   in Loop: Header=BB76_2 Depth=1
	ds_load_u8 v56, v58 offset:1
	s_wait_dscnt 0x1
	v_mov_b32_e32 v55, v53
.LBB76_138:                             ;   in Loop: Header=BB76_2 Depth=1
	s_or_b32 exec_lo, exec_lo, s9
	v_add_nc_u32_e32 v59, 1, v57
	v_add_nc_u32_e32 v61, 1, v58
	s_wait_dscnt 0x0
	v_bfe_i32 v62, v55, 0, 8
	s_delay_alu instid0(VALU_DEP_3) | instskip(SKIP_2) | instid1(VALU_DEP_3)
	v_cndmask_b32_e64 v60, v59, v57, s8
	v_bfe_i32 v57, v56, 0, 8
	v_cndmask_b32_e64 v59, v58, v61, s8
	v_cmp_le_i32_e64 s9, 0x400, v60
	s_delay_alu instid0(VALU_DEP_3) | instskip(NEXT) | instid1(VALU_DEP_3)
	v_cmp_lt_i16_e64 s10, v57, v62
	v_cmp_gt_i32_e64 s11, 0x800, v59
                                        ; implicit-def: $vgpr57
	s_or_b32 s9, s9, s10
	s_wait_alu 0xfffe
	s_and_b32 s9, s11, s9
	s_wait_alu 0xfffe
	s_xor_b32 s10, s9, -1
	s_wait_alu 0xfffe
	s_and_saveexec_b32 s11, s10
	s_wait_alu 0xfffe
	s_xor_b32 s10, exec_lo, s11
; %bb.139:                              ;   in Loop: Header=BB76_2 Depth=1
	ds_load_u8 v57, v60 offset:1
; %bb.140:                              ;   in Loop: Header=BB76_2 Depth=1
	s_wait_alu 0xfffe
	s_or_saveexec_b32 s10, s10
	v_mov_b32_e32 v58, v56
	s_wait_alu 0xfffe
	s_xor_b32 exec_lo, exec_lo, s10
	s_cbranch_execz .LBB76_142
; %bb.141:                              ;   in Loop: Header=BB76_2 Depth=1
	ds_load_u8 v58, v59 offset:1
	s_wait_dscnt 0x1
	v_mov_b32_e32 v57, v55
.LBB76_142:                             ;   in Loop: Header=BB76_2 Depth=1
	s_or_b32 exec_lo, exec_lo, s10
	v_add_nc_u32_e32 v61, 1, v60
	v_add_nc_u32_e32 v63, 1, v59
	s_wait_dscnt 0x0
	v_bfe_i32 v64, v57, 0, 8
	s_delay_alu instid0(VALU_DEP_3) | instskip(SKIP_2) | instid1(VALU_DEP_3)
	v_cndmask_b32_e64 v62, v61, v60, s9
	v_bfe_i32 v60, v58, 0, 8
	v_cndmask_b32_e64 v59, v59, v63, s9
                                        ; implicit-def: $vgpr61
	v_cmp_le_i32_e64 s10, 0x400, v62
	s_delay_alu instid0(VALU_DEP_3) | instskip(NEXT) | instid1(VALU_DEP_3)
	v_cmp_lt_i16_e64 s11, v60, v64
	v_cmp_gt_i32_e64 s12, 0x800, v59
                                        ; implicit-def: $vgpr60
	s_or_b32 s10, s10, s11
	s_wait_alu 0xfffe
	s_and_b32 s10, s12, s10
	s_wait_alu 0xfffe
	s_xor_b32 s11, s10, -1
	s_wait_alu 0xfffe
	s_and_saveexec_b32 s12, s11
	s_delay_alu instid0(SALU_CYCLE_1)
	s_xor_b32 s11, exec_lo, s12
; %bb.143:                              ;   in Loop: Header=BB76_2 Depth=1
	ds_load_u8 v60, v62 offset:1
	v_add_nc_u32_e32 v61, 1, v62
                                        ; implicit-def: $vgpr62
; %bb.144:                              ;   in Loop: Header=BB76_2 Depth=1
	s_wait_alu 0xfffe
	s_or_saveexec_b32 s11, s11
	v_mov_b32_e32 v63, v58
	s_wait_alu 0xfffe
	s_xor_b32 exec_lo, exec_lo, s11
	s_cbranch_execz .LBB76_1
; %bb.145:                              ;   in Loop: Header=BB76_2 Depth=1
	ds_load_u8 v63, v59 offset:1
	s_wait_dscnt 0x1
	v_dual_mov_b32 v60, v57 :: v_dual_add_nc_u32 v59, 1, v59
	v_mov_b32_e32 v61, v62
	s_branch .LBB76_1
.LBB76_146:
	s_add_nc_u64 s[0:1], s[14:15], s[16:17]
	s_wait_alu 0xfffe
	v_add_co_u32 v0, s0, s0, v0
	s_wait_alu 0xf1ff
	v_add_co_ci_u32_e64 v1, null, s1, 0, s0
	s_clause 0x3
	global_store_b8 v[0:1], v53, off
	global_store_b8 v[0:1], v54, off offset:512
	global_store_b8 v[0:1], v55, off offset:1024
	;; [unrolled: 1-line block ×3, first 2 shown]
	s_endpgm
	.section	.rodata,"a",@progbits
	.p2align	6, 0x0
	.amdhsa_kernel _Z16sort_keys_kernelIaLj512ELj4EN10test_utils4lessELj10EEvPKT_PS2_T2_
		.amdhsa_group_segment_fixed_size 2049
		.amdhsa_private_segment_fixed_size 0
		.amdhsa_kernarg_size 20
		.amdhsa_user_sgpr_count 2
		.amdhsa_user_sgpr_dispatch_ptr 0
		.amdhsa_user_sgpr_queue_ptr 0
		.amdhsa_user_sgpr_kernarg_segment_ptr 1
		.amdhsa_user_sgpr_dispatch_id 0
		.amdhsa_user_sgpr_private_segment_size 0
		.amdhsa_wavefront_size32 1
		.amdhsa_uses_dynamic_stack 0
		.amdhsa_enable_private_segment 0
		.amdhsa_system_sgpr_workgroup_id_x 1
		.amdhsa_system_sgpr_workgroup_id_y 0
		.amdhsa_system_sgpr_workgroup_id_z 0
		.amdhsa_system_sgpr_workgroup_info 0
		.amdhsa_system_vgpr_workitem_id 0
		.amdhsa_next_free_vgpr 72
		.amdhsa_next_free_sgpr 19
		.amdhsa_reserve_vcc 1
		.amdhsa_float_round_mode_32 0
		.amdhsa_float_round_mode_16_64 0
		.amdhsa_float_denorm_mode_32 3
		.amdhsa_float_denorm_mode_16_64 3
		.amdhsa_fp16_overflow 0
		.amdhsa_workgroup_processor_mode 1
		.amdhsa_memory_ordered 1
		.amdhsa_forward_progress 1
		.amdhsa_inst_pref_size 71
		.amdhsa_round_robin_scheduling 0
		.amdhsa_exception_fp_ieee_invalid_op 0
		.amdhsa_exception_fp_denorm_src 0
		.amdhsa_exception_fp_ieee_div_zero 0
		.amdhsa_exception_fp_ieee_overflow 0
		.amdhsa_exception_fp_ieee_underflow 0
		.amdhsa_exception_fp_ieee_inexact 0
		.amdhsa_exception_int_div_zero 0
	.end_amdhsa_kernel
	.section	.text._Z16sort_keys_kernelIaLj512ELj4EN10test_utils4lessELj10EEvPKT_PS2_T2_,"axG",@progbits,_Z16sort_keys_kernelIaLj512ELj4EN10test_utils4lessELj10EEvPKT_PS2_T2_,comdat
.Lfunc_end76:
	.size	_Z16sort_keys_kernelIaLj512ELj4EN10test_utils4lessELj10EEvPKT_PS2_T2_, .Lfunc_end76-_Z16sort_keys_kernelIaLj512ELj4EN10test_utils4lessELj10EEvPKT_PS2_T2_
                                        ; -- End function
	.set _Z16sort_keys_kernelIaLj512ELj4EN10test_utils4lessELj10EEvPKT_PS2_T2_.num_vgpr, 72
	.set _Z16sort_keys_kernelIaLj512ELj4EN10test_utils4lessELj10EEvPKT_PS2_T2_.num_agpr, 0
	.set _Z16sort_keys_kernelIaLj512ELj4EN10test_utils4lessELj10EEvPKT_PS2_T2_.numbered_sgpr, 19
	.set _Z16sort_keys_kernelIaLj512ELj4EN10test_utils4lessELj10EEvPKT_PS2_T2_.num_named_barrier, 0
	.set _Z16sort_keys_kernelIaLj512ELj4EN10test_utils4lessELj10EEvPKT_PS2_T2_.private_seg_size, 0
	.set _Z16sort_keys_kernelIaLj512ELj4EN10test_utils4lessELj10EEvPKT_PS2_T2_.uses_vcc, 1
	.set _Z16sort_keys_kernelIaLj512ELj4EN10test_utils4lessELj10EEvPKT_PS2_T2_.uses_flat_scratch, 0
	.set _Z16sort_keys_kernelIaLj512ELj4EN10test_utils4lessELj10EEvPKT_PS2_T2_.has_dyn_sized_stack, 0
	.set _Z16sort_keys_kernelIaLj512ELj4EN10test_utils4lessELj10EEvPKT_PS2_T2_.has_recursion, 0
	.set _Z16sort_keys_kernelIaLj512ELj4EN10test_utils4lessELj10EEvPKT_PS2_T2_.has_indirect_call, 0
	.section	.AMDGPU.csdata,"",@progbits
; Kernel info:
; codeLenInByte = 8964
; TotalNumSgprs: 21
; NumVgprs: 72
; ScratchSize: 0
; MemoryBound: 0
; FloatMode: 240
; IeeeMode: 1
; LDSByteSize: 2049 bytes/workgroup (compile time only)
; SGPRBlocks: 0
; VGPRBlocks: 8
; NumSGPRsForWavesPerEU: 21
; NumVGPRsForWavesPerEU: 72
; Occupancy: 16
; WaveLimiterHint : 1
; COMPUTE_PGM_RSRC2:SCRATCH_EN: 0
; COMPUTE_PGM_RSRC2:USER_SGPR: 2
; COMPUTE_PGM_RSRC2:TRAP_HANDLER: 0
; COMPUTE_PGM_RSRC2:TGID_X_EN: 1
; COMPUTE_PGM_RSRC2:TGID_Y_EN: 0
; COMPUTE_PGM_RSRC2:TGID_Z_EN: 0
; COMPUTE_PGM_RSRC2:TIDIG_COMP_CNT: 0
	.section	.text._Z17sort_pairs_kernelIaLj512ELj4EN10test_utils4lessELj10EEvPKT_PS2_T2_,"axG",@progbits,_Z17sort_pairs_kernelIaLj512ELj4EN10test_utils4lessELj10EEvPKT_PS2_T2_,comdat
	.protected	_Z17sort_pairs_kernelIaLj512ELj4EN10test_utils4lessELj10EEvPKT_PS2_T2_ ; -- Begin function _Z17sort_pairs_kernelIaLj512ELj4EN10test_utils4lessELj10EEvPKT_PS2_T2_
	.globl	_Z17sort_pairs_kernelIaLj512ELj4EN10test_utils4lessELj10EEvPKT_PS2_T2_
	.p2align	8
	.type	_Z17sort_pairs_kernelIaLj512ELj4EN10test_utils4lessELj10EEvPKT_PS2_T2_,@function
_Z17sort_pairs_kernelIaLj512ELj4EN10test_utils4lessELj10EEvPKT_PS2_T2_: ; @_Z17sort_pairs_kernelIaLj512ELj4EN10test_utils4lessELj10EEvPKT_PS2_T2_
; %bb.0:
	s_load_b128 s[20:23], s[0:1], 0x0
	s_lshl_b32 s24, ttmp9, 11
	s_mov_b32 s25, 0
	v_lshlrev_b32_e32 v1, 2, v0
	s_mov_b32 s19, s25
	s_delay_alu instid0(VALU_DEP_1)
	v_and_b32_e32 v2, 0x7f8, v1
	v_and_b32_e32 v3, 0x7f0, v1
	;; [unrolled: 1-line block ×5, first 2 shown]
	v_or_b32_e32 v12, 4, v2
	v_add_nc_u32_e32 v13, 8, v2
	v_or_b32_e32 v14, 8, v3
	v_add_nc_u32_e32 v15, 16, v3
	v_and_b32_e32 v5, 0x7c0, v1
	v_or_b32_e32 v16, 16, v4
	v_sub_nc_u32_e32 v52, v13, v12
	s_wait_kmcnt 0x0
	s_add_nc_u64 s[0:1], s[20:21], s[24:25]
	v_add_nc_u32_e32 v17, 32, v4
	s_clause 0x3
	global_load_u8 v59, v0, s[0:1]
	global_load_u8 v58, v0, s[0:1] offset:512
	global_load_u8 v60, v0, s[0:1] offset:1024
	;; [unrolled: 1-line block ×3, first 2 shown]
	v_sub_nc_u32_e32 v36, v12, v2
	v_sub_nc_u32_e32 v53, v15, v14
	v_sub_nc_u32_e32 v64, v44, v52
	v_cmp_ge_i32_e64 s0, v44, v52
	v_and_b32_e32 v46, 28, v1
	v_and_b32_e32 v6, 0x780, v1
	v_or_b32_e32 v18, 32, v5
	v_add_nc_u32_e32 v19, 64, v5
	v_add_nc_u32_e32 v28, v12, v44
	v_sub_nc_u32_e32 v37, v14, v3
	v_sub_nc_u32_e32 v54, v17, v16
	v_min_i32_e32 v36, v44, v36
	v_sub_nc_u32_e32 v65, v45, v53
	v_cndmask_b32_e64 v44, 0, v64, s0
	v_cmp_ge_i32_e64 s0, v45, v53
	v_and_b32_e32 v47, 60, v1
	v_and_b32_e32 v7, 0x700, v1
	v_or_b32_e32 v20, 64, v6
	v_add_nc_u32_e32 v21, 0x80, v6
	v_add_nc_u32_e32 v29, v14, v45
	v_sub_nc_u32_e32 v38, v16, v4
	v_sub_nc_u32_e32 v55, v19, v18
	v_min_i32_e32 v37, v45, v37
	v_sub_nc_u32_e32 v66, v46, v54
	s_wait_alu 0xf1ff
	v_cndmask_b32_e64 v45, 0, v65, s0
	v_cmp_ge_i32_e64 s0, v46, v54
	v_and_b32_e32 v48, 0x7c, v1
	v_and_b32_e32 v8, 0x600, v1
	v_or_b32_e32 v22, 0x80, v7
	v_add_nc_u32_e32 v23, 0x100, v7
	v_add_nc_u32_e32 v30, v16, v46
	v_sub_nc_u32_e32 v39, v18, v5
	v_sub_nc_u32_e32 v56, v21, v20
	v_min_i32_e32 v38, v46, v38
	v_sub_nc_u32_e32 v67, v47, v55
	s_wait_alu 0xf1ff
	;; [unrolled: 12-line block ×3, first 2 shown]
	v_cndmask_b32_e64 v47, 0, v67, s0
	v_cmp_ge_i32_e64 s0, v48, v56
	v_and_b32_e32 v50, 0x1fc, v1
	v_or_b32_e32 v26, 0x200, v9
	v_add_nc_u32_e32 v27, 0x400, v9
	v_add_nc_u32_e32 v32, v20, v48
	v_sub_nc_u32_e32 v41, v22, v7
	v_sub_nc_u32_e32 v62, v25, v24
	v_min_i32_e32 v40, v48, v40
	v_sub_nc_u32_e32 v69, v49, v61
	s_wait_alu 0xf1ff
	v_cndmask_b32_e64 v48, 0, v68, s0
	v_cmp_ge_i32_e64 s0, v49, v61
	v_and_b32_e32 v51, 0x3fc, v1
	v_add_nc_u32_e32 v33, v22, v49
	v_sub_nc_u32_e32 v42, v24, v8
	v_sub_nc_u32_e32 v63, v27, v26
	v_min_i32_e32 v41, v49, v41
	v_sub_nc_u32_e32 v70, v50, v62
	s_wait_alu 0xf1ff
	v_cndmask_b32_e64 v49, 0, v69, s0
	v_cmp_ge_i32_e64 s0, v50, v62
	v_add_nc_u32_e32 v34, v24, v50
	v_sub_nc_u32_e32 v43, v26, v9
	v_min_i32_e32 v42, v50, v42
	v_sub_nc_u32_e32 v71, v51, v63
	s_wait_alu 0xf1ff
	v_cndmask_b32_e64 v50, 0, v70, s0
	v_cmp_ge_i32_e64 s0, v51, v63
	v_add_nc_u32_e32 v35, v26, v51
	v_min_i32_e32 v43, v51, v43
	v_subrev_nc_u32_e64 v10, 0x400, v1 clamp
	v_min_i32_e32 v11, 0x400, v1
	s_wait_alu 0xf1ff
	v_cndmask_b32_e64 v51, 0, v71, s0
	v_cmp_lt_i32_e64 s0, v44, v36
	v_cmp_lt_i32_e64 s1, v45, v37
	;; [unrolled: 1-line block ×8, first 2 shown]
	v_add_nc_u32_e32 v52, 0x400, v1
	v_cmp_lt_i32_e32 vcc_lo, v10, v11
	s_wait_loadcnt 0x3
	v_add_nc_u16 v56, v59, 1
	s_wait_loadcnt 0x2
	v_add_nc_u16 v55, v58, 1
	;; [unrolled: 2-line block ×4, first 2 shown]
	s_branch .LBB77_2
.LBB77_1:                               ;   in Loop: Header=BB77_2 Depth=1
	s_or_b32 exec_lo, exec_lo, s11
	s_wait_dscnt 0x0
	s_delay_alu instid0(VALU_DEP_1)
	v_bfe_i32 v72, v69, 0, 8
	v_bfe_i32 v73, v71, 0, 8
	v_cmp_le_i32_e64 s11, 0x400, v68
	v_cmp_gt_i32_e64 s13, 0x800, v67
	v_cndmask_b32_e64 v62, v57, v62, s8
	v_cndmask_b32_e64 v65, v65, v66, s9
	v_cmp_lt_i16_e64 s12, v73, v72
	s_wait_loadcnt 0x0
	s_barrier_signal -1
	s_barrier_wait -1
	global_inv scope:SCOPE_SE
	s_or_b32 s11, s11, s12
	ds_store_b8 v1, v53
	ds_store_b8 v1, v55 offset:1
	ds_store_b8 v1, v56 offset:2
	;; [unrolled: 1-line block ×3, first 2 shown]
	s_wait_alu 0xfffe
	s_and_b32 s11, s13, s11
	s_wait_loadcnt_dscnt 0x0
	s_wait_alu 0xfffe
	v_cndmask_b32_e64 v66, v68, v67, s11
	s_barrier_signal -1
	s_barrier_wait -1
	global_inv scope:SCOPE_SE
	ds_load_u8 v56, v62
	ds_load_u8 v53, v70
	;; [unrolled: 1-line block ×4, first 2 shown]
	v_cndmask_b32_e64 v57, v69, v71, s11
	v_cndmask_b32_e64 v59, v58, v59, s8
	;; [unrolled: 1-line block ×4, first 2 shown]
	s_add_co_i32 s19, s19, 1
	s_delay_alu instid0(SALU_CYCLE_1)
	s_cmp_eq_u32 s19, 10
	s_cbranch_scc1 .LBB77_146
.LBB77_2:                               ; =>This Loop Header: Depth=1
                                        ;     Child Loop BB77_4 Depth 2
                                        ;     Child Loop BB77_20 Depth 2
	;; [unrolled: 1-line block ×9, first 2 shown]
	s_delay_alu instid0(VALU_DEP_1)
	v_perm_b32 v57, v60, v57, 0xc0c0004
	v_perm_b32 v60, v58, v59, 0xc0c0004
	v_perm_b32 v61, v59, v58, 0xc0c0004
	v_bfe_i32 v59, v59, 0, 8
	v_bfe_i32 v58, v58, 0, 8
	v_lshlrev_b32_e32 v57, 16, v57
	s_barrier_signal -1
	s_barrier_wait -1
	s_delay_alu instid0(VALU_DEP_2) | instskip(NEXT) | instid1(VALU_DEP_2)
	v_cmp_lt_i16_e64 s8, v58, v59
	v_or_b32_e32 v60, v60, v57
	v_or_b32_e32 v57, v61, v57
	global_inv scope:SCOPE_SE
	s_wait_alu 0xf1ff
	v_cndmask_b32_e64 v57, v57, v60, s8
	s_delay_alu instid0(VALU_DEP_1) | instskip(SKIP_1) | instid1(VALU_DEP_2)
	v_lshrrev_b32_e32 v58, 16, v57
	v_lshrrev_b32_e32 v60, 24, v57
	v_perm_b32 v59, 0, v58, 0xc0c0001
	s_delay_alu instid0(VALU_DEP_2) | instskip(SKIP_1) | instid1(VALU_DEP_3)
	v_bfe_i32 v60, v60, 0, 8
	v_bfe_i32 v58, v58, 0, 8
	v_lshlrev_b32_e32 v59, 16, v59
	s_delay_alu instid0(VALU_DEP_2) | instskip(SKIP_1) | instid1(VALU_DEP_3)
	v_cmp_lt_i16_e64 s9, v60, v58
	v_min_i16 v58, v60, v58
	v_and_or_b32 v59, 0xffff, v57, v59
	s_delay_alu instid0(VALU_DEP_2) | instskip(SKIP_1) | instid1(VALU_DEP_2)
	v_lshlrev_b16 v60, 8, v58
	s_wait_alu 0xf1ff
	v_cndmask_b32_e64 v57, v57, v59, s9
	s_delay_alu instid0(VALU_DEP_1) | instskip(SKIP_2) | instid1(VALU_DEP_3)
	v_lshrrev_b32_e32 v59, 16, v57
	v_lshrrev_b16 v61, 8, v57
	v_and_b32_e32 v62, 0xff, v57
	v_and_b32_e32 v59, 0xffffff00, v59
	s_delay_alu instid0(VALU_DEP_2) | instskip(NEXT) | instid1(VALU_DEP_2)
	v_or_b32_e32 v60, v62, v60
	v_or_b32_e32 v59, v61, v59
	v_lshrrev_b32_e32 v61, 8, v57
	s_delay_alu instid0(VALU_DEP_3) | instskip(NEXT) | instid1(VALU_DEP_3)
	v_and_b32_e32 v60, 0xffff, v60
	v_lshlrev_b32_e32 v59, 16, v59
	s_delay_alu instid0(VALU_DEP_3) | instskip(NEXT) | instid1(VALU_DEP_2)
	v_bfe_i32 v61, v61, 0, 8
	v_or_b32_e32 v59, v60, v59
	s_delay_alu instid0(VALU_DEP_2) | instskip(SKIP_2) | instid1(VALU_DEP_2)
	v_cmp_lt_i16_e64 s10, v58, v61
	v_min_i16 v60, v58, v61
	s_wait_alu 0xf1ff
	v_cndmask_b32_e64 v57, v57, v59, s10
	s_delay_alu instid0(VALU_DEP_2) | instskip(NEXT) | instid1(VALU_DEP_2)
	v_and_b32_e32 v58, 0xff, v60
	v_lshlrev_b16 v59, 8, v57
	s_delay_alu instid0(VALU_DEP_1) | instskip(SKIP_1) | instid1(VALU_DEP_2)
	v_or_b32_e32 v58, v58, v59
	v_bfe_i32 v59, v57, 0, 8
	v_and_b32_e32 v58, 0xffff, v58
	s_delay_alu instid0(VALU_DEP_2) | instskip(NEXT) | instid1(VALU_DEP_2)
	v_cmp_lt_i16_e64 s12, v60, v59
	v_and_or_b32 v58, 0xffff0000, v57, v58
	s_wait_alu 0xf1ff
	s_delay_alu instid0(VALU_DEP_1) | instskip(NEXT) | instid1(VALU_DEP_1)
	v_cndmask_b32_e64 v57, v57, v58, s12
	v_lshrrev_b32_e32 v58, 16, v57
	v_lshrrev_b32_e32 v60, 24, v57
	s_delay_alu instid0(VALU_DEP_2) | instskip(NEXT) | instid1(VALU_DEP_2)
	v_perm_b32 v59, 0, v58, 0xc0c0001
	v_bfe_i32 v60, v60, 0, 8
	v_bfe_i32 v58, v58, 0, 8
	s_delay_alu instid0(VALU_DEP_3) | instskip(NEXT) | instid1(VALU_DEP_2)
	v_lshlrev_b32_e32 v59, 16, v59
	v_cmp_lt_i16_e64 s11, v60, v58
	v_min_i16 v58, v60, v58
	s_delay_alu instid0(VALU_DEP_3) | instskip(NEXT) | instid1(VALU_DEP_2)
	v_and_or_b32 v59, 0xffff, v57, v59
	v_lshlrev_b16 v60, 8, v58
	s_wait_alu 0xf1ff
	s_delay_alu instid0(VALU_DEP_2) | instskip(NEXT) | instid1(VALU_DEP_1)
	v_cndmask_b32_e64 v57, v57, v59, s11
	v_lshrrev_b32_e32 v59, 16, v57
	v_lshrrev_b16 v61, 8, v57
	v_and_b32_e32 v62, 0xff, v57
	s_delay_alu instid0(VALU_DEP_3) | instskip(NEXT) | instid1(VALU_DEP_2)
	v_and_b32_e32 v59, 0xffffff00, v59
	v_or_b32_e32 v60, v62, v60
	s_delay_alu instid0(VALU_DEP_2) | instskip(SKIP_1) | instid1(VALU_DEP_3)
	v_or_b32_e32 v59, v61, v59
	v_lshrrev_b32_e32 v61, 8, v57
	v_and_b32_e32 v60, 0xffff, v60
	s_delay_alu instid0(VALU_DEP_3) | instskip(NEXT) | instid1(VALU_DEP_3)
	v_lshlrev_b32_e32 v59, 16, v59
	v_bfe_i32 v61, v61, 0, 8
	s_delay_alu instid0(VALU_DEP_2) | instskip(NEXT) | instid1(VALU_DEP_2)
	v_or_b32_e32 v59, v60, v59
	v_cmp_lt_i16_e64 s13, v58, v61
	s_wait_alu 0xf1ff
	s_delay_alu instid0(VALU_DEP_1)
	v_cndmask_b32_e64 v58, v57, v59, s13
	v_mov_b32_e32 v57, v44
	ds_store_b32 v1, v58
	s_wait_loadcnt_dscnt 0x0
	s_barrier_signal -1
	s_barrier_wait -1
	global_inv scope:SCOPE_SE
	s_and_saveexec_b32 s15, s0
	s_cbranch_execz .LBB77_6
; %bb.3:                                ;   in Loop: Header=BB77_2 Depth=1
	v_dual_mov_b32 v57, v44 :: v_dual_mov_b32 v58, v36
	s_mov_b32 s16, 0
.LBB77_4:                               ;   Parent Loop BB77_2 Depth=1
                                        ; =>  This Inner Loop Header: Depth=2
	s_delay_alu instid0(VALU_DEP_1) | instskip(NEXT) | instid1(VALU_DEP_1)
	v_sub_nc_u32_e32 v59, v58, v57
	v_lshrrev_b32_e32 v59, 1, v59
	s_delay_alu instid0(VALU_DEP_1) | instskip(NEXT) | instid1(VALU_DEP_1)
	v_add_nc_u32_e32 v59, v59, v57
	v_add_nc_u32_e32 v60, v2, v59
	v_xad_u32 v61, v59, -1, v28
	v_add_nc_u32_e32 v62, 1, v59
	ds_load_i8 v60, v60
	ds_load_i8 v61, v61
	s_wait_dscnt 0x0
	v_cmp_lt_i16_e64 s14, v61, v60
	s_wait_alu 0xf1ff
	s_delay_alu instid0(VALU_DEP_1) | instskip(SKIP_1) | instid1(VALU_DEP_1)
	v_cndmask_b32_e64 v58, v58, v59, s14
	v_cndmask_b32_e64 v57, v62, v57, s14
	v_cmp_ge_i32_e64 s14, v57, v58
	s_wait_alu 0xfffe
	s_or_b32 s16, s14, s16
	s_wait_alu 0xfffe
	s_and_not1_b32 exec_lo, exec_lo, s16
	s_cbranch_execnz .LBB77_4
; %bb.5:                                ;   in Loop: Header=BB77_2 Depth=1
	s_or_b32 exec_lo, exec_lo, s16
.LBB77_6:                               ;   in Loop: Header=BB77_2 Depth=1
	s_wait_alu 0xfffe
	s_or_b32 exec_lo, exec_lo, s15
	v_add_nc_u32_e32 v61, v57, v2
	v_sub_nc_u32_e32 v62, v28, v57
                                        ; implicit-def: $vgpr59
	ds_load_u8 v57, v61
	ds_load_u8 v58, v62
	v_cmp_le_i32_e64 s14, v12, v61
	v_cmp_gt_i32_e64 s16, v13, v62
	s_wait_dscnt 0x1
	v_bfe_i32 v57, v57, 0, 8
	s_wait_dscnt 0x0
	v_bfe_i32 v58, v58, 0, 8
	s_delay_alu instid0(VALU_DEP_1)
	v_cmp_lt_i16_e64 s15, v58, v57
	s_or_b32 s14, s14, s15
	s_wait_alu 0xfffe
	s_and_b32 s14, s16, s14
	s_wait_alu 0xfffe
	s_xor_b32 s15, s14, -1
	s_wait_alu 0xfffe
	s_and_saveexec_b32 s16, s15
	s_wait_alu 0xfffe
	s_xor_b32 s15, exec_lo, s16
; %bb.7:                                ;   in Loop: Header=BB77_2 Depth=1
	ds_load_u8 v59, v61 offset:1
; %bb.8:                                ;   in Loop: Header=BB77_2 Depth=1
	s_wait_alu 0xfffe
	s_or_saveexec_b32 s15, s15
	v_mov_b32_e32 v60, v58
	s_wait_alu 0xfffe
	s_xor_b32 exec_lo, exec_lo, s15
	s_cbranch_execz .LBB77_10
; %bb.9:                                ;   in Loop: Header=BB77_2 Depth=1
	ds_load_u8 v60, v62 offset:1
	s_wait_dscnt 0x1
	v_mov_b32_e32 v59, v57
.LBB77_10:                              ;   in Loop: Header=BB77_2 Depth=1
	s_or_b32 exec_lo, exec_lo, s15
	v_add_nc_u32_e32 v63, 1, v61
	v_add_nc_u32_e32 v64, 1, v62
	s_wait_dscnt 0x0
	v_bfe_i32 v67, v59, 0, 8
	s_delay_alu instid0(VALU_DEP_3) | instskip(SKIP_2) | instid1(VALU_DEP_3)
	v_cndmask_b32_e64 v65, v63, v61, s14
	v_bfe_i32 v63, v60, 0, 8
	v_cndmask_b32_e64 v66, v62, v64, s14
	v_cmp_ge_i32_e64 s15, v65, v12
	s_delay_alu instid0(VALU_DEP_3) | instskip(NEXT) | instid1(VALU_DEP_3)
	v_cmp_lt_i16_e64 s16, v63, v67
	v_cmp_lt_i32_e64 s17, v66, v13
                                        ; implicit-def: $vgpr63
	s_or_b32 s15, s15, s16
	s_wait_alu 0xfffe
	s_and_b32 s15, s17, s15
	s_wait_alu 0xfffe
	s_xor_b32 s16, s15, -1
	s_wait_alu 0xfffe
	s_and_saveexec_b32 s17, s16
	s_wait_alu 0xfffe
	s_xor_b32 s16, exec_lo, s17
; %bb.11:                               ;   in Loop: Header=BB77_2 Depth=1
	ds_load_u8 v63, v65 offset:1
; %bb.12:                               ;   in Loop: Header=BB77_2 Depth=1
	s_wait_alu 0xfffe
	s_or_saveexec_b32 s16, s16
	v_mov_b32_e32 v64, v60
	s_wait_alu 0xfffe
	s_xor_b32 exec_lo, exec_lo, s16
	s_cbranch_execz .LBB77_14
; %bb.13:                               ;   in Loop: Header=BB77_2 Depth=1
	ds_load_u8 v64, v66 offset:1
	s_wait_dscnt 0x1
	v_mov_b32_e32 v63, v59
.LBB77_14:                              ;   in Loop: Header=BB77_2 Depth=1
	s_or_b32 exec_lo, exec_lo, s16
	v_add_nc_u32_e32 v67, 1, v65
	v_add_nc_u32_e32 v68, 1, v66
	s_wait_dscnt 0x0
	v_bfe_i32 v70, v63, 0, 8
	s_delay_alu instid0(VALU_DEP_3) | instskip(SKIP_2) | instid1(VALU_DEP_3)
	v_cndmask_b32_e64 v69, v67, v65, s15
	v_bfe_i32 v67, v64, 0, 8
	v_cndmask_b32_e64 v68, v66, v68, s15
	v_cmp_ge_i32_e64 s16, v69, v12
	s_delay_alu instid0(VALU_DEP_3) | instskip(NEXT) | instid1(VALU_DEP_3)
	v_cmp_lt_i16_e64 s17, v67, v70
	v_cmp_lt_i32_e64 s18, v68, v13
                                        ; implicit-def: $vgpr67
	s_or_b32 s16, s16, s17
	s_wait_alu 0xfffe
	s_and_b32 s16, s18, s16
	s_wait_alu 0xfffe
	s_xor_b32 s17, s16, -1
	s_wait_alu 0xfffe
	s_and_saveexec_b32 s18, s17
	s_delay_alu instid0(SALU_CYCLE_1)
	s_xor_b32 s17, exec_lo, s18
; %bb.15:                               ;   in Loop: Header=BB77_2 Depth=1
	ds_load_u8 v67, v69 offset:1
; %bb.16:                               ;   in Loop: Header=BB77_2 Depth=1
	s_wait_alu 0xfffe
	s_or_saveexec_b32 s17, s17
	v_mov_b32_e32 v70, v64
	s_wait_alu 0xfffe
	s_xor_b32 exec_lo, exec_lo, s17
	s_cbranch_execz .LBB77_18
; %bb.17:                               ;   in Loop: Header=BB77_2 Depth=1
	ds_load_u8 v70, v68 offset:1
	s_wait_dscnt 0x1
	v_mov_b32_e32 v67, v63
.LBB77_18:                              ;   in Loop: Header=BB77_2 Depth=1
	s_or_b32 exec_lo, exec_lo, s17
	v_perm_b32 v71, v55, v56, 0xc0c0004
	v_perm_b32 v55, v56, v55, 0xc0c0004
	;; [unrolled: 1-line block ×3, first 2 shown]
	v_add_nc_u32_e32 v56, 1, v69
	v_cndmask_b32_e64 v65, v65, v66, s15
	v_cndmask_b32_e64 v61, v61, v62, s14
	;; [unrolled: 1-line block ×3, first 2 shown]
	v_perm_b32 v55, 0, v53, 0xc0c0001
	s_wait_dscnt 0x0
	v_bfe_i32 v62, v67, 0, 8
	v_bfe_i32 v66, v70, 0, 8
	v_cndmask_b32_e64 v56, v56, v69, s16
	v_lshl_or_b32 v53, v53, 16, v54
	v_lshlrev_b32_e32 v54, 16, v55
	v_add_nc_u32_e32 v55, 1, v68
	v_cmp_lt_i16_e64 s8, v66, v62
	v_cndmask_b32_e64 v71, v69, v68, s16
	s_wait_loadcnt 0x0
	v_and_or_b32 v54, 0xffff, v53, v54
	s_barrier_signal -1
	s_barrier_wait -1
	global_inv scope:SCOPE_SE
	v_cndmask_b32_e64 v57, v57, v58, s14
	v_cndmask_b32_e64 v53, v53, v54, s9
	v_cmp_ge_i32_e64 s9, v56, v12
	v_cndmask_b32_e64 v59, v59, v60, s15
	s_delay_alu instid0(VALU_DEP_3) | instskip(SKIP_1) | instid1(VALU_DEP_1)
	v_perm_b32 v54, v53, v53, 0x7050604
	s_or_b32 s8, s9, s8
	v_cndmask_b32_e64 v53, v53, v54, s10
	s_delay_alu instid0(VALU_DEP_1) | instskip(NEXT) | instid1(VALU_DEP_1)
	v_perm_b32 v54, 0, v53, 0xc0c0001
	v_and_or_b32 v54, 0xffff0000, v53, v54
	s_delay_alu instid0(VALU_DEP_1) | instskip(NEXT) | instid1(VALU_DEP_1)
	v_cndmask_b32_e64 v53, v53, v54, s12
	v_lshrrev_b32_e32 v54, 16, v53
	s_delay_alu instid0(VALU_DEP_1) | instskip(NEXT) | instid1(VALU_DEP_1)
	v_perm_b32 v54, 0, v54, 0xc0c0001
	v_lshlrev_b32_e32 v54, 16, v54
	s_delay_alu instid0(VALU_DEP_1) | instskip(NEXT) | instid1(VALU_DEP_1)
	v_and_or_b32 v54, 0xffff, v53, v54
	v_cndmask_b32_e64 v53, v53, v54, s11
	v_cndmask_b32_e64 v54, v68, v55, s16
	s_delay_alu instid0(VALU_DEP_2) | instskip(NEXT) | instid1(VALU_DEP_2)
	v_perm_b32 v55, v53, v53, 0x7050604
	v_cmp_lt_i32_e64 s10, v54, v13
	s_delay_alu instid0(VALU_DEP_2)
	v_cndmask_b32_e64 v53, v53, v55, s13
	s_wait_alu 0xfffe
	s_and_b32 s8, s10, s8
	s_wait_alu 0xfffe
	v_cndmask_b32_e64 v54, v56, v54, s8
	v_cndmask_b32_e64 v62, v67, v70, s8
	ds_store_b32 v1, v53
	s_wait_loadcnt_dscnt 0x0
	s_barrier_signal -1
	s_barrier_wait -1
	global_inv scope:SCOPE_SE
	ds_load_u8 v53, v61
	ds_load_u8 v54, v54
	;; [unrolled: 1-line block ×4, first 2 shown]
	v_cndmask_b32_e64 v61, v63, v64, s16
	s_wait_loadcnt_dscnt 0x0
	s_barrier_signal -1
	s_barrier_wait -1
	global_inv scope:SCOPE_SE
	ds_store_b8 v1, v57
	ds_store_b8 v1, v59 offset:1
	ds_store_b8 v1, v61 offset:2
	;; [unrolled: 1-line block ×3, first 2 shown]
	v_mov_b32_e32 v57, v45
	s_wait_loadcnt_dscnt 0x0
	s_barrier_signal -1
	s_barrier_wait -1
	global_inv scope:SCOPE_SE
	s_and_saveexec_b32 s9, s1
	s_cbranch_execz .LBB77_22
; %bb.19:                               ;   in Loop: Header=BB77_2 Depth=1
	v_dual_mov_b32 v57, v45 :: v_dual_mov_b32 v58, v37
	s_mov_b32 s10, 0
.LBB77_20:                              ;   Parent Loop BB77_2 Depth=1
                                        ; =>  This Inner Loop Header: Depth=2
	s_delay_alu instid0(VALU_DEP_1) | instskip(NEXT) | instid1(VALU_DEP_1)
	v_sub_nc_u32_e32 v59, v58, v57
	v_lshrrev_b32_e32 v59, 1, v59
	s_delay_alu instid0(VALU_DEP_1) | instskip(NEXT) | instid1(VALU_DEP_1)
	v_add_nc_u32_e32 v59, v59, v57
	v_add_nc_u32_e32 v60, v3, v59
	v_xad_u32 v61, v59, -1, v29
	v_add_nc_u32_e32 v62, 1, v59
	ds_load_i8 v60, v60
	ds_load_i8 v61, v61
	s_wait_dscnt 0x0
	v_cmp_lt_i16_e64 s8, v61, v60
	s_wait_alu 0xf1ff
	s_delay_alu instid0(VALU_DEP_1) | instskip(SKIP_1) | instid1(VALU_DEP_1)
	v_cndmask_b32_e64 v58, v58, v59, s8
	v_cndmask_b32_e64 v57, v62, v57, s8
	v_cmp_ge_i32_e64 s8, v57, v58
	s_wait_alu 0xfffe
	s_or_b32 s10, s8, s10
	s_wait_alu 0xfffe
	s_and_not1_b32 exec_lo, exec_lo, s10
	s_cbranch_execnz .LBB77_20
; %bb.21:                               ;   in Loop: Header=BB77_2 Depth=1
	s_or_b32 exec_lo, exec_lo, s10
.LBB77_22:                              ;   in Loop: Header=BB77_2 Depth=1
	s_wait_alu 0xfffe
	s_or_b32 exec_lo, exec_lo, s9
	v_add_nc_u32_e32 v61, v57, v3
	v_sub_nc_u32_e32 v62, v29, v57
                                        ; implicit-def: $vgpr59
	ds_load_u8 v57, v61
	ds_load_u8 v58, v62
	v_cmp_le_i32_e64 s8, v14, v61
	v_cmp_gt_i32_e64 s10, v15, v62
	s_wait_dscnt 0x1
	v_bfe_i32 v57, v57, 0, 8
	s_wait_dscnt 0x0
	v_bfe_i32 v58, v58, 0, 8
	s_delay_alu instid0(VALU_DEP_1)
	v_cmp_lt_i16_e64 s9, v58, v57
	s_or_b32 s8, s8, s9
	s_wait_alu 0xfffe
	s_and_b32 s8, s10, s8
	s_wait_alu 0xfffe
	s_xor_b32 s9, s8, -1
	s_wait_alu 0xfffe
	s_and_saveexec_b32 s10, s9
	s_wait_alu 0xfffe
	s_xor_b32 s9, exec_lo, s10
; %bb.23:                               ;   in Loop: Header=BB77_2 Depth=1
	ds_load_u8 v59, v61 offset:1
; %bb.24:                               ;   in Loop: Header=BB77_2 Depth=1
	s_wait_alu 0xfffe
	s_or_saveexec_b32 s9, s9
	v_mov_b32_e32 v60, v58
	s_wait_alu 0xfffe
	s_xor_b32 exec_lo, exec_lo, s9
	s_cbranch_execz .LBB77_26
; %bb.25:                               ;   in Loop: Header=BB77_2 Depth=1
	ds_load_u8 v60, v62 offset:1
	s_wait_dscnt 0x1
	v_mov_b32_e32 v59, v57
.LBB77_26:                              ;   in Loop: Header=BB77_2 Depth=1
	s_or_b32 exec_lo, exec_lo, s9
	v_add_nc_u32_e32 v63, 1, v61
	v_add_nc_u32_e32 v64, 1, v62
	s_wait_dscnt 0x0
	v_bfe_i32 v67, v59, 0, 8
	s_delay_alu instid0(VALU_DEP_3) | instskip(SKIP_2) | instid1(VALU_DEP_3)
	v_cndmask_b32_e64 v65, v63, v61, s8
	v_bfe_i32 v63, v60, 0, 8
	v_cndmask_b32_e64 v66, v62, v64, s8
	v_cmp_ge_i32_e64 s9, v65, v14
	s_delay_alu instid0(VALU_DEP_3) | instskip(NEXT) | instid1(VALU_DEP_3)
	v_cmp_lt_i16_e64 s10, v63, v67
	v_cmp_lt_i32_e64 s11, v66, v15
                                        ; implicit-def: $vgpr63
	s_or_b32 s9, s9, s10
	s_wait_alu 0xfffe
	s_and_b32 s9, s11, s9
	s_wait_alu 0xfffe
	s_xor_b32 s10, s9, -1
	s_wait_alu 0xfffe
	s_and_saveexec_b32 s11, s10
	s_wait_alu 0xfffe
	s_xor_b32 s10, exec_lo, s11
; %bb.27:                               ;   in Loop: Header=BB77_2 Depth=1
	ds_load_u8 v63, v65 offset:1
; %bb.28:                               ;   in Loop: Header=BB77_2 Depth=1
	s_wait_alu 0xfffe
	s_or_saveexec_b32 s10, s10
	v_mov_b32_e32 v64, v60
	s_wait_alu 0xfffe
	s_xor_b32 exec_lo, exec_lo, s10
	s_cbranch_execz .LBB77_30
; %bb.29:                               ;   in Loop: Header=BB77_2 Depth=1
	ds_load_u8 v64, v66 offset:1
	s_wait_dscnt 0x1
	v_mov_b32_e32 v63, v59
.LBB77_30:                              ;   in Loop: Header=BB77_2 Depth=1
	s_or_b32 exec_lo, exec_lo, s10
	v_add_nc_u32_e32 v67, 1, v65
	v_add_nc_u32_e32 v68, 1, v66
	s_wait_dscnt 0x0
	v_bfe_i32 v70, v63, 0, 8
	s_delay_alu instid0(VALU_DEP_3) | instskip(SKIP_2) | instid1(VALU_DEP_3)
	v_cndmask_b32_e64 v69, v67, v65, s9
	v_bfe_i32 v67, v64, 0, 8
	v_cndmask_b32_e64 v68, v66, v68, s9
	v_cmp_ge_i32_e64 s10, v69, v14
	s_delay_alu instid0(VALU_DEP_3) | instskip(NEXT) | instid1(VALU_DEP_3)
	v_cmp_lt_i16_e64 s11, v67, v70
	v_cmp_lt_i32_e64 s12, v68, v15
                                        ; implicit-def: $vgpr67
	s_or_b32 s10, s10, s11
	s_wait_alu 0xfffe
	s_and_b32 s10, s12, s10
	s_wait_alu 0xfffe
	s_xor_b32 s11, s10, -1
	s_wait_alu 0xfffe
	s_and_saveexec_b32 s12, s11
	s_wait_alu 0xfffe
	s_xor_b32 s11, exec_lo, s12
; %bb.31:                               ;   in Loop: Header=BB77_2 Depth=1
	ds_load_u8 v67, v69 offset:1
; %bb.32:                               ;   in Loop: Header=BB77_2 Depth=1
	s_wait_alu 0xfffe
	s_or_saveexec_b32 s11, s11
	v_mov_b32_e32 v70, v64
	s_wait_alu 0xfffe
	s_xor_b32 exec_lo, exec_lo, s11
	s_cbranch_execz .LBB77_34
; %bb.33:                               ;   in Loop: Header=BB77_2 Depth=1
	ds_load_u8 v70, v68 offset:1
	s_wait_dscnt 0x1
	v_mov_b32_e32 v67, v63
.LBB77_34:                              ;   in Loop: Header=BB77_2 Depth=1
	s_or_b32 exec_lo, exec_lo, s11
	v_add_nc_u32_e32 v71, 1, v69
	v_add_nc_u32_e32 v72, 1, v68
	v_cndmask_b32_e64 v73, v69, v68, s10
	s_wait_dscnt 0x0
	v_bfe_i32 v74, v67, 0, 8
	v_bfe_i32 v75, v70, 0, 8
	v_cndmask_b32_e64 v69, v71, v69, s10
	v_cndmask_b32_e64 v65, v65, v66, s9
	;; [unrolled: 1-line block ×4, first 2 shown]
	v_cmp_lt_i16_e64 s11, v75, v74
	v_cmp_ge_i32_e64 s12, v69, v14
	s_wait_loadcnt 0x0
	v_cmp_lt_i32_e64 s13, v66, v15
	s_barrier_signal -1
	s_barrier_wait -1
	s_or_b32 s11, s12, s11
	global_inv scope:SCOPE_SE
	s_wait_alu 0xfffe
	s_and_b32 s11, s13, s11
	ds_store_b8 v1, v53
	ds_store_b8 v1, v55 offset:1
	ds_store_b8 v1, v56 offset:2
	;; [unrolled: 1-line block ×3, first 2 shown]
	s_wait_alu 0xfffe
	v_cndmask_b32_e64 v66, v69, v66, s11
	s_wait_loadcnt_dscnt 0x0
	s_barrier_signal -1
	s_barrier_wait -1
	global_inv scope:SCOPE_SE
	ds_load_u8 v53, v61
	ds_load_u8 v54, v66
	;; [unrolled: 1-line block ×4, first 2 shown]
	v_cndmask_b32_e64 v57, v57, v58, s8
	v_cndmask_b32_e64 v59, v59, v60, s9
	;; [unrolled: 1-line block ×4, first 2 shown]
	s_wait_loadcnt_dscnt 0x0
	s_barrier_signal -1
	s_barrier_wait -1
	global_inv scope:SCOPE_SE
	ds_store_b8 v1, v57
	ds_store_b8 v1, v59 offset:1
	ds_store_b8 v1, v61 offset:2
	;; [unrolled: 1-line block ×3, first 2 shown]
	v_mov_b32_e32 v57, v46
	s_wait_loadcnt_dscnt 0x0
	s_barrier_signal -1
	s_barrier_wait -1
	global_inv scope:SCOPE_SE
	s_and_saveexec_b32 s9, s2
	s_cbranch_execz .LBB77_38
; %bb.35:                               ;   in Loop: Header=BB77_2 Depth=1
	v_dual_mov_b32 v57, v46 :: v_dual_mov_b32 v58, v38
	s_mov_b32 s10, 0
.LBB77_36:                              ;   Parent Loop BB77_2 Depth=1
                                        ; =>  This Inner Loop Header: Depth=2
	s_delay_alu instid0(VALU_DEP_1) | instskip(NEXT) | instid1(VALU_DEP_1)
	v_sub_nc_u32_e32 v59, v58, v57
	v_lshrrev_b32_e32 v59, 1, v59
	s_delay_alu instid0(VALU_DEP_1) | instskip(NEXT) | instid1(VALU_DEP_1)
	v_add_nc_u32_e32 v59, v59, v57
	v_add_nc_u32_e32 v60, v4, v59
	v_xad_u32 v61, v59, -1, v30
	v_add_nc_u32_e32 v62, 1, v59
	ds_load_i8 v60, v60
	ds_load_i8 v61, v61
	s_wait_dscnt 0x0
	v_cmp_lt_i16_e64 s8, v61, v60
	s_wait_alu 0xf1ff
	s_delay_alu instid0(VALU_DEP_1) | instskip(SKIP_1) | instid1(VALU_DEP_1)
	v_cndmask_b32_e64 v58, v58, v59, s8
	v_cndmask_b32_e64 v57, v62, v57, s8
	v_cmp_ge_i32_e64 s8, v57, v58
	s_wait_alu 0xfffe
	s_or_b32 s10, s8, s10
	s_wait_alu 0xfffe
	s_and_not1_b32 exec_lo, exec_lo, s10
	s_cbranch_execnz .LBB77_36
; %bb.37:                               ;   in Loop: Header=BB77_2 Depth=1
	s_or_b32 exec_lo, exec_lo, s10
.LBB77_38:                              ;   in Loop: Header=BB77_2 Depth=1
	s_wait_alu 0xfffe
	s_or_b32 exec_lo, exec_lo, s9
	v_add_nc_u32_e32 v61, v57, v4
	v_sub_nc_u32_e32 v62, v30, v57
                                        ; implicit-def: $vgpr59
	ds_load_u8 v57, v61
	ds_load_u8 v58, v62
	v_cmp_le_i32_e64 s8, v16, v61
	v_cmp_gt_i32_e64 s10, v17, v62
	s_wait_dscnt 0x1
	v_bfe_i32 v57, v57, 0, 8
	s_wait_dscnt 0x0
	v_bfe_i32 v58, v58, 0, 8
	s_delay_alu instid0(VALU_DEP_1)
	v_cmp_lt_i16_e64 s9, v58, v57
	s_or_b32 s8, s8, s9
	s_wait_alu 0xfffe
	s_and_b32 s8, s10, s8
	s_wait_alu 0xfffe
	s_xor_b32 s9, s8, -1
	s_wait_alu 0xfffe
	s_and_saveexec_b32 s10, s9
	s_wait_alu 0xfffe
	s_xor_b32 s9, exec_lo, s10
; %bb.39:                               ;   in Loop: Header=BB77_2 Depth=1
	ds_load_u8 v59, v61 offset:1
; %bb.40:                               ;   in Loop: Header=BB77_2 Depth=1
	s_wait_alu 0xfffe
	s_or_saveexec_b32 s9, s9
	v_mov_b32_e32 v60, v58
	s_wait_alu 0xfffe
	s_xor_b32 exec_lo, exec_lo, s9
	s_cbranch_execz .LBB77_42
; %bb.41:                               ;   in Loop: Header=BB77_2 Depth=1
	ds_load_u8 v60, v62 offset:1
	s_wait_dscnt 0x1
	v_mov_b32_e32 v59, v57
.LBB77_42:                              ;   in Loop: Header=BB77_2 Depth=1
	s_or_b32 exec_lo, exec_lo, s9
	v_add_nc_u32_e32 v63, 1, v61
	v_add_nc_u32_e32 v64, 1, v62
	s_wait_dscnt 0x0
	v_bfe_i32 v67, v59, 0, 8
	s_delay_alu instid0(VALU_DEP_3) | instskip(SKIP_2) | instid1(VALU_DEP_3)
	v_cndmask_b32_e64 v65, v63, v61, s8
	v_bfe_i32 v63, v60, 0, 8
	v_cndmask_b32_e64 v66, v62, v64, s8
	v_cmp_ge_i32_e64 s9, v65, v16
	s_delay_alu instid0(VALU_DEP_3) | instskip(NEXT) | instid1(VALU_DEP_3)
	v_cmp_lt_i16_e64 s10, v63, v67
	v_cmp_lt_i32_e64 s11, v66, v17
                                        ; implicit-def: $vgpr63
	s_or_b32 s9, s9, s10
	s_wait_alu 0xfffe
	s_and_b32 s9, s11, s9
	s_wait_alu 0xfffe
	s_xor_b32 s10, s9, -1
	s_wait_alu 0xfffe
	s_and_saveexec_b32 s11, s10
	s_wait_alu 0xfffe
	s_xor_b32 s10, exec_lo, s11
; %bb.43:                               ;   in Loop: Header=BB77_2 Depth=1
	ds_load_u8 v63, v65 offset:1
; %bb.44:                               ;   in Loop: Header=BB77_2 Depth=1
	s_wait_alu 0xfffe
	s_or_saveexec_b32 s10, s10
	v_mov_b32_e32 v64, v60
	s_wait_alu 0xfffe
	s_xor_b32 exec_lo, exec_lo, s10
	s_cbranch_execz .LBB77_46
; %bb.45:                               ;   in Loop: Header=BB77_2 Depth=1
	ds_load_u8 v64, v66 offset:1
	s_wait_dscnt 0x1
	v_mov_b32_e32 v63, v59
.LBB77_46:                              ;   in Loop: Header=BB77_2 Depth=1
	s_or_b32 exec_lo, exec_lo, s10
	v_add_nc_u32_e32 v67, 1, v65
	v_add_nc_u32_e32 v68, 1, v66
	s_wait_dscnt 0x0
	v_bfe_i32 v70, v63, 0, 8
	s_delay_alu instid0(VALU_DEP_3) | instskip(SKIP_2) | instid1(VALU_DEP_3)
	v_cndmask_b32_e64 v69, v67, v65, s9
	v_bfe_i32 v67, v64, 0, 8
	v_cndmask_b32_e64 v68, v66, v68, s9
	v_cmp_ge_i32_e64 s10, v69, v16
	s_delay_alu instid0(VALU_DEP_3) | instskip(NEXT) | instid1(VALU_DEP_3)
	v_cmp_lt_i16_e64 s11, v67, v70
	v_cmp_lt_i32_e64 s12, v68, v17
                                        ; implicit-def: $vgpr67
	s_or_b32 s10, s10, s11
	s_wait_alu 0xfffe
	s_and_b32 s10, s12, s10
	s_wait_alu 0xfffe
	s_xor_b32 s11, s10, -1
	s_wait_alu 0xfffe
	s_and_saveexec_b32 s12, s11
	s_wait_alu 0xfffe
	s_xor_b32 s11, exec_lo, s12
; %bb.47:                               ;   in Loop: Header=BB77_2 Depth=1
	ds_load_u8 v67, v69 offset:1
; %bb.48:                               ;   in Loop: Header=BB77_2 Depth=1
	s_wait_alu 0xfffe
	s_or_saveexec_b32 s11, s11
	v_mov_b32_e32 v70, v64
	s_wait_alu 0xfffe
	s_xor_b32 exec_lo, exec_lo, s11
	s_cbranch_execz .LBB77_50
; %bb.49:                               ;   in Loop: Header=BB77_2 Depth=1
	ds_load_u8 v70, v68 offset:1
	s_wait_dscnt 0x1
	v_mov_b32_e32 v67, v63
.LBB77_50:                              ;   in Loop: Header=BB77_2 Depth=1
	s_or_b32 exec_lo, exec_lo, s11
	v_add_nc_u32_e32 v71, 1, v69
	v_add_nc_u32_e32 v72, 1, v68
	v_cndmask_b32_e64 v73, v69, v68, s10
	s_wait_dscnt 0x0
	v_bfe_i32 v74, v67, 0, 8
	v_bfe_i32 v75, v70, 0, 8
	v_cndmask_b32_e64 v69, v71, v69, s10
	v_cndmask_b32_e64 v65, v65, v66, s9
	;; [unrolled: 1-line block ×4, first 2 shown]
	v_cmp_lt_i16_e64 s11, v75, v74
	v_cmp_ge_i32_e64 s12, v69, v16
	s_wait_loadcnt 0x0
	v_cmp_lt_i32_e64 s13, v66, v17
	s_barrier_signal -1
	s_barrier_wait -1
	s_or_b32 s11, s12, s11
	global_inv scope:SCOPE_SE
	s_wait_alu 0xfffe
	s_and_b32 s11, s13, s11
	ds_store_b8 v1, v53
	ds_store_b8 v1, v55 offset:1
	ds_store_b8 v1, v56 offset:2
	;; [unrolled: 1-line block ×3, first 2 shown]
	s_wait_alu 0xfffe
	v_cndmask_b32_e64 v66, v69, v66, s11
	s_wait_loadcnt_dscnt 0x0
	s_barrier_signal -1
	s_barrier_wait -1
	global_inv scope:SCOPE_SE
	ds_load_u8 v53, v61
	ds_load_u8 v54, v66
	;; [unrolled: 1-line block ×4, first 2 shown]
	v_cndmask_b32_e64 v57, v57, v58, s8
	v_cndmask_b32_e64 v59, v59, v60, s9
	v_cndmask_b32_e64 v61, v63, v64, s10
	v_cndmask_b32_e64 v62, v67, v70, s11
	s_wait_loadcnt_dscnt 0x0
	s_barrier_signal -1
	s_barrier_wait -1
	global_inv scope:SCOPE_SE
	ds_store_b8 v1, v57
	ds_store_b8 v1, v59 offset:1
	ds_store_b8 v1, v61 offset:2
	;; [unrolled: 1-line block ×3, first 2 shown]
	v_mov_b32_e32 v57, v47
	s_wait_loadcnt_dscnt 0x0
	s_barrier_signal -1
	s_barrier_wait -1
	global_inv scope:SCOPE_SE
	s_and_saveexec_b32 s9, s3
	s_cbranch_execz .LBB77_54
; %bb.51:                               ;   in Loop: Header=BB77_2 Depth=1
	v_dual_mov_b32 v57, v47 :: v_dual_mov_b32 v58, v39
	s_mov_b32 s10, 0
.LBB77_52:                              ;   Parent Loop BB77_2 Depth=1
                                        ; =>  This Inner Loop Header: Depth=2
	s_delay_alu instid0(VALU_DEP_1) | instskip(NEXT) | instid1(VALU_DEP_1)
	v_sub_nc_u32_e32 v59, v58, v57
	v_lshrrev_b32_e32 v59, 1, v59
	s_delay_alu instid0(VALU_DEP_1) | instskip(NEXT) | instid1(VALU_DEP_1)
	v_add_nc_u32_e32 v59, v59, v57
	v_add_nc_u32_e32 v60, v5, v59
	v_xad_u32 v61, v59, -1, v31
	v_add_nc_u32_e32 v62, 1, v59
	ds_load_i8 v60, v60
	ds_load_i8 v61, v61
	s_wait_dscnt 0x0
	v_cmp_lt_i16_e64 s8, v61, v60
	s_wait_alu 0xf1ff
	s_delay_alu instid0(VALU_DEP_1) | instskip(SKIP_1) | instid1(VALU_DEP_1)
	v_cndmask_b32_e64 v58, v58, v59, s8
	v_cndmask_b32_e64 v57, v62, v57, s8
	v_cmp_ge_i32_e64 s8, v57, v58
	s_wait_alu 0xfffe
	s_or_b32 s10, s8, s10
	s_wait_alu 0xfffe
	s_and_not1_b32 exec_lo, exec_lo, s10
	s_cbranch_execnz .LBB77_52
; %bb.53:                               ;   in Loop: Header=BB77_2 Depth=1
	s_or_b32 exec_lo, exec_lo, s10
.LBB77_54:                              ;   in Loop: Header=BB77_2 Depth=1
	s_wait_alu 0xfffe
	s_or_b32 exec_lo, exec_lo, s9
	v_add_nc_u32_e32 v61, v57, v5
	v_sub_nc_u32_e32 v62, v31, v57
                                        ; implicit-def: $vgpr59
	ds_load_u8 v57, v61
	ds_load_u8 v58, v62
	v_cmp_le_i32_e64 s8, v18, v61
	v_cmp_gt_i32_e64 s10, v19, v62
	s_wait_dscnt 0x1
	v_bfe_i32 v57, v57, 0, 8
	s_wait_dscnt 0x0
	v_bfe_i32 v58, v58, 0, 8
	s_delay_alu instid0(VALU_DEP_1)
	v_cmp_lt_i16_e64 s9, v58, v57
	s_or_b32 s8, s8, s9
	s_wait_alu 0xfffe
	s_and_b32 s8, s10, s8
	s_wait_alu 0xfffe
	s_xor_b32 s9, s8, -1
	s_wait_alu 0xfffe
	s_and_saveexec_b32 s10, s9
	s_wait_alu 0xfffe
	s_xor_b32 s9, exec_lo, s10
; %bb.55:                               ;   in Loop: Header=BB77_2 Depth=1
	ds_load_u8 v59, v61 offset:1
; %bb.56:                               ;   in Loop: Header=BB77_2 Depth=1
	s_wait_alu 0xfffe
	s_or_saveexec_b32 s9, s9
	v_mov_b32_e32 v60, v58
	s_wait_alu 0xfffe
	s_xor_b32 exec_lo, exec_lo, s9
	s_cbranch_execz .LBB77_58
; %bb.57:                               ;   in Loop: Header=BB77_2 Depth=1
	ds_load_u8 v60, v62 offset:1
	s_wait_dscnt 0x1
	v_mov_b32_e32 v59, v57
.LBB77_58:                              ;   in Loop: Header=BB77_2 Depth=1
	s_or_b32 exec_lo, exec_lo, s9
	v_add_nc_u32_e32 v63, 1, v61
	v_add_nc_u32_e32 v64, 1, v62
	s_wait_dscnt 0x0
	v_bfe_i32 v67, v59, 0, 8
	s_delay_alu instid0(VALU_DEP_3) | instskip(SKIP_2) | instid1(VALU_DEP_3)
	v_cndmask_b32_e64 v65, v63, v61, s8
	v_bfe_i32 v63, v60, 0, 8
	v_cndmask_b32_e64 v66, v62, v64, s8
	v_cmp_ge_i32_e64 s9, v65, v18
	s_delay_alu instid0(VALU_DEP_3) | instskip(NEXT) | instid1(VALU_DEP_3)
	v_cmp_lt_i16_e64 s10, v63, v67
	v_cmp_lt_i32_e64 s11, v66, v19
                                        ; implicit-def: $vgpr63
	s_or_b32 s9, s9, s10
	s_wait_alu 0xfffe
	s_and_b32 s9, s11, s9
	s_wait_alu 0xfffe
	s_xor_b32 s10, s9, -1
	s_wait_alu 0xfffe
	s_and_saveexec_b32 s11, s10
	s_wait_alu 0xfffe
	s_xor_b32 s10, exec_lo, s11
; %bb.59:                               ;   in Loop: Header=BB77_2 Depth=1
	ds_load_u8 v63, v65 offset:1
; %bb.60:                               ;   in Loop: Header=BB77_2 Depth=1
	s_wait_alu 0xfffe
	s_or_saveexec_b32 s10, s10
	v_mov_b32_e32 v64, v60
	s_wait_alu 0xfffe
	s_xor_b32 exec_lo, exec_lo, s10
	s_cbranch_execz .LBB77_62
; %bb.61:                               ;   in Loop: Header=BB77_2 Depth=1
	ds_load_u8 v64, v66 offset:1
	s_wait_dscnt 0x1
	v_mov_b32_e32 v63, v59
.LBB77_62:                              ;   in Loop: Header=BB77_2 Depth=1
	s_or_b32 exec_lo, exec_lo, s10
	v_add_nc_u32_e32 v67, 1, v65
	v_add_nc_u32_e32 v68, 1, v66
	s_wait_dscnt 0x0
	v_bfe_i32 v70, v63, 0, 8
	s_delay_alu instid0(VALU_DEP_3) | instskip(SKIP_2) | instid1(VALU_DEP_3)
	v_cndmask_b32_e64 v69, v67, v65, s9
	v_bfe_i32 v67, v64, 0, 8
	v_cndmask_b32_e64 v68, v66, v68, s9
	v_cmp_ge_i32_e64 s10, v69, v18
	s_delay_alu instid0(VALU_DEP_3) | instskip(NEXT) | instid1(VALU_DEP_3)
	v_cmp_lt_i16_e64 s11, v67, v70
	v_cmp_lt_i32_e64 s12, v68, v19
                                        ; implicit-def: $vgpr67
	s_or_b32 s10, s10, s11
	s_wait_alu 0xfffe
	s_and_b32 s10, s12, s10
	s_wait_alu 0xfffe
	s_xor_b32 s11, s10, -1
	s_wait_alu 0xfffe
	s_and_saveexec_b32 s12, s11
	s_wait_alu 0xfffe
	s_xor_b32 s11, exec_lo, s12
; %bb.63:                               ;   in Loop: Header=BB77_2 Depth=1
	ds_load_u8 v67, v69 offset:1
; %bb.64:                               ;   in Loop: Header=BB77_2 Depth=1
	s_wait_alu 0xfffe
	s_or_saveexec_b32 s11, s11
	v_mov_b32_e32 v70, v64
	s_wait_alu 0xfffe
	s_xor_b32 exec_lo, exec_lo, s11
	s_cbranch_execz .LBB77_66
; %bb.65:                               ;   in Loop: Header=BB77_2 Depth=1
	ds_load_u8 v70, v68 offset:1
	s_wait_dscnt 0x1
	v_mov_b32_e32 v67, v63
.LBB77_66:                              ;   in Loop: Header=BB77_2 Depth=1
	s_or_b32 exec_lo, exec_lo, s11
	v_add_nc_u32_e32 v71, 1, v69
	v_add_nc_u32_e32 v72, 1, v68
	v_cndmask_b32_e64 v73, v69, v68, s10
	s_wait_dscnt 0x0
	v_bfe_i32 v74, v67, 0, 8
	v_bfe_i32 v75, v70, 0, 8
	v_cndmask_b32_e64 v69, v71, v69, s10
	v_cndmask_b32_e64 v65, v65, v66, s9
	;; [unrolled: 1-line block ×4, first 2 shown]
	v_cmp_lt_i16_e64 s11, v75, v74
	v_cmp_ge_i32_e64 s12, v69, v18
	s_wait_loadcnt 0x0
	v_cmp_lt_i32_e64 s13, v66, v19
	s_barrier_signal -1
	s_barrier_wait -1
	s_or_b32 s11, s12, s11
	global_inv scope:SCOPE_SE
	s_wait_alu 0xfffe
	s_and_b32 s11, s13, s11
	ds_store_b8 v1, v53
	ds_store_b8 v1, v55 offset:1
	ds_store_b8 v1, v56 offset:2
	;; [unrolled: 1-line block ×3, first 2 shown]
	s_wait_alu 0xfffe
	v_cndmask_b32_e64 v66, v69, v66, s11
	s_wait_loadcnt_dscnt 0x0
	s_barrier_signal -1
	s_barrier_wait -1
	global_inv scope:SCOPE_SE
	ds_load_u8 v53, v61
	ds_load_u8 v54, v66
	;; [unrolled: 1-line block ×4, first 2 shown]
	v_cndmask_b32_e64 v57, v57, v58, s8
	v_cndmask_b32_e64 v59, v59, v60, s9
	;; [unrolled: 1-line block ×4, first 2 shown]
	s_wait_loadcnt_dscnt 0x0
	s_barrier_signal -1
	s_barrier_wait -1
	global_inv scope:SCOPE_SE
	ds_store_b8 v1, v57
	ds_store_b8 v1, v59 offset:1
	ds_store_b8 v1, v61 offset:2
	;; [unrolled: 1-line block ×3, first 2 shown]
	v_mov_b32_e32 v57, v48
	s_wait_loadcnt_dscnt 0x0
	s_barrier_signal -1
	s_barrier_wait -1
	global_inv scope:SCOPE_SE
	s_and_saveexec_b32 s9, s4
	s_cbranch_execz .LBB77_70
; %bb.67:                               ;   in Loop: Header=BB77_2 Depth=1
	v_dual_mov_b32 v57, v48 :: v_dual_mov_b32 v58, v40
	s_mov_b32 s10, 0
.LBB77_68:                              ;   Parent Loop BB77_2 Depth=1
                                        ; =>  This Inner Loop Header: Depth=2
	s_delay_alu instid0(VALU_DEP_1) | instskip(NEXT) | instid1(VALU_DEP_1)
	v_sub_nc_u32_e32 v59, v58, v57
	v_lshrrev_b32_e32 v59, 1, v59
	s_delay_alu instid0(VALU_DEP_1) | instskip(NEXT) | instid1(VALU_DEP_1)
	v_add_nc_u32_e32 v59, v59, v57
	v_add_nc_u32_e32 v60, v6, v59
	v_xad_u32 v61, v59, -1, v32
	v_add_nc_u32_e32 v62, 1, v59
	ds_load_i8 v60, v60
	ds_load_i8 v61, v61
	s_wait_dscnt 0x0
	v_cmp_lt_i16_e64 s8, v61, v60
	s_wait_alu 0xf1ff
	s_delay_alu instid0(VALU_DEP_1) | instskip(SKIP_1) | instid1(VALU_DEP_1)
	v_cndmask_b32_e64 v58, v58, v59, s8
	v_cndmask_b32_e64 v57, v62, v57, s8
	v_cmp_ge_i32_e64 s8, v57, v58
	s_wait_alu 0xfffe
	s_or_b32 s10, s8, s10
	s_wait_alu 0xfffe
	s_and_not1_b32 exec_lo, exec_lo, s10
	s_cbranch_execnz .LBB77_68
; %bb.69:                               ;   in Loop: Header=BB77_2 Depth=1
	s_or_b32 exec_lo, exec_lo, s10
.LBB77_70:                              ;   in Loop: Header=BB77_2 Depth=1
	s_wait_alu 0xfffe
	s_or_b32 exec_lo, exec_lo, s9
	v_add_nc_u32_e32 v61, v57, v6
	v_sub_nc_u32_e32 v62, v32, v57
                                        ; implicit-def: $vgpr59
	ds_load_u8 v57, v61
	ds_load_u8 v58, v62
	v_cmp_le_i32_e64 s8, v20, v61
	v_cmp_gt_i32_e64 s10, v21, v62
	s_wait_dscnt 0x1
	v_bfe_i32 v57, v57, 0, 8
	s_wait_dscnt 0x0
	v_bfe_i32 v58, v58, 0, 8
	s_delay_alu instid0(VALU_DEP_1)
	v_cmp_lt_i16_e64 s9, v58, v57
	s_or_b32 s8, s8, s9
	s_wait_alu 0xfffe
	s_and_b32 s8, s10, s8
	s_wait_alu 0xfffe
	s_xor_b32 s9, s8, -1
	s_wait_alu 0xfffe
	s_and_saveexec_b32 s10, s9
	s_wait_alu 0xfffe
	s_xor_b32 s9, exec_lo, s10
; %bb.71:                               ;   in Loop: Header=BB77_2 Depth=1
	ds_load_u8 v59, v61 offset:1
; %bb.72:                               ;   in Loop: Header=BB77_2 Depth=1
	s_wait_alu 0xfffe
	s_or_saveexec_b32 s9, s9
	v_mov_b32_e32 v60, v58
	s_wait_alu 0xfffe
	s_xor_b32 exec_lo, exec_lo, s9
	s_cbranch_execz .LBB77_74
; %bb.73:                               ;   in Loop: Header=BB77_2 Depth=1
	ds_load_u8 v60, v62 offset:1
	s_wait_dscnt 0x1
	v_mov_b32_e32 v59, v57
.LBB77_74:                              ;   in Loop: Header=BB77_2 Depth=1
	s_or_b32 exec_lo, exec_lo, s9
	v_add_nc_u32_e32 v63, 1, v61
	v_add_nc_u32_e32 v64, 1, v62
	s_wait_dscnt 0x0
	v_bfe_i32 v67, v59, 0, 8
	s_delay_alu instid0(VALU_DEP_3) | instskip(SKIP_2) | instid1(VALU_DEP_3)
	v_cndmask_b32_e64 v65, v63, v61, s8
	v_bfe_i32 v63, v60, 0, 8
	v_cndmask_b32_e64 v66, v62, v64, s8
	v_cmp_ge_i32_e64 s9, v65, v20
	s_delay_alu instid0(VALU_DEP_3) | instskip(NEXT) | instid1(VALU_DEP_3)
	v_cmp_lt_i16_e64 s10, v63, v67
	v_cmp_lt_i32_e64 s11, v66, v21
                                        ; implicit-def: $vgpr63
	s_or_b32 s9, s9, s10
	s_wait_alu 0xfffe
	s_and_b32 s9, s11, s9
	s_wait_alu 0xfffe
	s_xor_b32 s10, s9, -1
	s_wait_alu 0xfffe
	s_and_saveexec_b32 s11, s10
	s_wait_alu 0xfffe
	s_xor_b32 s10, exec_lo, s11
; %bb.75:                               ;   in Loop: Header=BB77_2 Depth=1
	ds_load_u8 v63, v65 offset:1
; %bb.76:                               ;   in Loop: Header=BB77_2 Depth=1
	s_wait_alu 0xfffe
	s_or_saveexec_b32 s10, s10
	v_mov_b32_e32 v64, v60
	s_wait_alu 0xfffe
	s_xor_b32 exec_lo, exec_lo, s10
	s_cbranch_execz .LBB77_78
; %bb.77:                               ;   in Loop: Header=BB77_2 Depth=1
	ds_load_u8 v64, v66 offset:1
	s_wait_dscnt 0x1
	v_mov_b32_e32 v63, v59
.LBB77_78:                              ;   in Loop: Header=BB77_2 Depth=1
	s_or_b32 exec_lo, exec_lo, s10
	v_add_nc_u32_e32 v67, 1, v65
	v_add_nc_u32_e32 v68, 1, v66
	s_wait_dscnt 0x0
	v_bfe_i32 v70, v63, 0, 8
	s_delay_alu instid0(VALU_DEP_3) | instskip(SKIP_2) | instid1(VALU_DEP_3)
	v_cndmask_b32_e64 v69, v67, v65, s9
	v_bfe_i32 v67, v64, 0, 8
	v_cndmask_b32_e64 v68, v66, v68, s9
	v_cmp_ge_i32_e64 s10, v69, v20
	s_delay_alu instid0(VALU_DEP_3) | instskip(NEXT) | instid1(VALU_DEP_3)
	v_cmp_lt_i16_e64 s11, v67, v70
	v_cmp_lt_i32_e64 s12, v68, v21
                                        ; implicit-def: $vgpr67
	s_or_b32 s10, s10, s11
	s_wait_alu 0xfffe
	s_and_b32 s10, s12, s10
	s_wait_alu 0xfffe
	s_xor_b32 s11, s10, -1
	s_wait_alu 0xfffe
	s_and_saveexec_b32 s12, s11
	s_wait_alu 0xfffe
	s_xor_b32 s11, exec_lo, s12
; %bb.79:                               ;   in Loop: Header=BB77_2 Depth=1
	ds_load_u8 v67, v69 offset:1
; %bb.80:                               ;   in Loop: Header=BB77_2 Depth=1
	s_wait_alu 0xfffe
	s_or_saveexec_b32 s11, s11
	v_mov_b32_e32 v70, v64
	s_wait_alu 0xfffe
	s_xor_b32 exec_lo, exec_lo, s11
	s_cbranch_execz .LBB77_82
; %bb.81:                               ;   in Loop: Header=BB77_2 Depth=1
	ds_load_u8 v70, v68 offset:1
	s_wait_dscnt 0x1
	v_mov_b32_e32 v67, v63
.LBB77_82:                              ;   in Loop: Header=BB77_2 Depth=1
	s_or_b32 exec_lo, exec_lo, s11
	v_add_nc_u32_e32 v71, 1, v69
	v_add_nc_u32_e32 v72, 1, v68
	v_cndmask_b32_e64 v73, v69, v68, s10
	s_wait_dscnt 0x0
	v_bfe_i32 v74, v67, 0, 8
	v_bfe_i32 v75, v70, 0, 8
	v_cndmask_b32_e64 v69, v71, v69, s10
	v_cndmask_b32_e64 v65, v65, v66, s9
	;; [unrolled: 1-line block ×4, first 2 shown]
	v_cmp_lt_i16_e64 s11, v75, v74
	v_cmp_ge_i32_e64 s12, v69, v20
	s_wait_loadcnt 0x0
	v_cmp_lt_i32_e64 s13, v66, v21
	s_barrier_signal -1
	s_barrier_wait -1
	s_or_b32 s11, s12, s11
	global_inv scope:SCOPE_SE
	s_wait_alu 0xfffe
	s_and_b32 s11, s13, s11
	ds_store_b8 v1, v53
	ds_store_b8 v1, v55 offset:1
	ds_store_b8 v1, v56 offset:2
	ds_store_b8 v1, v54 offset:3
	s_wait_alu 0xfffe
	v_cndmask_b32_e64 v66, v69, v66, s11
	s_wait_loadcnt_dscnt 0x0
	s_barrier_signal -1
	s_barrier_wait -1
	global_inv scope:SCOPE_SE
	ds_load_u8 v53, v61
	ds_load_u8 v54, v66
	;; [unrolled: 1-line block ×4, first 2 shown]
	v_cndmask_b32_e64 v57, v57, v58, s8
	v_cndmask_b32_e64 v59, v59, v60, s9
	;; [unrolled: 1-line block ×4, first 2 shown]
	s_wait_loadcnt_dscnt 0x0
	s_barrier_signal -1
	s_barrier_wait -1
	global_inv scope:SCOPE_SE
	ds_store_b8 v1, v57
	ds_store_b8 v1, v59 offset:1
	ds_store_b8 v1, v61 offset:2
	;; [unrolled: 1-line block ×3, first 2 shown]
	v_mov_b32_e32 v57, v49
	s_wait_loadcnt_dscnt 0x0
	s_barrier_signal -1
	s_barrier_wait -1
	global_inv scope:SCOPE_SE
	s_and_saveexec_b32 s9, s5
	s_cbranch_execz .LBB77_86
; %bb.83:                               ;   in Loop: Header=BB77_2 Depth=1
	v_dual_mov_b32 v57, v49 :: v_dual_mov_b32 v58, v41
	s_mov_b32 s10, 0
.LBB77_84:                              ;   Parent Loop BB77_2 Depth=1
                                        ; =>  This Inner Loop Header: Depth=2
	s_delay_alu instid0(VALU_DEP_1) | instskip(NEXT) | instid1(VALU_DEP_1)
	v_sub_nc_u32_e32 v59, v58, v57
	v_lshrrev_b32_e32 v59, 1, v59
	s_delay_alu instid0(VALU_DEP_1) | instskip(NEXT) | instid1(VALU_DEP_1)
	v_add_nc_u32_e32 v59, v59, v57
	v_add_nc_u32_e32 v60, v7, v59
	v_xad_u32 v61, v59, -1, v33
	v_add_nc_u32_e32 v62, 1, v59
	ds_load_i8 v60, v60
	ds_load_i8 v61, v61
	s_wait_dscnt 0x0
	v_cmp_lt_i16_e64 s8, v61, v60
	s_wait_alu 0xf1ff
	s_delay_alu instid0(VALU_DEP_1) | instskip(SKIP_1) | instid1(VALU_DEP_1)
	v_cndmask_b32_e64 v58, v58, v59, s8
	v_cndmask_b32_e64 v57, v62, v57, s8
	v_cmp_ge_i32_e64 s8, v57, v58
	s_wait_alu 0xfffe
	s_or_b32 s10, s8, s10
	s_wait_alu 0xfffe
	s_and_not1_b32 exec_lo, exec_lo, s10
	s_cbranch_execnz .LBB77_84
; %bb.85:                               ;   in Loop: Header=BB77_2 Depth=1
	s_or_b32 exec_lo, exec_lo, s10
.LBB77_86:                              ;   in Loop: Header=BB77_2 Depth=1
	s_wait_alu 0xfffe
	s_or_b32 exec_lo, exec_lo, s9
	v_add_nc_u32_e32 v61, v57, v7
	v_sub_nc_u32_e32 v62, v33, v57
                                        ; implicit-def: $vgpr59
	ds_load_u8 v57, v61
	ds_load_u8 v58, v62
	v_cmp_le_i32_e64 s8, v22, v61
	v_cmp_gt_i32_e64 s10, v23, v62
	s_wait_dscnt 0x1
	v_bfe_i32 v57, v57, 0, 8
	s_wait_dscnt 0x0
	v_bfe_i32 v58, v58, 0, 8
	s_delay_alu instid0(VALU_DEP_1)
	v_cmp_lt_i16_e64 s9, v58, v57
	s_or_b32 s8, s8, s9
	s_wait_alu 0xfffe
	s_and_b32 s8, s10, s8
	s_wait_alu 0xfffe
	s_xor_b32 s9, s8, -1
	s_wait_alu 0xfffe
	s_and_saveexec_b32 s10, s9
	s_wait_alu 0xfffe
	s_xor_b32 s9, exec_lo, s10
; %bb.87:                               ;   in Loop: Header=BB77_2 Depth=1
	ds_load_u8 v59, v61 offset:1
; %bb.88:                               ;   in Loop: Header=BB77_2 Depth=1
	s_wait_alu 0xfffe
	s_or_saveexec_b32 s9, s9
	v_mov_b32_e32 v60, v58
	s_wait_alu 0xfffe
	s_xor_b32 exec_lo, exec_lo, s9
	s_cbranch_execz .LBB77_90
; %bb.89:                               ;   in Loop: Header=BB77_2 Depth=1
	ds_load_u8 v60, v62 offset:1
	s_wait_dscnt 0x1
	v_mov_b32_e32 v59, v57
.LBB77_90:                              ;   in Loop: Header=BB77_2 Depth=1
	s_or_b32 exec_lo, exec_lo, s9
	v_add_nc_u32_e32 v63, 1, v61
	v_add_nc_u32_e32 v64, 1, v62
	s_wait_dscnt 0x0
	v_bfe_i32 v67, v59, 0, 8
	s_delay_alu instid0(VALU_DEP_3) | instskip(SKIP_2) | instid1(VALU_DEP_3)
	v_cndmask_b32_e64 v65, v63, v61, s8
	v_bfe_i32 v63, v60, 0, 8
	v_cndmask_b32_e64 v66, v62, v64, s8
	v_cmp_ge_i32_e64 s9, v65, v22
	s_delay_alu instid0(VALU_DEP_3) | instskip(NEXT) | instid1(VALU_DEP_3)
	v_cmp_lt_i16_e64 s10, v63, v67
	v_cmp_lt_i32_e64 s11, v66, v23
                                        ; implicit-def: $vgpr63
	s_or_b32 s9, s9, s10
	s_wait_alu 0xfffe
	s_and_b32 s9, s11, s9
	s_wait_alu 0xfffe
	s_xor_b32 s10, s9, -1
	s_wait_alu 0xfffe
	s_and_saveexec_b32 s11, s10
	s_wait_alu 0xfffe
	s_xor_b32 s10, exec_lo, s11
; %bb.91:                               ;   in Loop: Header=BB77_2 Depth=1
	ds_load_u8 v63, v65 offset:1
; %bb.92:                               ;   in Loop: Header=BB77_2 Depth=1
	s_wait_alu 0xfffe
	s_or_saveexec_b32 s10, s10
	v_mov_b32_e32 v64, v60
	s_wait_alu 0xfffe
	s_xor_b32 exec_lo, exec_lo, s10
	s_cbranch_execz .LBB77_94
; %bb.93:                               ;   in Loop: Header=BB77_2 Depth=1
	ds_load_u8 v64, v66 offset:1
	s_wait_dscnt 0x1
	v_mov_b32_e32 v63, v59
.LBB77_94:                              ;   in Loop: Header=BB77_2 Depth=1
	s_or_b32 exec_lo, exec_lo, s10
	v_add_nc_u32_e32 v67, 1, v65
	v_add_nc_u32_e32 v68, 1, v66
	s_wait_dscnt 0x0
	v_bfe_i32 v70, v63, 0, 8
	s_delay_alu instid0(VALU_DEP_3) | instskip(SKIP_2) | instid1(VALU_DEP_3)
	v_cndmask_b32_e64 v69, v67, v65, s9
	v_bfe_i32 v67, v64, 0, 8
	v_cndmask_b32_e64 v68, v66, v68, s9
	v_cmp_ge_i32_e64 s10, v69, v22
	s_delay_alu instid0(VALU_DEP_3) | instskip(NEXT) | instid1(VALU_DEP_3)
	v_cmp_lt_i16_e64 s11, v67, v70
	v_cmp_lt_i32_e64 s12, v68, v23
                                        ; implicit-def: $vgpr67
	s_or_b32 s10, s10, s11
	s_wait_alu 0xfffe
	s_and_b32 s10, s12, s10
	s_wait_alu 0xfffe
	s_xor_b32 s11, s10, -1
	s_wait_alu 0xfffe
	s_and_saveexec_b32 s12, s11
	s_wait_alu 0xfffe
	s_xor_b32 s11, exec_lo, s12
; %bb.95:                               ;   in Loop: Header=BB77_2 Depth=1
	ds_load_u8 v67, v69 offset:1
; %bb.96:                               ;   in Loop: Header=BB77_2 Depth=1
	s_wait_alu 0xfffe
	s_or_saveexec_b32 s11, s11
	v_mov_b32_e32 v70, v64
	s_wait_alu 0xfffe
	s_xor_b32 exec_lo, exec_lo, s11
	s_cbranch_execz .LBB77_98
; %bb.97:                               ;   in Loop: Header=BB77_2 Depth=1
	ds_load_u8 v70, v68 offset:1
	s_wait_dscnt 0x1
	v_mov_b32_e32 v67, v63
.LBB77_98:                              ;   in Loop: Header=BB77_2 Depth=1
	s_or_b32 exec_lo, exec_lo, s11
	v_add_nc_u32_e32 v71, 1, v69
	v_add_nc_u32_e32 v72, 1, v68
	v_cndmask_b32_e64 v73, v69, v68, s10
	s_wait_dscnt 0x0
	v_bfe_i32 v74, v67, 0, 8
	v_bfe_i32 v75, v70, 0, 8
	v_cndmask_b32_e64 v69, v71, v69, s10
	v_cndmask_b32_e64 v65, v65, v66, s9
	;; [unrolled: 1-line block ×4, first 2 shown]
	v_cmp_lt_i16_e64 s11, v75, v74
	v_cmp_ge_i32_e64 s12, v69, v22
	s_wait_loadcnt 0x0
	v_cmp_lt_i32_e64 s13, v66, v23
	s_barrier_signal -1
	s_barrier_wait -1
	s_or_b32 s11, s12, s11
	global_inv scope:SCOPE_SE
	s_wait_alu 0xfffe
	s_and_b32 s11, s13, s11
	ds_store_b8 v1, v53
	ds_store_b8 v1, v55 offset:1
	ds_store_b8 v1, v56 offset:2
	;; [unrolled: 1-line block ×3, first 2 shown]
	s_wait_alu 0xfffe
	v_cndmask_b32_e64 v66, v69, v66, s11
	s_wait_loadcnt_dscnt 0x0
	s_barrier_signal -1
	s_barrier_wait -1
	global_inv scope:SCOPE_SE
	ds_load_u8 v53, v61
	ds_load_u8 v54, v66
	;; [unrolled: 1-line block ×4, first 2 shown]
	v_cndmask_b32_e64 v57, v57, v58, s8
	v_cndmask_b32_e64 v59, v59, v60, s9
	;; [unrolled: 1-line block ×4, first 2 shown]
	s_wait_loadcnt_dscnt 0x0
	s_barrier_signal -1
	s_barrier_wait -1
	global_inv scope:SCOPE_SE
	ds_store_b8 v1, v57
	ds_store_b8 v1, v59 offset:1
	ds_store_b8 v1, v61 offset:2
	;; [unrolled: 1-line block ×3, first 2 shown]
	v_mov_b32_e32 v57, v50
	s_wait_loadcnt_dscnt 0x0
	s_barrier_signal -1
	s_barrier_wait -1
	global_inv scope:SCOPE_SE
	s_and_saveexec_b32 s9, s6
	s_cbranch_execz .LBB77_102
; %bb.99:                               ;   in Loop: Header=BB77_2 Depth=1
	v_dual_mov_b32 v57, v50 :: v_dual_mov_b32 v58, v42
	s_mov_b32 s10, 0
.LBB77_100:                             ;   Parent Loop BB77_2 Depth=1
                                        ; =>  This Inner Loop Header: Depth=2
	s_delay_alu instid0(VALU_DEP_1) | instskip(NEXT) | instid1(VALU_DEP_1)
	v_sub_nc_u32_e32 v59, v58, v57
	v_lshrrev_b32_e32 v59, 1, v59
	s_delay_alu instid0(VALU_DEP_1) | instskip(NEXT) | instid1(VALU_DEP_1)
	v_add_nc_u32_e32 v59, v59, v57
	v_add_nc_u32_e32 v60, v8, v59
	v_xad_u32 v61, v59, -1, v34
	v_add_nc_u32_e32 v62, 1, v59
	ds_load_i8 v60, v60
	ds_load_i8 v61, v61
	s_wait_dscnt 0x0
	v_cmp_lt_i16_e64 s8, v61, v60
	s_wait_alu 0xf1ff
	s_delay_alu instid0(VALU_DEP_1) | instskip(SKIP_1) | instid1(VALU_DEP_1)
	v_cndmask_b32_e64 v58, v58, v59, s8
	v_cndmask_b32_e64 v57, v62, v57, s8
	v_cmp_ge_i32_e64 s8, v57, v58
	s_wait_alu 0xfffe
	s_or_b32 s10, s8, s10
	s_wait_alu 0xfffe
	s_and_not1_b32 exec_lo, exec_lo, s10
	s_cbranch_execnz .LBB77_100
; %bb.101:                              ;   in Loop: Header=BB77_2 Depth=1
	s_or_b32 exec_lo, exec_lo, s10
.LBB77_102:                             ;   in Loop: Header=BB77_2 Depth=1
	s_wait_alu 0xfffe
	s_or_b32 exec_lo, exec_lo, s9
	v_add_nc_u32_e32 v61, v57, v8
	v_sub_nc_u32_e32 v62, v34, v57
                                        ; implicit-def: $vgpr59
	ds_load_u8 v57, v61
	ds_load_u8 v58, v62
	v_cmp_le_i32_e64 s8, v24, v61
	v_cmp_gt_i32_e64 s10, v25, v62
	s_wait_dscnt 0x1
	v_bfe_i32 v57, v57, 0, 8
	s_wait_dscnt 0x0
	v_bfe_i32 v58, v58, 0, 8
	s_delay_alu instid0(VALU_DEP_1)
	v_cmp_lt_i16_e64 s9, v58, v57
	s_or_b32 s8, s8, s9
	s_wait_alu 0xfffe
	s_and_b32 s8, s10, s8
	s_wait_alu 0xfffe
	s_xor_b32 s9, s8, -1
	s_wait_alu 0xfffe
	s_and_saveexec_b32 s10, s9
	s_wait_alu 0xfffe
	s_xor_b32 s9, exec_lo, s10
; %bb.103:                              ;   in Loop: Header=BB77_2 Depth=1
	ds_load_u8 v59, v61 offset:1
; %bb.104:                              ;   in Loop: Header=BB77_2 Depth=1
	s_wait_alu 0xfffe
	s_or_saveexec_b32 s9, s9
	v_mov_b32_e32 v60, v58
	s_wait_alu 0xfffe
	s_xor_b32 exec_lo, exec_lo, s9
	s_cbranch_execz .LBB77_106
; %bb.105:                              ;   in Loop: Header=BB77_2 Depth=1
	ds_load_u8 v60, v62 offset:1
	s_wait_dscnt 0x1
	v_mov_b32_e32 v59, v57
.LBB77_106:                             ;   in Loop: Header=BB77_2 Depth=1
	s_or_b32 exec_lo, exec_lo, s9
	v_add_nc_u32_e32 v63, 1, v61
	v_add_nc_u32_e32 v64, 1, v62
	s_wait_dscnt 0x0
	v_bfe_i32 v67, v59, 0, 8
	s_delay_alu instid0(VALU_DEP_3) | instskip(SKIP_2) | instid1(VALU_DEP_3)
	v_cndmask_b32_e64 v65, v63, v61, s8
	v_bfe_i32 v63, v60, 0, 8
	v_cndmask_b32_e64 v66, v62, v64, s8
	v_cmp_ge_i32_e64 s9, v65, v24
	s_delay_alu instid0(VALU_DEP_3) | instskip(NEXT) | instid1(VALU_DEP_3)
	v_cmp_lt_i16_e64 s10, v63, v67
	v_cmp_lt_i32_e64 s11, v66, v25
                                        ; implicit-def: $vgpr63
	s_or_b32 s9, s9, s10
	s_wait_alu 0xfffe
	s_and_b32 s9, s11, s9
	s_wait_alu 0xfffe
	s_xor_b32 s10, s9, -1
	s_wait_alu 0xfffe
	s_and_saveexec_b32 s11, s10
	s_wait_alu 0xfffe
	s_xor_b32 s10, exec_lo, s11
; %bb.107:                              ;   in Loop: Header=BB77_2 Depth=1
	ds_load_u8 v63, v65 offset:1
; %bb.108:                              ;   in Loop: Header=BB77_2 Depth=1
	s_wait_alu 0xfffe
	s_or_saveexec_b32 s10, s10
	v_mov_b32_e32 v64, v60
	s_wait_alu 0xfffe
	s_xor_b32 exec_lo, exec_lo, s10
	s_cbranch_execz .LBB77_110
; %bb.109:                              ;   in Loop: Header=BB77_2 Depth=1
	ds_load_u8 v64, v66 offset:1
	s_wait_dscnt 0x1
	v_mov_b32_e32 v63, v59
.LBB77_110:                             ;   in Loop: Header=BB77_2 Depth=1
	s_or_b32 exec_lo, exec_lo, s10
	v_add_nc_u32_e32 v67, 1, v65
	v_add_nc_u32_e32 v68, 1, v66
	s_wait_dscnt 0x0
	v_bfe_i32 v70, v63, 0, 8
	s_delay_alu instid0(VALU_DEP_3) | instskip(SKIP_2) | instid1(VALU_DEP_3)
	v_cndmask_b32_e64 v69, v67, v65, s9
	v_bfe_i32 v67, v64, 0, 8
	v_cndmask_b32_e64 v68, v66, v68, s9
	v_cmp_ge_i32_e64 s10, v69, v24
	s_delay_alu instid0(VALU_DEP_3) | instskip(NEXT) | instid1(VALU_DEP_3)
	v_cmp_lt_i16_e64 s11, v67, v70
	v_cmp_lt_i32_e64 s12, v68, v25
                                        ; implicit-def: $vgpr67
	s_or_b32 s10, s10, s11
	s_wait_alu 0xfffe
	s_and_b32 s10, s12, s10
	s_wait_alu 0xfffe
	s_xor_b32 s11, s10, -1
	s_wait_alu 0xfffe
	s_and_saveexec_b32 s12, s11
	s_wait_alu 0xfffe
	s_xor_b32 s11, exec_lo, s12
; %bb.111:                              ;   in Loop: Header=BB77_2 Depth=1
	ds_load_u8 v67, v69 offset:1
; %bb.112:                              ;   in Loop: Header=BB77_2 Depth=1
	s_wait_alu 0xfffe
	s_or_saveexec_b32 s11, s11
	v_mov_b32_e32 v70, v64
	s_wait_alu 0xfffe
	s_xor_b32 exec_lo, exec_lo, s11
	s_cbranch_execz .LBB77_114
; %bb.113:                              ;   in Loop: Header=BB77_2 Depth=1
	ds_load_u8 v70, v68 offset:1
	s_wait_dscnt 0x1
	v_mov_b32_e32 v67, v63
.LBB77_114:                             ;   in Loop: Header=BB77_2 Depth=1
	s_or_b32 exec_lo, exec_lo, s11
	v_add_nc_u32_e32 v71, 1, v69
	v_add_nc_u32_e32 v72, 1, v68
	v_cndmask_b32_e64 v73, v69, v68, s10
	s_wait_dscnt 0x0
	v_bfe_i32 v74, v67, 0, 8
	v_bfe_i32 v75, v70, 0, 8
	v_cndmask_b32_e64 v69, v71, v69, s10
	v_cndmask_b32_e64 v65, v65, v66, s9
	;; [unrolled: 1-line block ×4, first 2 shown]
	v_cmp_lt_i16_e64 s11, v75, v74
	v_cmp_ge_i32_e64 s12, v69, v24
	s_wait_loadcnt 0x0
	v_cmp_lt_i32_e64 s13, v66, v25
	s_barrier_signal -1
	s_barrier_wait -1
	s_or_b32 s11, s12, s11
	global_inv scope:SCOPE_SE
	s_wait_alu 0xfffe
	s_and_b32 s11, s13, s11
	ds_store_b8 v1, v53
	ds_store_b8 v1, v55 offset:1
	ds_store_b8 v1, v56 offset:2
	;; [unrolled: 1-line block ×3, first 2 shown]
	s_wait_alu 0xfffe
	v_cndmask_b32_e64 v66, v69, v66, s11
	s_wait_loadcnt_dscnt 0x0
	s_barrier_signal -1
	s_barrier_wait -1
	global_inv scope:SCOPE_SE
	ds_load_u8 v53, v61
	ds_load_u8 v54, v66
	;; [unrolled: 1-line block ×4, first 2 shown]
	v_cndmask_b32_e64 v57, v57, v58, s8
	v_cndmask_b32_e64 v59, v59, v60, s9
	;; [unrolled: 1-line block ×4, first 2 shown]
	s_wait_loadcnt_dscnt 0x0
	s_barrier_signal -1
	s_barrier_wait -1
	global_inv scope:SCOPE_SE
	ds_store_b8 v1, v57
	ds_store_b8 v1, v59 offset:1
	ds_store_b8 v1, v61 offset:2
	;; [unrolled: 1-line block ×3, first 2 shown]
	v_mov_b32_e32 v57, v51
	s_wait_loadcnt_dscnt 0x0
	s_barrier_signal -1
	s_barrier_wait -1
	global_inv scope:SCOPE_SE
	s_and_saveexec_b32 s9, s7
	s_cbranch_execz .LBB77_118
; %bb.115:                              ;   in Loop: Header=BB77_2 Depth=1
	v_dual_mov_b32 v57, v51 :: v_dual_mov_b32 v58, v43
	s_mov_b32 s10, 0
.LBB77_116:                             ;   Parent Loop BB77_2 Depth=1
                                        ; =>  This Inner Loop Header: Depth=2
	s_delay_alu instid0(VALU_DEP_1) | instskip(NEXT) | instid1(VALU_DEP_1)
	v_sub_nc_u32_e32 v59, v58, v57
	v_lshrrev_b32_e32 v59, 1, v59
	s_delay_alu instid0(VALU_DEP_1) | instskip(NEXT) | instid1(VALU_DEP_1)
	v_add_nc_u32_e32 v59, v59, v57
	v_add_nc_u32_e32 v60, v9, v59
	v_xad_u32 v61, v59, -1, v35
	v_add_nc_u32_e32 v62, 1, v59
	ds_load_i8 v60, v60
	ds_load_i8 v61, v61
	s_wait_dscnt 0x0
	v_cmp_lt_i16_e64 s8, v61, v60
	s_wait_alu 0xf1ff
	s_delay_alu instid0(VALU_DEP_1) | instskip(SKIP_1) | instid1(VALU_DEP_1)
	v_cndmask_b32_e64 v58, v58, v59, s8
	v_cndmask_b32_e64 v57, v62, v57, s8
	v_cmp_ge_i32_e64 s8, v57, v58
	s_wait_alu 0xfffe
	s_or_b32 s10, s8, s10
	s_wait_alu 0xfffe
	s_and_not1_b32 exec_lo, exec_lo, s10
	s_cbranch_execnz .LBB77_116
; %bb.117:                              ;   in Loop: Header=BB77_2 Depth=1
	s_or_b32 exec_lo, exec_lo, s10
.LBB77_118:                             ;   in Loop: Header=BB77_2 Depth=1
	s_wait_alu 0xfffe
	s_or_b32 exec_lo, exec_lo, s9
	v_add_nc_u32_e32 v61, v57, v9
	v_sub_nc_u32_e32 v62, v35, v57
                                        ; implicit-def: $vgpr59
	ds_load_u8 v57, v61
	ds_load_u8 v58, v62
	v_cmp_le_i32_e64 s8, v26, v61
	v_cmp_gt_i32_e64 s10, v27, v62
	s_wait_dscnt 0x1
	v_bfe_i32 v57, v57, 0, 8
	s_wait_dscnt 0x0
	v_bfe_i32 v58, v58, 0, 8
	s_delay_alu instid0(VALU_DEP_1)
	v_cmp_lt_i16_e64 s9, v58, v57
	s_or_b32 s8, s8, s9
	s_wait_alu 0xfffe
	s_and_b32 s8, s10, s8
	s_wait_alu 0xfffe
	s_xor_b32 s9, s8, -1
	s_wait_alu 0xfffe
	s_and_saveexec_b32 s10, s9
	s_wait_alu 0xfffe
	s_xor_b32 s9, exec_lo, s10
; %bb.119:                              ;   in Loop: Header=BB77_2 Depth=1
	ds_load_u8 v59, v61 offset:1
; %bb.120:                              ;   in Loop: Header=BB77_2 Depth=1
	s_wait_alu 0xfffe
	s_or_saveexec_b32 s9, s9
	v_mov_b32_e32 v60, v58
	s_wait_alu 0xfffe
	s_xor_b32 exec_lo, exec_lo, s9
	s_cbranch_execz .LBB77_122
; %bb.121:                              ;   in Loop: Header=BB77_2 Depth=1
	ds_load_u8 v60, v62 offset:1
	s_wait_dscnt 0x1
	v_mov_b32_e32 v59, v57
.LBB77_122:                             ;   in Loop: Header=BB77_2 Depth=1
	s_or_b32 exec_lo, exec_lo, s9
	v_add_nc_u32_e32 v63, 1, v61
	v_add_nc_u32_e32 v64, 1, v62
	s_wait_dscnt 0x0
	v_bfe_i32 v67, v59, 0, 8
	s_delay_alu instid0(VALU_DEP_3) | instskip(SKIP_2) | instid1(VALU_DEP_3)
	v_cndmask_b32_e64 v65, v63, v61, s8
	v_bfe_i32 v63, v60, 0, 8
	v_cndmask_b32_e64 v66, v62, v64, s8
	v_cmp_ge_i32_e64 s9, v65, v26
	s_delay_alu instid0(VALU_DEP_3) | instskip(NEXT) | instid1(VALU_DEP_3)
	v_cmp_lt_i16_e64 s10, v63, v67
	v_cmp_lt_i32_e64 s11, v66, v27
                                        ; implicit-def: $vgpr63
	s_or_b32 s9, s9, s10
	s_wait_alu 0xfffe
	s_and_b32 s9, s11, s9
	s_wait_alu 0xfffe
	s_xor_b32 s10, s9, -1
	s_wait_alu 0xfffe
	s_and_saveexec_b32 s11, s10
	s_wait_alu 0xfffe
	s_xor_b32 s10, exec_lo, s11
; %bb.123:                              ;   in Loop: Header=BB77_2 Depth=1
	ds_load_u8 v63, v65 offset:1
; %bb.124:                              ;   in Loop: Header=BB77_2 Depth=1
	s_wait_alu 0xfffe
	s_or_saveexec_b32 s10, s10
	v_mov_b32_e32 v64, v60
	s_wait_alu 0xfffe
	s_xor_b32 exec_lo, exec_lo, s10
	s_cbranch_execz .LBB77_126
; %bb.125:                              ;   in Loop: Header=BB77_2 Depth=1
	ds_load_u8 v64, v66 offset:1
	s_wait_dscnt 0x1
	v_mov_b32_e32 v63, v59
.LBB77_126:                             ;   in Loop: Header=BB77_2 Depth=1
	s_or_b32 exec_lo, exec_lo, s10
	v_add_nc_u32_e32 v67, 1, v65
	v_add_nc_u32_e32 v68, 1, v66
	s_wait_dscnt 0x0
	v_bfe_i32 v70, v63, 0, 8
	s_delay_alu instid0(VALU_DEP_3) | instskip(SKIP_2) | instid1(VALU_DEP_3)
	v_cndmask_b32_e64 v69, v67, v65, s9
	v_bfe_i32 v67, v64, 0, 8
	v_cndmask_b32_e64 v68, v66, v68, s9
	v_cmp_ge_i32_e64 s10, v69, v26
	s_delay_alu instid0(VALU_DEP_3) | instskip(NEXT) | instid1(VALU_DEP_3)
	v_cmp_lt_i16_e64 s11, v67, v70
	v_cmp_lt_i32_e64 s12, v68, v27
                                        ; implicit-def: $vgpr67
	s_or_b32 s10, s10, s11
	s_wait_alu 0xfffe
	s_and_b32 s10, s12, s10
	s_wait_alu 0xfffe
	s_xor_b32 s11, s10, -1
	s_wait_alu 0xfffe
	s_and_saveexec_b32 s12, s11
	s_wait_alu 0xfffe
	s_xor_b32 s11, exec_lo, s12
; %bb.127:                              ;   in Loop: Header=BB77_2 Depth=1
	ds_load_u8 v67, v69 offset:1
; %bb.128:                              ;   in Loop: Header=BB77_2 Depth=1
	s_wait_alu 0xfffe
	s_or_saveexec_b32 s11, s11
	v_mov_b32_e32 v70, v64
	s_wait_alu 0xfffe
	s_xor_b32 exec_lo, exec_lo, s11
	s_cbranch_execz .LBB77_130
; %bb.129:                              ;   in Loop: Header=BB77_2 Depth=1
	ds_load_u8 v70, v68 offset:1
	s_wait_dscnt 0x1
	v_mov_b32_e32 v67, v63
.LBB77_130:                             ;   in Loop: Header=BB77_2 Depth=1
	s_or_b32 exec_lo, exec_lo, s11
	v_add_nc_u32_e32 v71, 1, v69
	v_add_nc_u32_e32 v72, 1, v68
	v_cndmask_b32_e64 v73, v69, v68, s10
	s_wait_dscnt 0x0
	v_bfe_i32 v74, v67, 0, 8
	v_bfe_i32 v75, v70, 0, 8
	v_cndmask_b32_e64 v69, v71, v69, s10
	v_cndmask_b32_e64 v65, v65, v66, s9
	;; [unrolled: 1-line block ×4, first 2 shown]
	v_cmp_lt_i16_e64 s11, v75, v74
	v_cmp_ge_i32_e64 s12, v69, v26
	s_wait_loadcnt 0x0
	v_cmp_lt_i32_e64 s13, v66, v27
	s_barrier_signal -1
	s_barrier_wait -1
	s_or_b32 s11, s12, s11
	global_inv scope:SCOPE_SE
	s_wait_alu 0xfffe
	s_and_b32 s11, s13, s11
	ds_store_b8 v1, v53
	ds_store_b8 v1, v55 offset:1
	ds_store_b8 v1, v56 offset:2
	;; [unrolled: 1-line block ×3, first 2 shown]
	s_wait_alu 0xfffe
	v_cndmask_b32_e64 v66, v69, v66, s11
	s_wait_loadcnt_dscnt 0x0
	s_barrier_signal -1
	s_barrier_wait -1
	global_inv scope:SCOPE_SE
	ds_load_u8 v53, v61
	ds_load_u8 v54, v66
	;; [unrolled: 1-line block ×4, first 2 shown]
	v_cndmask_b32_e64 v57, v57, v58, s8
	v_cndmask_b32_e64 v59, v59, v60, s9
	v_cndmask_b32_e64 v61, v63, v64, s10
	v_cndmask_b32_e64 v62, v67, v70, s11
	s_wait_loadcnt_dscnt 0x0
	s_barrier_signal -1
	s_barrier_wait -1
	global_inv scope:SCOPE_SE
	ds_store_b8 v1, v57
	ds_store_b8 v1, v59 offset:1
	ds_store_b8 v1, v61 offset:2
	ds_store_b8 v1, v62 offset:3
	v_mov_b32_e32 v57, v10
	s_wait_loadcnt_dscnt 0x0
	s_barrier_signal -1
	s_barrier_wait -1
	global_inv scope:SCOPE_SE
	s_and_saveexec_b32 s9, vcc_lo
	s_cbranch_execz .LBB77_134
; %bb.131:                              ;   in Loop: Header=BB77_2 Depth=1
	v_dual_mov_b32 v57, v10 :: v_dual_mov_b32 v58, v11
	s_mov_b32 s10, 0
.LBB77_132:                             ;   Parent Loop BB77_2 Depth=1
                                        ; =>  This Inner Loop Header: Depth=2
	s_delay_alu instid0(VALU_DEP_1) | instskip(NEXT) | instid1(VALU_DEP_1)
	v_sub_nc_u32_e32 v59, v58, v57
	v_lshrrev_b32_e32 v59, 1, v59
	s_delay_alu instid0(VALU_DEP_1) | instskip(NEXT) | instid1(VALU_DEP_1)
	v_add_nc_u32_e32 v59, v59, v57
	v_xad_u32 v60, v59, -1, v52
	v_add_nc_u32_e32 v62, 1, v59
	ds_load_i8 v61, v59
	ds_load_i8 v60, v60
	s_wait_dscnt 0x0
	v_cmp_lt_i16_e64 s8, v60, v61
	s_wait_alu 0xf1ff
	s_delay_alu instid0(VALU_DEP_1) | instskip(SKIP_1) | instid1(VALU_DEP_1)
	v_cndmask_b32_e64 v58, v58, v59, s8
	v_cndmask_b32_e64 v57, v62, v57, s8
	v_cmp_ge_i32_e64 s8, v57, v58
	s_wait_alu 0xfffe
	s_or_b32 s10, s8, s10
	s_wait_alu 0xfffe
	s_and_not1_b32 exec_lo, exec_lo, s10
	s_cbranch_execnz .LBB77_132
; %bb.133:                              ;   in Loop: Header=BB77_2 Depth=1
	s_or_b32 exec_lo, exec_lo, s10
.LBB77_134:                             ;   in Loop: Header=BB77_2 Depth=1
	s_wait_alu 0xfffe
	s_or_b32 exec_lo, exec_lo, s9
	v_sub_nc_u32_e32 v62, v52, v57
	v_cmp_le_i32_e64 s8, 0x400, v57
                                        ; implicit-def: $vgpr60
	ds_load_u8 v58, v57
	ds_load_u8 v59, v62
	v_cmp_gt_i32_e64 s10, 0x800, v62
	s_wait_dscnt 0x1
	v_bfe_i32 v58, v58, 0, 8
	s_wait_dscnt 0x0
	v_bfe_i32 v59, v59, 0, 8
	s_delay_alu instid0(VALU_DEP_1)
	v_cmp_lt_i16_e64 s9, v59, v58
	s_or_b32 s8, s8, s9
	s_wait_alu 0xfffe
	s_and_b32 s8, s10, s8
	s_wait_alu 0xfffe
	s_xor_b32 s9, s8, -1
	s_wait_alu 0xfffe
	s_and_saveexec_b32 s10, s9
	s_wait_alu 0xfffe
	s_xor_b32 s9, exec_lo, s10
; %bb.135:                              ;   in Loop: Header=BB77_2 Depth=1
	ds_load_u8 v60, v57 offset:1
; %bb.136:                              ;   in Loop: Header=BB77_2 Depth=1
	s_wait_alu 0xfffe
	s_or_saveexec_b32 s9, s9
	v_mov_b32_e32 v61, v59
	s_wait_alu 0xfffe
	s_xor_b32 exec_lo, exec_lo, s9
	s_cbranch_execz .LBB77_138
; %bb.137:                              ;   in Loop: Header=BB77_2 Depth=1
	ds_load_u8 v61, v62 offset:1
	s_wait_dscnt 0x1
	v_mov_b32_e32 v60, v58
.LBB77_138:                             ;   in Loop: Header=BB77_2 Depth=1
	s_or_b32 exec_lo, exec_lo, s9
	v_add_nc_u32_e32 v63, 1, v57
	v_add_nc_u32_e32 v64, 1, v62
	s_wait_dscnt 0x0
	v_bfe_i32 v67, v60, 0, 8
	s_delay_alu instid0(VALU_DEP_3) | instskip(SKIP_2) | instid1(VALU_DEP_3)
	v_cndmask_b32_e64 v65, v63, v57, s8
	v_bfe_i32 v63, v61, 0, 8
	v_cndmask_b32_e64 v66, v62, v64, s8
	v_cmp_le_i32_e64 s9, 0x400, v65
	s_delay_alu instid0(VALU_DEP_3) | instskip(NEXT) | instid1(VALU_DEP_3)
	v_cmp_lt_i16_e64 s10, v63, v67
	v_cmp_gt_i32_e64 s11, 0x800, v66
                                        ; implicit-def: $vgpr63
	s_or_b32 s9, s9, s10
	s_wait_alu 0xfffe
	s_and_b32 s9, s11, s9
	s_wait_alu 0xfffe
	s_xor_b32 s10, s9, -1
	s_wait_alu 0xfffe
	s_and_saveexec_b32 s11, s10
	s_wait_alu 0xfffe
	s_xor_b32 s10, exec_lo, s11
; %bb.139:                              ;   in Loop: Header=BB77_2 Depth=1
	ds_load_u8 v63, v65 offset:1
; %bb.140:                              ;   in Loop: Header=BB77_2 Depth=1
	s_wait_alu 0xfffe
	s_or_saveexec_b32 s10, s10
	v_mov_b32_e32 v64, v61
	s_wait_alu 0xfffe
	s_xor_b32 exec_lo, exec_lo, s10
	s_cbranch_execz .LBB77_142
; %bb.141:                              ;   in Loop: Header=BB77_2 Depth=1
	ds_load_u8 v64, v66 offset:1
	s_wait_dscnt 0x1
	v_mov_b32_e32 v63, v60
.LBB77_142:                             ;   in Loop: Header=BB77_2 Depth=1
	s_or_b32 exec_lo, exec_lo, s10
	v_add_nc_u32_e32 v67, 1, v65
	v_add_nc_u32_e32 v68, 1, v66
	s_wait_dscnt 0x0
	v_bfe_i32 v69, v63, 0, 8
	v_bfe_i32 v70, v64, 0, 8
	v_cndmask_b32_e64 v72, v67, v65, s9
	v_cndmask_b32_e64 v67, v66, v68, s9
                                        ; implicit-def: $vgpr68
	s_delay_alu instid0(VALU_DEP_3) | instskip(NEXT) | instid1(VALU_DEP_3)
	v_cmp_lt_i16_e64 s11, v70, v69
                                        ; implicit-def: $vgpr69
	v_cmp_le_i32_e64 s10, 0x400, v72
	s_delay_alu instid0(VALU_DEP_3)
	v_cmp_gt_i32_e64 s12, 0x800, v67
	s_or_b32 s10, s10, s11
	s_wait_alu 0xfffe
	s_and_b32 s10, s12, s10
	s_wait_alu 0xfffe
	s_xor_b32 s11, s10, -1
	s_wait_alu 0xfffe
	s_and_saveexec_b32 s12, s11
	s_wait_alu 0xfffe
	s_xor_b32 s11, exec_lo, s12
; %bb.143:                              ;   in Loop: Header=BB77_2 Depth=1
	ds_load_u8 v69, v72 offset:1
	v_add_nc_u32_e32 v68, 1, v72
; %bb.144:                              ;   in Loop: Header=BB77_2 Depth=1
	s_wait_alu 0xfffe
	s_or_saveexec_b32 s11, s11
	v_dual_mov_b32 v70, v72 :: v_dual_mov_b32 v71, v64
	s_wait_alu 0xfffe
	s_xor_b32 exec_lo, exec_lo, s11
	s_cbranch_execz .LBB77_1
; %bb.145:                              ;   in Loop: Header=BB77_2 Depth=1
	ds_load_u8 v71, v67 offset:1
	s_wait_dscnt 0x1
	v_dual_mov_b32 v70, v67 :: v_dual_add_nc_u32 v69, 1, v67
	s_delay_alu instid0(VALU_DEP_1)
	v_dual_mov_b32 v68, v72 :: v_dual_mov_b32 v67, v69
	v_mov_b32_e32 v69, v63
	s_branch .LBB77_1
.LBB77_146:
	s_add_nc_u64 s[0:1], s[22:23], s[24:25]
	s_wait_dscnt 0x3
	v_add_nc_u16 v2, v59, v56
	s_wait_alu 0xfffe
	v_add_co_u32 v0, s0, s0, v0
	s_wait_alu 0xf1ff
	v_add_co_ci_u32_e64 v1, null, s1, 0, s0
	s_wait_dscnt 0x0
	v_add_nc_u16 v3, v58, v55
	v_add_nc_u16 v4, v60, v53
	;; [unrolled: 1-line block ×3, first 2 shown]
	s_clause 0x3
	global_store_b8 v[0:1], v2, off
	global_store_b8 v[0:1], v3, off offset:512
	global_store_b8 v[0:1], v4, off offset:1024
	;; [unrolled: 1-line block ×3, first 2 shown]
	s_endpgm
	.section	.rodata,"a",@progbits
	.p2align	6, 0x0
	.amdhsa_kernel _Z17sort_pairs_kernelIaLj512ELj4EN10test_utils4lessELj10EEvPKT_PS2_T2_
		.amdhsa_group_segment_fixed_size 2049
		.amdhsa_private_segment_fixed_size 0
		.amdhsa_kernarg_size 20
		.amdhsa_user_sgpr_count 2
		.amdhsa_user_sgpr_dispatch_ptr 0
		.amdhsa_user_sgpr_queue_ptr 0
		.amdhsa_user_sgpr_kernarg_segment_ptr 1
		.amdhsa_user_sgpr_dispatch_id 0
		.amdhsa_user_sgpr_private_segment_size 0
		.amdhsa_wavefront_size32 1
		.amdhsa_uses_dynamic_stack 0
		.amdhsa_enable_private_segment 0
		.amdhsa_system_sgpr_workgroup_id_x 1
		.amdhsa_system_sgpr_workgroup_id_y 0
		.amdhsa_system_sgpr_workgroup_id_z 0
		.amdhsa_system_sgpr_workgroup_info 0
		.amdhsa_system_vgpr_workitem_id 0
		.amdhsa_next_free_vgpr 76
		.amdhsa_next_free_sgpr 26
		.amdhsa_reserve_vcc 1
		.amdhsa_float_round_mode_32 0
		.amdhsa_float_round_mode_16_64 0
		.amdhsa_float_denorm_mode_32 3
		.amdhsa_float_denorm_mode_16_64 3
		.amdhsa_fp16_overflow 0
		.amdhsa_workgroup_processor_mode 1
		.amdhsa_memory_ordered 1
		.amdhsa_forward_progress 1
		.amdhsa_inst_pref_size 83
		.amdhsa_round_robin_scheduling 0
		.amdhsa_exception_fp_ieee_invalid_op 0
		.amdhsa_exception_fp_denorm_src 0
		.amdhsa_exception_fp_ieee_div_zero 0
		.amdhsa_exception_fp_ieee_overflow 0
		.amdhsa_exception_fp_ieee_underflow 0
		.amdhsa_exception_fp_ieee_inexact 0
		.amdhsa_exception_int_div_zero 0
	.end_amdhsa_kernel
	.section	.text._Z17sort_pairs_kernelIaLj512ELj4EN10test_utils4lessELj10EEvPKT_PS2_T2_,"axG",@progbits,_Z17sort_pairs_kernelIaLj512ELj4EN10test_utils4lessELj10EEvPKT_PS2_T2_,comdat
.Lfunc_end77:
	.size	_Z17sort_pairs_kernelIaLj512ELj4EN10test_utils4lessELj10EEvPKT_PS2_T2_, .Lfunc_end77-_Z17sort_pairs_kernelIaLj512ELj4EN10test_utils4lessELj10EEvPKT_PS2_T2_
                                        ; -- End function
	.set _Z17sort_pairs_kernelIaLj512ELj4EN10test_utils4lessELj10EEvPKT_PS2_T2_.num_vgpr, 76
	.set _Z17sort_pairs_kernelIaLj512ELj4EN10test_utils4lessELj10EEvPKT_PS2_T2_.num_agpr, 0
	.set _Z17sort_pairs_kernelIaLj512ELj4EN10test_utils4lessELj10EEvPKT_PS2_T2_.numbered_sgpr, 26
	.set _Z17sort_pairs_kernelIaLj512ELj4EN10test_utils4lessELj10EEvPKT_PS2_T2_.num_named_barrier, 0
	.set _Z17sort_pairs_kernelIaLj512ELj4EN10test_utils4lessELj10EEvPKT_PS2_T2_.private_seg_size, 0
	.set _Z17sort_pairs_kernelIaLj512ELj4EN10test_utils4lessELj10EEvPKT_PS2_T2_.uses_vcc, 1
	.set _Z17sort_pairs_kernelIaLj512ELj4EN10test_utils4lessELj10EEvPKT_PS2_T2_.uses_flat_scratch, 0
	.set _Z17sort_pairs_kernelIaLj512ELj4EN10test_utils4lessELj10EEvPKT_PS2_T2_.has_dyn_sized_stack, 0
	.set _Z17sort_pairs_kernelIaLj512ELj4EN10test_utils4lessELj10EEvPKT_PS2_T2_.has_recursion, 0
	.set _Z17sort_pairs_kernelIaLj512ELj4EN10test_utils4lessELj10EEvPKT_PS2_T2_.has_indirect_call, 0
	.section	.AMDGPU.csdata,"",@progbits
; Kernel info:
; codeLenInByte = 10556
; TotalNumSgprs: 28
; NumVgprs: 76
; ScratchSize: 0
; MemoryBound: 0
; FloatMode: 240
; IeeeMode: 1
; LDSByteSize: 2049 bytes/workgroup (compile time only)
; SGPRBlocks: 0
; VGPRBlocks: 9
; NumSGPRsForWavesPerEU: 28
; NumVGPRsForWavesPerEU: 76
; Occupancy: 16
; WaveLimiterHint : 1
; COMPUTE_PGM_RSRC2:SCRATCH_EN: 0
; COMPUTE_PGM_RSRC2:USER_SGPR: 2
; COMPUTE_PGM_RSRC2:TRAP_HANDLER: 0
; COMPUTE_PGM_RSRC2:TGID_X_EN: 1
; COMPUTE_PGM_RSRC2:TGID_Y_EN: 0
; COMPUTE_PGM_RSRC2:TGID_Z_EN: 0
; COMPUTE_PGM_RSRC2:TIDIG_COMP_CNT: 0
	.section	.text._Z16sort_keys_kernelIaLj512ELj8EN10test_utils4lessELj10EEvPKT_PS2_T2_,"axG",@progbits,_Z16sort_keys_kernelIaLj512ELj8EN10test_utils4lessELj10EEvPKT_PS2_T2_,comdat
	.protected	_Z16sort_keys_kernelIaLj512ELj8EN10test_utils4lessELj10EEvPKT_PS2_T2_ ; -- Begin function _Z16sort_keys_kernelIaLj512ELj8EN10test_utils4lessELj10EEvPKT_PS2_T2_
	.globl	_Z16sort_keys_kernelIaLj512ELj8EN10test_utils4lessELj10EEvPKT_PS2_T2_
	.p2align	8
	.type	_Z16sort_keys_kernelIaLj512ELj8EN10test_utils4lessELj10EEvPKT_PS2_T2_,@function
_Z16sort_keys_kernelIaLj512ELj8EN10test_utils4lessELj10EEvPKT_PS2_T2_: ; @_Z16sort_keys_kernelIaLj512ELj8EN10test_utils4lessELj10EEvPKT_PS2_T2_
; %bb.0:
	s_load_b128 s[16:19], s[0:1], 0x0
	s_lshl_b32 s20, ttmp9, 12
	s_mov_b32 s21, 0
	v_lshlrev_b32_e32 v1, 3, v0
	s_delay_alu instid0(VALU_DEP_1)
	v_and_b32_e32 v2, 0xff0, v1
	v_and_b32_e32 v3, 0xfe0, v1
	v_and_b32_e32 v45, 8, v1
	v_and_b32_e32 v4, 0xfc0, v1
	v_and_b32_e32 v46, 24, v1
	v_or_b32_e32 v13, 8, v2
	v_add_nc_u32_e32 v14, 16, v2
	v_or_b32_e32 v15, 16, v3
	v_add_nc_u32_e32 v16, 32, v3
	v_and_b32_e32 v5, 0xf80, v1
	v_or_b32_e32 v17, 32, v4
	v_sub_nc_u32_e32 v61, v14, v13
	s_wait_kmcnt 0x0
	s_add_nc_u64 s[0:1], s[16:17], s[20:21]
	v_add_nc_u32_e32 v18, 64, v4
	s_clause 0x7
	global_load_u8 v53, v0, s[0:1] offset:512
	global_load_u8 v54, v0, s[0:1] offset:3072
	global_load_u8 v55, v0, s[0:1] offset:2048
	global_load_u8 v56, v0, s[0:1] offset:1024
	global_load_u8 v57, v0, s[0:1]
	global_load_u8 v58, v0, s[0:1] offset:1536
	global_load_u8 v59, v0, s[0:1] offset:2560
	;; [unrolled: 1-line block ×3, first 2 shown]
	v_sub_nc_u32_e32 v37, v13, v2
	v_sub_nc_u32_e32 v62, v16, v15
	;; [unrolled: 1-line block ×3, first 2 shown]
	v_cmp_ge_i32_e64 s0, v45, v61
	v_and_b32_e32 v47, 56, v1
	v_and_b32_e32 v6, 0xf00, v1
	v_or_b32_e32 v19, 64, v5
	v_add_nc_u32_e32 v20, 0x80, v5
	v_add_nc_u32_e32 v29, v13, v45
	v_sub_nc_u32_e32 v38, v15, v3
	v_sub_nc_u32_e32 v63, v18, v17
	v_min_i32_e32 v37, v45, v37
	v_sub_nc_u32_e32 v70, v46, v62
	v_cndmask_b32_e64 v45, 0, v69, s0
	v_cmp_ge_i32_e64 s0, v46, v62
	v_and_b32_e32 v48, 0x78, v1
	v_and_b32_e32 v7, 0xe00, v1
	v_or_b32_e32 v21, 0x80, v6
	v_add_nc_u32_e32 v22, 0x100, v6
	v_add_nc_u32_e32 v30, v15, v46
	v_sub_nc_u32_e32 v39, v17, v4
	v_sub_nc_u32_e32 v64, v20, v19
	v_min_i32_e32 v38, v46, v38
	v_sub_nc_u32_e32 v71, v47, v63
	s_wait_alu 0xf1ff
	v_cndmask_b32_e64 v46, 0, v70, s0
	v_cmp_ge_i32_e64 s0, v47, v63
	v_and_b32_e32 v49, 0xf8, v1
	v_and_b32_e32 v8, 0xc00, v1
	v_or_b32_e32 v23, 0x100, v7
	v_add_nc_u32_e32 v24, 0x200, v7
	v_add_nc_u32_e32 v31, v17, v47
	v_sub_nc_u32_e32 v40, v19, v5
	v_sub_nc_u32_e32 v65, v22, v21
	v_min_i32_e32 v39, v47, v39
	v_sub_nc_u32_e32 v72, v48, v64
	s_wait_alu 0xf1ff
	;; [unrolled: 12-line block ×3, first 2 shown]
	v_cndmask_b32_e64 v48, 0, v72, s0
	v_cmp_ge_i32_e64 s0, v49, v65
	v_and_b32_e32 v51, 0x3f8, v1
	v_or_b32_e32 v27, 0x400, v9
	v_add_nc_u32_e32 v28, 0x800, v9
	v_add_nc_u32_e32 v33, v21, v49
	v_sub_nc_u32_e32 v42, v23, v7
	v_sub_nc_u32_e32 v67, v26, v25
	v_min_i32_e32 v41, v49, v41
	v_sub_nc_u32_e32 v74, v50, v66
	s_wait_alu 0xf1ff
	v_cndmask_b32_e64 v49, 0, v73, s0
	v_cmp_ge_i32_e64 s0, v50, v66
	v_and_b32_e32 v52, 0x7f8, v1
	v_add_nc_u32_e32 v34, v23, v50
	v_sub_nc_u32_e32 v43, v25, v8
	v_sub_nc_u32_e32 v68, v28, v27
	v_min_i32_e32 v42, v50, v42
	v_sub_nc_u32_e32 v75, v51, v67
	s_wait_alu 0xf1ff
	v_cndmask_b32_e64 v50, 0, v74, s0
	v_cmp_ge_i32_e64 s0, v51, v67
	v_add_nc_u32_e32 v35, v25, v51
	v_sub_nc_u32_e32 v44, v27, v9
	v_min_i32_e32 v43, v51, v43
	v_sub_nc_u32_e32 v76, v52, v68
	s_wait_alu 0xf1ff
	v_cndmask_b32_e64 v51, 0, v75, s0
	v_cmp_ge_i32_e64 s0, v52, v68
	v_add_nc_u32_e32 v36, v27, v52
	v_min_i32_e32 v44, v52, v44
	v_subrev_nc_u32_e64 v10, 0x800, v1 clamp
	v_min_i32_e32 v11, 0x800, v1
	s_wait_alu 0xf1ff
	v_cndmask_b32_e64 v52, 0, v76, s0
	v_add_nc_u32_e32 v12, 0x800, v1
	v_cmp_lt_i32_e64 s0, v45, v37
	v_cmp_lt_i32_e64 s1, v46, v38
	;; [unrolled: 1-line block ×8, first 2 shown]
	s_mov_b32 s17, s21
	v_cmp_lt_i32_e32 vcc_lo, v10, v11
	s_wait_loadcnt 0x3
	v_perm_b32 v53, v57, v53, 0xc0c0004
	s_wait_loadcnt 0x2
	v_perm_b32 v56, v56, v58, 0xc0c0004
	;; [unrolled: 2-line block ×4, first 2 shown]
	v_lshl_or_b32 v62, v56, 16, v53
	s_delay_alu instid0(VALU_DEP_2)
	v_lshl_or_b32 v53, v54, 16, v55
	s_branch .LBB78_2
.LBB78_1:                               ;   in Loop: Header=BB78_2 Depth=1
	s_or_b32 exec_lo, exec_lo, s15
	s_wait_dscnt 0x0
	v_bfe_i32 v71, v68, 0, 8
	v_bfe_i32 v72, v70, 0, 8
	v_cndmask_b32_e64 v54, v53, v54, s8
	v_cndmask_b32_e64 v55, v55, v56, s9
	v_cmp_le_i32_e64 s8, 0x800, v69
	v_cndmask_b32_e64 v56, v57, v58, s10
	v_cmp_lt_i16_e64 s9, v72, v71
	v_cmp_gt_i32_e64 s10, 0x1000, v67
	v_cndmask_b32_e64 v57, v59, v60, s11
	v_cndmask_b32_e64 v58, v61, v62, s12
	;; [unrolled: 1-line block ×3, first 2 shown]
	s_or_b32 s8, s8, s9
	v_cndmask_b32_e64 v60, v65, v66, s14
	s_wait_alu 0xfffe
	s_and_b32 s8, s10, s8
	v_lshlrev_b16 v53, 8, v55
	s_wait_alu 0xfffe
	v_cndmask_b32_e64 v61, v68, v70, s8
	v_and_b32_e32 v62, 0xff, v54
	v_lshlrev_b16 v63, 8, v57
	v_and_b32_e32 v64, 0xff, v56
	v_lshlrev_b16 v65, 8, v59
	v_and_b32_e32 v66, 0xff, v58
	v_and_b32_e32 v67, 0xff, v60
	v_lshlrev_b16 v68, 8, v61
	v_or_b32_e32 v53, v62, v53
	v_or_b32_e32 v62, v64, v63
	;; [unrolled: 1-line block ×3, first 2 shown]
	s_add_co_i32 s17, s17, 1
	v_or_b32_e32 v64, v67, v68
	v_and_b32_e32 v53, 0xffff, v53
	v_lshlrev_b32_e32 v62, 16, v62
	v_and_b32_e32 v63, 0xffff, v63
	s_cmp_eq_u32 s17, 10
	v_lshlrev_b32_e32 v64, 16, v64
	s_delay_alu instid0(VALU_DEP_3) | instskip(NEXT) | instid1(VALU_DEP_2)
	v_or_b32_e32 v62, v53, v62
	v_or_b32_e32 v53, v63, v64
	s_cbranch_scc1 .LBB78_290
.LBB78_2:                               ; =>This Loop Header: Depth=1
                                        ;     Child Loop BB78_4 Depth 2
                                        ;     Child Loop BB78_36 Depth 2
	;; [unrolled: 1-line block ×9, first 2 shown]
	s_delay_alu instid0(VALU_DEP_2)
	v_lshrrev_b32_e32 v54, 8, v62
	v_bfe_i32 v55, v62, 0, 8
	v_perm_b32 v56, v62, v62, 0x7060405
	v_lshrrev_b32_e32 v63, 8, v53
	v_perm_b32 v66, v53, v53, 0x7060405
	v_bfe_i32 v54, v54, 0, 8
	s_barrier_signal -1
	s_delay_alu instid0(VALU_DEP_3) | instskip(SKIP_1) | instid1(VALU_DEP_2)
	v_bfe_i32 v63, v63, 0, 8
	s_barrier_wait -1
	v_cmp_lt_i16_e64 s8, v54, v55
	global_inv scope:SCOPE_SE
	s_wait_alu 0xf1ff
	v_cndmask_b32_e64 v56, v62, v56, s8
	v_max_i16 v62, v54, v55
	v_min_i16 v54, v54, v55
	s_delay_alu instid0(VALU_DEP_3) | instskip(SKIP_1) | instid1(VALU_DEP_3)
	v_lshrrev_b32_e32 v57, 16, v56
	v_lshrrev_b32_e32 v59, 24, v56
	v_lshlrev_b16 v67, 8, v54
	s_delay_alu instid0(VALU_DEP_3) | instskip(NEXT) | instid1(VALU_DEP_3)
	v_perm_b32 v58, 0, v57, 0xc0c0001
	v_bfe_i32 v59, v59, 0, 8
	v_bfe_i32 v57, v57, 0, 8
	s_delay_alu instid0(VALU_DEP_3) | instskip(NEXT) | instid1(VALU_DEP_2)
	v_lshlrev_b32_e32 v58, 16, v58
	v_cmp_lt_i16_e64 s8, v59, v57
	v_min_i16 v60, v59, v57
	v_max_i16 v57, v59, v57
	s_delay_alu instid0(VALU_DEP_4) | instskip(NEXT) | instid1(VALU_DEP_3)
	v_and_or_b32 v58, 0xffff, v56, v58
	v_min_i16 v65, v60, v62
	v_cmp_lt_i16_e64 s9, v60, v54
	s_wait_alu 0xf1ff
	s_delay_alu instid0(VALU_DEP_3)
	v_cndmask_b32_e64 v56, v56, v58, s8
	v_lshlrev_b16 v58, 8, v60
	v_cmp_lt_i16_e64 s8, v60, v62
	v_and_b32_e32 v59, 0xff, v65
	v_cndmask_b32_e64 v72, v65, v54, s9
	v_and_b32_e32 v61, 0xff, v56
	v_cndmask_b32_e64 v54, v54, v65, s9
	s_delay_alu instid0(VALU_DEP_4) | instskip(NEXT) | instid1(VALU_DEP_3)
	v_or_b32_e32 v59, v59, v67
	v_or_b32_e32 v58, v61, v58
	v_perm_b32 v61, v62, v56, 0xc0c0304
	v_max_i16 v62, v60, v62
	s_delay_alu instid0(VALU_DEP_4) | instskip(NEXT) | instid1(VALU_DEP_4)
	v_and_b32_e32 v59, 0xffff, v59
	v_and_b32_e32 v58, 0xffff, v58
	s_delay_alu instid0(VALU_DEP_1) | instskip(SKIP_2) | instid1(VALU_DEP_2)
	v_lshl_or_b32 v58, v61, 16, v58
	v_bfe_i32 v61, v53, 0, 8
	s_wait_alu 0xf1ff
	v_cndmask_b32_e64 v56, v56, v58, s8
	s_delay_alu instid0(VALU_DEP_2) | instskip(SKIP_2) | instid1(VALU_DEP_4)
	v_min_i16 v58, v63, v61
	v_cmp_lt_i16_e64 s8, v63, v61
	v_max_i16 v61, v63, v61
	v_lshrrev_b32_e32 v64, 16, v56
	s_delay_alu instid0(VALU_DEP_4)
	v_lshlrev_b16 v55, 8, v58
	s_wait_alu 0xf1ff
	v_cndmask_b32_e64 v53, v53, v66, s8
	v_cmp_lt_i16_e64 s8, v58, v57
	v_lshlrev_b16 v66, 8, v62
	v_and_b32_e32 v64, 0xff, v64
	s_delay_alu instid0(VALU_DEP_4) | instskip(NEXT) | instid1(VALU_DEP_2)
	v_lshrrev_b32_e32 v67, 16, v53
	v_or_b32_e32 v55, v64, v55
	v_min_i16 v64, v58, v57
	s_delay_alu instid0(VALU_DEP_3) | instskip(NEXT) | instid1(VALU_DEP_3)
	v_bfe_i32 v67, v67, 0, 8
	v_lshlrev_b32_e32 v55, 16, v55
	s_delay_alu instid0(VALU_DEP_3) | instskip(NEXT) | instid1(VALU_DEP_2)
	v_and_b32_e32 v63, 0xff, v64
	v_and_or_b32 v55, 0xffff, v56, v55
	s_delay_alu instid0(VALU_DEP_2) | instskip(SKIP_2) | instid1(VALU_DEP_3)
	v_or_b32_e32 v63, v63, v66
	v_perm_b32 v66, v53, v53, 0x6070504
	s_wait_alu 0xf1ff
	v_cndmask_b32_e64 v55, v56, v55, s8
	v_lshrrev_b32_e32 v56, 24, v53
	v_lshlrev_b32_e32 v63, 16, v63
	s_delay_alu instid0(VALU_DEP_3) | instskip(NEXT) | instid1(VALU_DEP_3)
	v_and_or_b32 v59, 0xffff0000, v55, v59
	v_bfe_i32 v56, v56, 0, 8
	s_delay_alu instid0(VALU_DEP_2) | instskip(NEXT) | instid1(VALU_DEP_2)
	v_cndmask_b32_e64 v55, v55, v59, s9
	v_cmp_lt_i16_e64 s10, v56, v67
	v_and_b32_e32 v59, 0xff, v61
	s_delay_alu instid0(VALU_DEP_3) | instskip(SKIP_1) | instid1(VALU_DEP_3)
	v_and_or_b32 v60, 0xffff, v55, v63
	s_wait_alu 0xf1ff
	v_cndmask_b32_e64 v53, v53, v66, s10
	v_cmp_lt_i16_e64 s10, v64, v62
	v_min_i16 v66, v64, v62
	v_max_i16 v63, v56, v67
	v_min_i16 v56, v56, v67
	v_max_i16 v62, v64, v62
	s_wait_alu 0xf1ff
	v_cndmask_b32_e64 v55, v55, v60, s10
	v_lshlrev_b16 v67, 8, v66
	v_perm_b32 v60, v57, v53, 0x3020104
	v_max_i16 v70, v56, v61
	v_and_b32_e32 v71, 0xff, v63
	v_and_b32_e32 v68, 0xff, v55
	v_perm_b32 v64, v72, v55, 0xc0c0304
	v_cndmask_b32_e64 v53, v53, v60, s8
	v_lshlrev_b16 v74, 8, v70
	v_cmp_lt_i16_e64 s8, v66, v72
	v_or_b32_e32 v67, v68, v67
	v_max_i16 v57, v58, v57
	v_min_i16 v69, v56, v61
	v_lshlrev_b16 v58, 8, v56
	v_min_i16 v65, v66, v72
	v_and_b32_e32 v67, 0xffff, v67
	v_lshlrev_b16 v73, 8, v57
	v_min_i16 v76, v69, v57
	v_and_b32_e32 v68, 0xff, v69
	v_max_i16 v66, v66, v72
	v_lshl_or_b32 v64, v64, 16, v67
	v_or_b32_e32 v67, v71, v74
	v_lshrrev_b32_e32 v71, 16, v53
	v_and_b32_e32 v74, 0xff, v53
	v_lshlrev_b16 v60, 8, v76
	s_wait_alu 0xf1ff
	v_cndmask_b32_e64 v55, v55, v64, s8
	v_or_b32_e32 v68, v68, v73
	v_and_b32_e32 v71, 0xffffff00, v71
	v_or_b32_e32 v58, v74, v58
	v_cmp_lt_i16_e64 s8, v56, v61
	v_lshrrev_b32_e32 v77, 16, v55
	v_min_i16 v78, v76, v62
	v_or_b32_e32 v59, v59, v71
	v_and_b32_e32 v58, 0xffff, v58
	v_lshlrev_b16 v71, 8, v54
	v_and_b32_e32 v74, 0xff, v77
	v_and_b32_e32 v68, 0xffff, v68
	v_lshlrev_b32_e32 v59, 16, v59
	v_and_b32_e32 v72, 0xff, v78
	v_cmp_lt_i16_e64 s9, v69, v57
	v_or_b32_e32 v60, v74, v60
	v_and_b32_e32 v74, 0xff, v65
	v_or_b32_e32 v58, v58, v59
	v_max_i16 v75, v69, v57
	v_cmp_lt_i16_e64 s10, v78, v66
	v_lshlrev_b32_e32 v60, 16, v60
	v_or_b32_e32 v59, v74, v71
	s_wait_alu 0xf1ff
	v_cndmask_b32_e64 v53, v53, v58, s8
	v_cmp_lt_i16_e64 s8, v76, v62
	v_lshlrev_b16 v71, 8, v66
	v_and_or_b32 v60, 0xffff, v55, v60
	v_and_b32_e32 v56, 0xffff, v59
	v_lshlrev_b32_e32 v59, 16, v67
	v_and_b32_e32 v64, 0xff, v75
	v_or_b32_e32 v58, v72, v71
	s_wait_alu 0xf1ff
	v_cndmask_b32_e64 v55, v55, v60, s8
	v_and_or_b32 v60, 0xffff0000, v53, v68
	v_max_i16 v73, v76, v62
	v_lshlrev_b32_e32 v58, 16, v58
	s_delay_alu instid0(VALU_DEP_4) | instskip(NEXT) | instid1(VALU_DEP_4)
	v_and_or_b32 v56, 0xffff0000, v55, v56
	v_cndmask_b32_e64 v53, v53, v60, s9
	v_cmp_lt_i16_e64 s9, v65, v54
	v_min_i16 v60, v78, v66
	v_lshlrev_b16 v67, 8, v73
	s_delay_alu instid0(VALU_DEP_4)
	v_and_or_b32 v57, 0xffff, v53, v59
	s_wait_alu 0xf1ff
	v_cndmask_b32_e64 v55, v55, v56, s9
	v_cmp_gt_i16_e64 s9, v61, v63
	v_min_i16 v56, v65, v54
	v_max_i16 v54, v65, v54
	v_max_i16 v59, v78, v66
	v_and_or_b32 v58, 0xffff, v55, v58
	s_wait_alu 0xf1ff
	v_cndmask_b32_e64 v53, v53, v57, s9
	v_lshlrev_b16 v57, 8, v60
	v_cndmask_b32_e64 v68, v70, v63, s9
	v_cndmask_b32_e64 v63, v63, v70, s9
	;; [unrolled: 1-line block ×3, first 2 shown]
	v_perm_b32 v61, v62, v53, 0x3020104
	v_max_i16 v58, v60, v54
	v_min_i16 v74, v68, v75
	v_min_i16 v62, v60, v54
	v_and_b32_e32 v65, 0xff, v55
	v_cndmask_b32_e64 v53, v53, v61, s8
	v_perm_b32 v70, v54, v55, 0xc0c0304
	v_cmp_lt_i16_e64 s8, v60, v54
	v_max_i16 v71, v68, v75
	v_or_b32_e32 v57, v65, v57
	v_lshrrev_b32_e32 v69, 16, v53
	v_lshlrev_b16 v65, 8, v68
	v_and_b32_e32 v72, 0xff, v53
	v_lshlrev_b16 v66, 8, v56
	v_and_b32_e32 v57, 0xffff, v57
	v_and_b32_e32 v69, 0xffffff00, v69
	;; [unrolled: 1-line block ×3, first 2 shown]
	v_or_b32_e32 v65, v72, v65
	v_cmp_lt_i16_e64 s9, v63, v71
	v_lshl_or_b32 v57, v70, 16, v57
	v_or_b32_e32 v64, v64, v69
	v_and_b32_e32 v70, 0xff, v63
	v_or_b32_e32 v61, v61, v66
	s_wait_alu 0xf1ff
	v_cndmask_b32_e64 v54, v55, v57, s8
	v_and_b32_e32 v55, 0xff, v74
	v_and_b32_e32 v57, 0xffff, v65
	v_lshlrev_b32_e32 v64, 16, v64
	v_min_i16 v65, v74, v73
	v_lshrrev_b32_e32 v69, 16, v54
	v_or_b32_e32 v55, v55, v67
	v_cmp_lt_i16_e64 s8, v68, v75
	v_or_b32_e32 v57, v57, v64
	v_lshlrev_b16 v67, 8, v71
	v_lshlrev_b16 v64, 8, v65
	v_and_b32_e32 v69, 0xff, v69
	v_and_b32_e32 v55, 0xffff, v55
	s_wait_alu 0xf1ff
	v_cndmask_b32_e64 v53, v53, v57, s8
	v_or_b32_e32 v67, v70, v67
	v_cmp_lt_i16_e64 s8, v74, v73
	v_or_b32_e32 v64, v69, v64
	v_min_i16 v66, v65, v59
	v_and_or_b32 v55, 0xffff0000, v53, v55
	v_lshlrev_b32_e32 v67, 16, v67
	v_lshlrev_b16 v57, 8, v58
	v_lshlrev_b32_e32 v64, 16, v64
	v_max_i16 v68, v74, v73
	s_wait_alu 0xf1ff
	v_cndmask_b32_e64 v53, v53, v55, s8
	v_and_b32_e32 v55, 0xffff, v61
	v_cmp_lt_i16_e64 s8, v65, v59
	v_and_or_b32 v61, 0xffff, v54, v64
	v_and_b32_e32 v64, 0xff, v66
	v_and_or_b32 v67, 0xffff, v53, v67
	s_wait_alu 0xf1ff
	s_delay_alu instid0(VALU_DEP_3) | instskip(NEXT) | instid1(VALU_DEP_3)
	v_cndmask_b32_e64 v54, v54, v61, s8
	v_or_b32_e32 v57, v64, v57
	s_delay_alu instid0(VALU_DEP_3)
	v_cndmask_b32_e64 v53, v53, v67, s9
	v_cmp_lt_i16_e64 s9, v60, v56
	v_max_i16 v61, v63, v71
	v_and_or_b32 v55, 0xffff0000, v54, v55
	v_lshlrev_b32_e32 v57, 16, v57
	v_perm_b32 v64, v59, v53, 0x3020104
	v_min_i16 v63, v63, v71
	v_max_i16 v59, v65, v59
	s_wait_alu 0xf1ff
	v_cndmask_b32_e64 v54, v54, v55, s9
	v_and_b32_e32 v55, 0xff, v68
	v_cndmask_b32_e64 v53, v53, v64, s8
	v_cmp_lt_i16_e64 s8, v66, v58
	v_lshlrev_b16 v60, 8, v63
	v_and_or_b32 v57, 0xffff, v54, v57
	v_min_i16 v65, v66, v58
	v_lshrrev_b32_e32 v67, 16, v53
	v_and_b32_e32 v69, 0xff, v53
	v_cndmask_b32_e64 v56, v62, v56, s9
	s_wait_alu 0xf1ff
	v_cndmask_b32_e64 v54, v54, v57, s8
	v_min_i16 v57, v63, v68
	v_and_b32_e32 v67, 0xffffff00, v67
	v_lshlrev_b16 v70, 8, v65
	v_or_b32_e32 v60, v69, v60
	v_and_b32_e32 v71, 0xff, v54
	v_and_b32_e32 v72, 0xff, v57
	v_or_b32_e32 v55, v55, v67
	v_lshlrev_b16 v67, 8, v59
	v_and_b32_e32 v60, 0xffff, v60
	v_or_b32_e32 v62, v71, v70
	v_max_i16 v64, v63, v68
	v_lshlrev_b32_e32 v55, 16, v55
	v_perm_b32 v69, v56, v54, 0xc0c0304
	v_or_b32_e32 v67, v72, v67
	v_and_b32_e32 v62, 0xffff, v62
	v_cmp_lt_i16_e64 s8, v63, v68
	v_or_b32_e32 v55, v60, v55
	v_and_b32_e32 v70, 0xff, v61
	v_lshlrev_b16 v60, 8, v64
	v_lshl_or_b32 v62, v69, 16, v62
	v_and_b32_e32 v67, 0xffff, v67
	s_wait_alu 0xf1ff
	v_cndmask_b32_e64 v53, v53, v55, s8
	v_cmp_lt_i16_e64 s8, v65, v56
	v_or_b32_e32 v56, v70, v60
	v_min_i16 v55, v57, v59
	v_max_i16 v58, v66, v58
	v_and_or_b32 v60, 0xffff0000, v53, v67
	s_wait_alu 0xf1ff
	v_cndmask_b32_e64 v54, v54, v62, s8
	v_cmp_lt_i16_e64 s8, v57, v59
	v_lshlrev_b32_e32 v56, 16, v56
	v_lshlrev_b16 v63, 8, v55
	v_cmp_lt_i16_e64 s9, v55, v58
	v_lshrrev_b32_e32 v62, 16, v54
	s_wait_alu 0xf1ff
	v_cndmask_b32_e64 v53, v53, v60, s8
	v_cmp_gt_i16_e64 s8, v68, v61
	v_max_i16 v55, v57, v59
	v_and_b32_e32 v60, 0xff, v62
	s_delay_alu instid0(VALU_DEP_4) | instskip(NEXT) | instid1(VALU_DEP_2)
	v_and_or_b32 v56, 0xffff, v53, v56
	v_or_b32_e32 v60, v60, v63
	s_wait_alu 0xf1ff
	s_delay_alu instid0(VALU_DEP_2) | instskip(NEXT) | instid1(VALU_DEP_2)
	v_cndmask_b32_e64 v53, v53, v56, s8
	v_lshlrev_b32_e32 v56, 16, v60
	s_delay_alu instid0(VALU_DEP_2) | instskip(SKIP_1) | instid1(VALU_DEP_3)
	v_perm_b32 v60, v58, v53, 0x3020104
	v_and_b32_e32 v58, 0xff, v55
	v_and_or_b32 v56, 0xffff, v54, v56
	s_delay_alu instid0(VALU_DEP_3) | instskip(NEXT) | instid1(VALU_DEP_2)
	v_cndmask_b32_e64 v53, v53, v60, s9
	v_cndmask_b32_e64 v54, v54, v56, s9
	v_cndmask_b32_e64 v56, v64, v61, s8
	s_delay_alu instid0(VALU_DEP_3) | instskip(SKIP_1) | instid1(VALU_DEP_3)
	v_lshrrev_b32_e32 v57, 16, v53
	v_and_b32_e32 v60, 0xff, v53
	v_lshlrev_b16 v59, 8, v56
	s_delay_alu instid0(VALU_DEP_3) | instskip(SKIP_1) | instid1(VALU_DEP_3)
	v_and_b32_e32 v57, 0xffffff00, v57
	v_cmp_lt_i16_e64 s8, v56, v55
	v_or_b32_e32 v59, v60, v59
	s_delay_alu instid0(VALU_DEP_3) | instskip(NEXT) | instid1(VALU_DEP_2)
	v_or_b32_e32 v57, v58, v57
	v_and_b32_e32 v58, 0xffff, v59
	s_delay_alu instid0(VALU_DEP_2) | instskip(NEXT) | instid1(VALU_DEP_1)
	v_lshlrev_b32_e32 v57, 16, v57
	v_or_b32_e32 v57, v58, v57
	s_wait_alu 0xf1ff
	s_delay_alu instid0(VALU_DEP_1)
	v_cndmask_b32_e64 v55, v53, v57, s8
	v_mov_b32_e32 v53, v45
	ds_store_b64 v1, v[54:55]
	s_wait_loadcnt_dscnt 0x0
	s_barrier_signal -1
	s_barrier_wait -1
	global_inv scope:SCOPE_SE
	s_and_saveexec_b32 s9, s0
	s_cbranch_execz .LBB78_6
; %bb.3:                                ;   in Loop: Header=BB78_2 Depth=1
	v_dual_mov_b32 v53, v45 :: v_dual_mov_b32 v54, v37
	s_mov_b32 s10, 0
.LBB78_4:                               ;   Parent Loop BB78_2 Depth=1
                                        ; =>  This Inner Loop Header: Depth=2
	s_delay_alu instid0(VALU_DEP_1) | instskip(NEXT) | instid1(VALU_DEP_1)
	v_sub_nc_u32_e32 v55, v54, v53
	v_lshrrev_b32_e32 v55, 1, v55
	s_delay_alu instid0(VALU_DEP_1) | instskip(NEXT) | instid1(VALU_DEP_1)
	v_add_nc_u32_e32 v55, v55, v53
	v_add_nc_u32_e32 v56, v2, v55
	v_xad_u32 v57, v55, -1, v29
	v_add_nc_u32_e32 v58, 1, v55
	ds_load_i8 v56, v56
	ds_load_i8 v57, v57
	s_wait_dscnt 0x0
	v_cmp_lt_i16_e64 s8, v57, v56
	s_wait_alu 0xf1ff
	s_delay_alu instid0(VALU_DEP_1) | instskip(SKIP_1) | instid1(VALU_DEP_1)
	v_cndmask_b32_e64 v54, v54, v55, s8
	v_cndmask_b32_e64 v53, v58, v53, s8
	v_cmp_ge_i32_e64 s8, v53, v54
	s_wait_alu 0xfffe
	s_or_b32 s10, s8, s10
	s_wait_alu 0xfffe
	s_and_not1_b32 exec_lo, exec_lo, s10
	s_cbranch_execnz .LBB78_4
; %bb.5:                                ;   in Loop: Header=BB78_2 Depth=1
	s_or_b32 exec_lo, exec_lo, s10
.LBB78_6:                               ;   in Loop: Header=BB78_2 Depth=1
	s_wait_alu 0xfffe
	s_or_b32 exec_lo, exec_lo, s9
	v_add_nc_u32_e32 v58, v53, v2
	v_sub_nc_u32_e32 v57, v29, v53
                                        ; implicit-def: $vgpr55
	ds_load_u8 v53, v58
	ds_load_u8 v54, v57
	v_cmp_le_i32_e64 s8, v13, v58
	v_cmp_gt_i32_e64 s10, v14, v57
	s_wait_dscnt 0x1
	v_bfe_i32 v53, v53, 0, 8
	s_wait_dscnt 0x0
	v_bfe_i32 v54, v54, 0, 8
	s_delay_alu instid0(VALU_DEP_1)
	v_cmp_lt_i16_e64 s9, v54, v53
	s_or_b32 s8, s8, s9
	s_wait_alu 0xfffe
	s_and_b32 s8, s10, s8
	s_wait_alu 0xfffe
	s_xor_b32 s9, s8, -1
	s_wait_alu 0xfffe
	s_and_saveexec_b32 s10, s9
	s_wait_alu 0xfffe
	s_xor_b32 s9, exec_lo, s10
; %bb.7:                                ;   in Loop: Header=BB78_2 Depth=1
	ds_load_u8 v55, v58 offset:1
; %bb.8:                                ;   in Loop: Header=BB78_2 Depth=1
	s_wait_alu 0xfffe
	s_or_saveexec_b32 s9, s9
	v_mov_b32_e32 v56, v54
	s_wait_alu 0xfffe
	s_xor_b32 exec_lo, exec_lo, s9
	s_cbranch_execz .LBB78_10
; %bb.9:                                ;   in Loop: Header=BB78_2 Depth=1
	ds_load_u8 v56, v57 offset:1
	s_wait_dscnt 0x1
	v_mov_b32_e32 v55, v53
.LBB78_10:                              ;   in Loop: Header=BB78_2 Depth=1
	s_or_b32 exec_lo, exec_lo, s9
	v_add_nc_u32_e32 v59, 1, v58
	v_add_nc_u32_e32 v61, 1, v57
	s_wait_dscnt 0x0
	v_bfe_i32 v62, v55, 0, 8
	s_delay_alu instid0(VALU_DEP_3) | instskip(SKIP_2) | instid1(VALU_DEP_3)
	v_cndmask_b32_e64 v60, v59, v58, s8
	v_bfe_i32 v58, v56, 0, 8
	v_cndmask_b32_e64 v59, v57, v61, s8
                                        ; implicit-def: $vgpr57
	v_cmp_ge_i32_e64 s9, v60, v13
	s_delay_alu instid0(VALU_DEP_3) | instskip(NEXT) | instid1(VALU_DEP_3)
	v_cmp_lt_i16_e64 s10, v58, v62
	v_cmp_lt_i32_e64 s11, v59, v14
	s_or_b32 s9, s9, s10
	s_wait_alu 0xfffe
	s_and_b32 s9, s11, s9
	s_wait_alu 0xfffe
	s_xor_b32 s10, s9, -1
	s_wait_alu 0xfffe
	s_and_saveexec_b32 s11, s10
	s_wait_alu 0xfffe
	s_xor_b32 s10, exec_lo, s11
; %bb.11:                               ;   in Loop: Header=BB78_2 Depth=1
	ds_load_u8 v57, v60 offset:1
; %bb.12:                               ;   in Loop: Header=BB78_2 Depth=1
	s_wait_alu 0xfffe
	s_or_saveexec_b32 s10, s10
	v_mov_b32_e32 v58, v56
	s_wait_alu 0xfffe
	s_xor_b32 exec_lo, exec_lo, s10
	s_cbranch_execz .LBB78_14
; %bb.13:                               ;   in Loop: Header=BB78_2 Depth=1
	ds_load_u8 v58, v59 offset:1
	s_wait_dscnt 0x1
	v_mov_b32_e32 v57, v55
.LBB78_14:                              ;   in Loop: Header=BB78_2 Depth=1
	s_or_b32 exec_lo, exec_lo, s10
	v_add_nc_u32_e32 v61, 1, v60
	v_add_nc_u32_e32 v63, 1, v59
	s_wait_dscnt 0x0
	v_bfe_i32 v64, v57, 0, 8
	s_delay_alu instid0(VALU_DEP_3) | instskip(SKIP_2) | instid1(VALU_DEP_3)
	v_cndmask_b32_e64 v62, v61, v60, s9
	v_bfe_i32 v60, v58, 0, 8
	v_cndmask_b32_e64 v61, v59, v63, s9
                                        ; implicit-def: $vgpr59
	v_cmp_ge_i32_e64 s10, v62, v13
	s_delay_alu instid0(VALU_DEP_3) | instskip(NEXT) | instid1(VALU_DEP_3)
	v_cmp_lt_i16_e64 s11, v60, v64
	v_cmp_lt_i32_e64 s12, v61, v14
	s_or_b32 s10, s10, s11
	s_wait_alu 0xfffe
	s_and_b32 s10, s12, s10
	s_wait_alu 0xfffe
	s_xor_b32 s11, s10, -1
	s_wait_alu 0xfffe
	s_and_saveexec_b32 s12, s11
	s_wait_alu 0xfffe
	s_xor_b32 s11, exec_lo, s12
; %bb.15:                               ;   in Loop: Header=BB78_2 Depth=1
	ds_load_u8 v59, v62 offset:1
; %bb.16:                               ;   in Loop: Header=BB78_2 Depth=1
	s_wait_alu 0xfffe
	s_or_saveexec_b32 s11, s11
	v_mov_b32_e32 v60, v58
	s_wait_alu 0xfffe
	s_xor_b32 exec_lo, exec_lo, s11
	s_cbranch_execz .LBB78_18
; %bb.17:                               ;   in Loop: Header=BB78_2 Depth=1
	ds_load_u8 v60, v61 offset:1
	s_wait_dscnt 0x1
	v_mov_b32_e32 v59, v57
.LBB78_18:                              ;   in Loop: Header=BB78_2 Depth=1
	s_or_b32 exec_lo, exec_lo, s11
	v_add_nc_u32_e32 v63, 1, v62
	v_add_nc_u32_e32 v65, 1, v61
	s_wait_dscnt 0x0
	v_bfe_i32 v66, v59, 0, 8
	s_delay_alu instid0(VALU_DEP_3) | instskip(SKIP_2) | instid1(VALU_DEP_3)
	v_cndmask_b32_e64 v64, v63, v62, s10
	v_bfe_i32 v62, v60, 0, 8
	v_cndmask_b32_e64 v63, v61, v65, s10
                                        ; implicit-def: $vgpr61
	v_cmp_ge_i32_e64 s11, v64, v13
	s_delay_alu instid0(VALU_DEP_3) | instskip(NEXT) | instid1(VALU_DEP_3)
	v_cmp_lt_i16_e64 s12, v62, v66
	v_cmp_lt_i32_e64 s13, v63, v14
	s_or_b32 s11, s11, s12
	s_wait_alu 0xfffe
	s_and_b32 s11, s13, s11
	s_wait_alu 0xfffe
	s_xor_b32 s12, s11, -1
	s_wait_alu 0xfffe
	s_and_saveexec_b32 s13, s12
	s_wait_alu 0xfffe
	s_xor_b32 s12, exec_lo, s13
; %bb.19:                               ;   in Loop: Header=BB78_2 Depth=1
	ds_load_u8 v61, v64 offset:1
; %bb.20:                               ;   in Loop: Header=BB78_2 Depth=1
	s_wait_alu 0xfffe
	s_or_saveexec_b32 s12, s12
	v_mov_b32_e32 v62, v60
	s_wait_alu 0xfffe
	s_xor_b32 exec_lo, exec_lo, s12
	s_cbranch_execz .LBB78_22
; %bb.21:                               ;   in Loop: Header=BB78_2 Depth=1
	ds_load_u8 v62, v63 offset:1
	s_wait_dscnt 0x1
	v_mov_b32_e32 v61, v59
.LBB78_22:                              ;   in Loop: Header=BB78_2 Depth=1
	s_or_b32 exec_lo, exec_lo, s12
	v_add_nc_u32_e32 v65, 1, v64
	v_add_nc_u32_e32 v67, 1, v63
	s_wait_dscnt 0x0
	v_bfe_i32 v68, v61, 0, 8
	s_delay_alu instid0(VALU_DEP_3) | instskip(SKIP_2) | instid1(VALU_DEP_3)
	v_cndmask_b32_e64 v66, v65, v64, s11
	v_bfe_i32 v64, v62, 0, 8
	v_cndmask_b32_e64 v65, v63, v67, s11
                                        ; implicit-def: $vgpr63
	v_cmp_ge_i32_e64 s12, v66, v13
	s_delay_alu instid0(VALU_DEP_3) | instskip(NEXT) | instid1(VALU_DEP_3)
	v_cmp_lt_i16_e64 s13, v64, v68
	v_cmp_lt_i32_e64 s14, v65, v14
	s_or_b32 s12, s12, s13
	s_wait_alu 0xfffe
	s_and_b32 s12, s14, s12
	s_wait_alu 0xfffe
	s_xor_b32 s13, s12, -1
	s_wait_alu 0xfffe
	s_and_saveexec_b32 s14, s13
	s_wait_alu 0xfffe
	s_xor_b32 s13, exec_lo, s14
; %bb.23:                               ;   in Loop: Header=BB78_2 Depth=1
	ds_load_u8 v63, v66 offset:1
; %bb.24:                               ;   in Loop: Header=BB78_2 Depth=1
	s_wait_alu 0xfffe
	s_or_saveexec_b32 s13, s13
	v_mov_b32_e32 v64, v62
	s_wait_alu 0xfffe
	s_xor_b32 exec_lo, exec_lo, s13
	s_cbranch_execz .LBB78_26
; %bb.25:                               ;   in Loop: Header=BB78_2 Depth=1
	ds_load_u8 v64, v65 offset:1
	s_wait_dscnt 0x1
	v_mov_b32_e32 v63, v61
.LBB78_26:                              ;   in Loop: Header=BB78_2 Depth=1
	s_or_b32 exec_lo, exec_lo, s13
	v_add_nc_u32_e32 v67, 1, v66
	v_add_nc_u32_e32 v69, 1, v65
	s_wait_dscnt 0x0
	v_bfe_i32 v70, v63, 0, 8
	s_delay_alu instid0(VALU_DEP_3) | instskip(SKIP_2) | instid1(VALU_DEP_3)
	v_cndmask_b32_e64 v68, v67, v66, s12
	v_bfe_i32 v66, v64, 0, 8
	v_cndmask_b32_e64 v67, v65, v69, s12
                                        ; implicit-def: $vgpr65
	v_cmp_ge_i32_e64 s13, v68, v13
	s_delay_alu instid0(VALU_DEP_3) | instskip(NEXT) | instid1(VALU_DEP_3)
	v_cmp_lt_i16_e64 s14, v66, v70
	v_cmp_lt_i32_e64 s15, v67, v14
	s_or_b32 s13, s13, s14
	s_wait_alu 0xfffe
	s_and_b32 s13, s15, s13
	s_wait_alu 0xfffe
	s_xor_b32 s14, s13, -1
	s_wait_alu 0xfffe
	s_and_saveexec_b32 s15, s14
	s_wait_alu 0xfffe
	s_xor_b32 s14, exec_lo, s15
; %bb.27:                               ;   in Loop: Header=BB78_2 Depth=1
	ds_load_u8 v65, v68 offset:1
; %bb.28:                               ;   in Loop: Header=BB78_2 Depth=1
	s_wait_alu 0xfffe
	s_or_saveexec_b32 s14, s14
	v_mov_b32_e32 v66, v64
	s_wait_alu 0xfffe
	s_xor_b32 exec_lo, exec_lo, s14
	s_cbranch_execz .LBB78_30
; %bb.29:                               ;   in Loop: Header=BB78_2 Depth=1
	ds_load_u8 v66, v67 offset:1
	s_wait_dscnt 0x1
	v_mov_b32_e32 v65, v63
.LBB78_30:                              ;   in Loop: Header=BB78_2 Depth=1
	s_or_b32 exec_lo, exec_lo, s14
	v_add_nc_u32_e32 v69, 1, v68
	v_add_nc_u32_e32 v70, 1, v67
	s_wait_dscnt 0x0
	v_bfe_i32 v71, v65, 0, 8
	v_bfe_i32 v72, v66, 0, 8
	v_cndmask_b32_e64 v69, v69, v68, s13
	v_cndmask_b32_e64 v68, v67, v70, s13
                                        ; implicit-def: $vgpr67
	s_delay_alu instid0(VALU_DEP_3) | instskip(NEXT) | instid1(VALU_DEP_3)
	v_cmp_lt_i16_e64 s15, v72, v71
	v_cmp_ge_i32_e64 s14, v69, v13
	s_delay_alu instid0(VALU_DEP_3)
	v_cmp_lt_i32_e64 s16, v68, v14
	s_or_b32 s14, s14, s15
	s_wait_alu 0xfffe
	s_and_b32 s14, s16, s14
	s_wait_alu 0xfffe
	s_xor_b32 s15, s14, -1
	s_wait_alu 0xfffe
	s_and_saveexec_b32 s16, s15
	s_delay_alu instid0(SALU_CYCLE_1)
	s_xor_b32 s15, exec_lo, s16
; %bb.31:                               ;   in Loop: Header=BB78_2 Depth=1
	ds_load_u8 v67, v69 offset:1
; %bb.32:                               ;   in Loop: Header=BB78_2 Depth=1
	s_wait_alu 0xfffe
	s_or_saveexec_b32 s15, s15
	v_mov_b32_e32 v70, v66
	s_wait_alu 0xfffe
	s_xor_b32 exec_lo, exec_lo, s15
	s_cbranch_execz .LBB78_34
; %bb.33:                               ;   in Loop: Header=BB78_2 Depth=1
	ds_load_u8 v70, v68 offset:1
	s_wait_dscnt 0x1
	v_mov_b32_e32 v67, v65
.LBB78_34:                              ;   in Loop: Header=BB78_2 Depth=1
	s_or_b32 exec_lo, exec_lo, s15
	v_cndmask_b32_e64 v59, v59, v60, s11
	v_cndmask_b32_e64 v55, v55, v56, s9
	;; [unrolled: 1-line block ×4, first 2 shown]
	v_add_nc_u32_e32 v71, 1, v69
	v_lshlrev_b16 v57, 8, v59
	v_lshlrev_b16 v55, 8, v55
	v_and_b32_e32 v53, 0xff, v53
	v_and_b32_e32 v54, 0xff, v54
	v_cndmask_b32_e64 v65, v65, v66, s14
	v_add_nc_u32_e32 v66, 1, v68
	s_wait_dscnt 0x0
	v_bfe_i32 v72, v67, 0, 8
	v_or_b32_e32 v53, v53, v55
	v_or_b32_e32 v54, v54, v57
	v_bfe_i32 v73, v70, 0, 8
	v_cndmask_b32_e64 v69, v71, v69, s14
	v_cndmask_b32_e64 v63, v63, v64, s13
	v_and_b32_e32 v53, 0xffff, v53
	v_lshlrev_b32_e32 v54, 16, v54
	v_cndmask_b32_e64 v61, v61, v62, s12
	v_cmp_lt_i16_e64 s12, v73, v72
	v_cmp_ge_i32_e64 s13, v69, v13
	v_lshlrev_b16 v58, 8, v63
	v_or_b32_e32 v54, v53, v54
	v_mov_b32_e32 v53, v46
	v_cndmask_b32_e64 v64, v68, v66, s14
	s_or_b32 s8, s13, s12
	v_and_b32_e32 v59, 0xff, v61
	v_and_b32_e32 v60, 0xff, v65
	s_wait_loadcnt 0x0
	v_cmp_lt_i32_e64 s11, v64, v14
	s_barrier_signal -1
	v_or_b32_e32 v55, v59, v58
	s_barrier_wait -1
	global_inv scope:SCOPE_SE
	s_wait_alu 0xfffe
	s_and_b32 s8, s11, s8
	s_wait_alu 0xfffe
	v_cndmask_b32_e64 v56, v67, v70, s8
	v_and_b32_e32 v55, 0xffff, v55
	s_delay_alu instid0(VALU_DEP_2) | instskip(NEXT) | instid1(VALU_DEP_1)
	v_lshlrev_b16 v56, 8, v56
	v_or_b32_e32 v56, v60, v56
	s_delay_alu instid0(VALU_DEP_1) | instskip(NEXT) | instid1(VALU_DEP_1)
	v_lshlrev_b32_e32 v56, 16, v56
	v_or_b32_e32 v55, v55, v56
	ds_store_b64 v1, v[54:55]
	s_wait_loadcnt_dscnt 0x0
	s_barrier_signal -1
	s_barrier_wait -1
	global_inv scope:SCOPE_SE
	s_and_saveexec_b32 s9, s1
	s_cbranch_execz .LBB78_38
; %bb.35:                               ;   in Loop: Header=BB78_2 Depth=1
	v_dual_mov_b32 v53, v46 :: v_dual_mov_b32 v54, v38
	s_mov_b32 s10, 0
.LBB78_36:                              ;   Parent Loop BB78_2 Depth=1
                                        ; =>  This Inner Loop Header: Depth=2
	s_delay_alu instid0(VALU_DEP_1) | instskip(NEXT) | instid1(VALU_DEP_1)
	v_sub_nc_u32_e32 v55, v54, v53
	v_lshrrev_b32_e32 v55, 1, v55
	s_delay_alu instid0(VALU_DEP_1) | instskip(NEXT) | instid1(VALU_DEP_1)
	v_add_nc_u32_e32 v55, v55, v53
	v_add_nc_u32_e32 v56, v3, v55
	v_xad_u32 v57, v55, -1, v30
	v_add_nc_u32_e32 v58, 1, v55
	ds_load_i8 v56, v56
	ds_load_i8 v57, v57
	s_wait_dscnt 0x0
	v_cmp_lt_i16_e64 s8, v57, v56
	s_wait_alu 0xf1ff
	s_delay_alu instid0(VALU_DEP_1) | instskip(SKIP_1) | instid1(VALU_DEP_1)
	v_cndmask_b32_e64 v54, v54, v55, s8
	v_cndmask_b32_e64 v53, v58, v53, s8
	v_cmp_ge_i32_e64 s8, v53, v54
	s_wait_alu 0xfffe
	s_or_b32 s10, s8, s10
	s_wait_alu 0xfffe
	s_and_not1_b32 exec_lo, exec_lo, s10
	s_cbranch_execnz .LBB78_36
; %bb.37:                               ;   in Loop: Header=BB78_2 Depth=1
	s_or_b32 exec_lo, exec_lo, s10
.LBB78_38:                              ;   in Loop: Header=BB78_2 Depth=1
	s_wait_alu 0xfffe
	s_or_b32 exec_lo, exec_lo, s9
	v_add_nc_u32_e32 v58, v53, v3
	v_sub_nc_u32_e32 v57, v30, v53
                                        ; implicit-def: $vgpr55
	ds_load_u8 v53, v58
	ds_load_u8 v54, v57
	v_cmp_le_i32_e64 s8, v15, v58
	v_cmp_gt_i32_e64 s10, v16, v57
	s_wait_dscnt 0x1
	v_bfe_i32 v53, v53, 0, 8
	s_wait_dscnt 0x0
	v_bfe_i32 v54, v54, 0, 8
	s_delay_alu instid0(VALU_DEP_1)
	v_cmp_lt_i16_e64 s9, v54, v53
	s_or_b32 s8, s8, s9
	s_wait_alu 0xfffe
	s_and_b32 s8, s10, s8
	s_wait_alu 0xfffe
	s_xor_b32 s9, s8, -1
	s_wait_alu 0xfffe
	s_and_saveexec_b32 s10, s9
	s_wait_alu 0xfffe
	s_xor_b32 s9, exec_lo, s10
; %bb.39:                               ;   in Loop: Header=BB78_2 Depth=1
	ds_load_u8 v55, v58 offset:1
; %bb.40:                               ;   in Loop: Header=BB78_2 Depth=1
	s_wait_alu 0xfffe
	s_or_saveexec_b32 s9, s9
	v_mov_b32_e32 v56, v54
	s_wait_alu 0xfffe
	s_xor_b32 exec_lo, exec_lo, s9
	s_cbranch_execz .LBB78_42
; %bb.41:                               ;   in Loop: Header=BB78_2 Depth=1
	ds_load_u8 v56, v57 offset:1
	s_wait_dscnt 0x1
	v_mov_b32_e32 v55, v53
.LBB78_42:                              ;   in Loop: Header=BB78_2 Depth=1
	s_or_b32 exec_lo, exec_lo, s9
	v_add_nc_u32_e32 v59, 1, v58
	v_add_nc_u32_e32 v61, 1, v57
	s_wait_dscnt 0x0
	v_bfe_i32 v62, v55, 0, 8
	s_delay_alu instid0(VALU_DEP_3) | instskip(SKIP_2) | instid1(VALU_DEP_3)
	v_cndmask_b32_e64 v60, v59, v58, s8
	v_bfe_i32 v58, v56, 0, 8
	v_cndmask_b32_e64 v59, v57, v61, s8
                                        ; implicit-def: $vgpr57
	v_cmp_ge_i32_e64 s9, v60, v15
	s_delay_alu instid0(VALU_DEP_3) | instskip(NEXT) | instid1(VALU_DEP_3)
	v_cmp_lt_i16_e64 s10, v58, v62
	v_cmp_lt_i32_e64 s11, v59, v16
	s_or_b32 s9, s9, s10
	s_wait_alu 0xfffe
	s_and_b32 s9, s11, s9
	s_wait_alu 0xfffe
	s_xor_b32 s10, s9, -1
	s_wait_alu 0xfffe
	s_and_saveexec_b32 s11, s10
	s_wait_alu 0xfffe
	s_xor_b32 s10, exec_lo, s11
; %bb.43:                               ;   in Loop: Header=BB78_2 Depth=1
	ds_load_u8 v57, v60 offset:1
; %bb.44:                               ;   in Loop: Header=BB78_2 Depth=1
	s_wait_alu 0xfffe
	s_or_saveexec_b32 s10, s10
	v_mov_b32_e32 v58, v56
	s_wait_alu 0xfffe
	s_xor_b32 exec_lo, exec_lo, s10
	s_cbranch_execz .LBB78_46
; %bb.45:                               ;   in Loop: Header=BB78_2 Depth=1
	ds_load_u8 v58, v59 offset:1
	s_wait_dscnt 0x1
	v_mov_b32_e32 v57, v55
.LBB78_46:                              ;   in Loop: Header=BB78_2 Depth=1
	s_or_b32 exec_lo, exec_lo, s10
	v_add_nc_u32_e32 v61, 1, v60
	v_add_nc_u32_e32 v63, 1, v59
	s_wait_dscnt 0x0
	v_bfe_i32 v64, v57, 0, 8
	s_delay_alu instid0(VALU_DEP_3) | instskip(SKIP_2) | instid1(VALU_DEP_3)
	v_cndmask_b32_e64 v62, v61, v60, s9
	v_bfe_i32 v60, v58, 0, 8
	v_cndmask_b32_e64 v61, v59, v63, s9
                                        ; implicit-def: $vgpr59
	v_cmp_ge_i32_e64 s10, v62, v15
	s_delay_alu instid0(VALU_DEP_3) | instskip(NEXT) | instid1(VALU_DEP_3)
	v_cmp_lt_i16_e64 s11, v60, v64
	v_cmp_lt_i32_e64 s12, v61, v16
	s_or_b32 s10, s10, s11
	s_wait_alu 0xfffe
	s_and_b32 s10, s12, s10
	s_wait_alu 0xfffe
	s_xor_b32 s11, s10, -1
	s_wait_alu 0xfffe
	s_and_saveexec_b32 s12, s11
	s_wait_alu 0xfffe
	s_xor_b32 s11, exec_lo, s12
; %bb.47:                               ;   in Loop: Header=BB78_2 Depth=1
	ds_load_u8 v59, v62 offset:1
; %bb.48:                               ;   in Loop: Header=BB78_2 Depth=1
	s_wait_alu 0xfffe
	s_or_saveexec_b32 s11, s11
	v_mov_b32_e32 v60, v58
	s_wait_alu 0xfffe
	s_xor_b32 exec_lo, exec_lo, s11
	s_cbranch_execz .LBB78_50
; %bb.49:                               ;   in Loop: Header=BB78_2 Depth=1
	ds_load_u8 v60, v61 offset:1
	s_wait_dscnt 0x1
	v_mov_b32_e32 v59, v57
.LBB78_50:                              ;   in Loop: Header=BB78_2 Depth=1
	s_or_b32 exec_lo, exec_lo, s11
	v_add_nc_u32_e32 v63, 1, v62
	v_add_nc_u32_e32 v65, 1, v61
	s_wait_dscnt 0x0
	v_bfe_i32 v66, v59, 0, 8
	s_delay_alu instid0(VALU_DEP_3) | instskip(SKIP_2) | instid1(VALU_DEP_3)
	v_cndmask_b32_e64 v64, v63, v62, s10
	v_bfe_i32 v62, v60, 0, 8
	v_cndmask_b32_e64 v63, v61, v65, s10
                                        ; implicit-def: $vgpr61
	v_cmp_ge_i32_e64 s11, v64, v15
	s_delay_alu instid0(VALU_DEP_3) | instskip(NEXT) | instid1(VALU_DEP_3)
	v_cmp_lt_i16_e64 s12, v62, v66
	v_cmp_lt_i32_e64 s13, v63, v16
	s_or_b32 s11, s11, s12
	s_wait_alu 0xfffe
	s_and_b32 s11, s13, s11
	s_wait_alu 0xfffe
	s_xor_b32 s12, s11, -1
	s_wait_alu 0xfffe
	s_and_saveexec_b32 s13, s12
	s_wait_alu 0xfffe
	s_xor_b32 s12, exec_lo, s13
; %bb.51:                               ;   in Loop: Header=BB78_2 Depth=1
	ds_load_u8 v61, v64 offset:1
; %bb.52:                               ;   in Loop: Header=BB78_2 Depth=1
	s_wait_alu 0xfffe
	s_or_saveexec_b32 s12, s12
	v_mov_b32_e32 v62, v60
	s_wait_alu 0xfffe
	s_xor_b32 exec_lo, exec_lo, s12
	s_cbranch_execz .LBB78_54
; %bb.53:                               ;   in Loop: Header=BB78_2 Depth=1
	ds_load_u8 v62, v63 offset:1
	s_wait_dscnt 0x1
	v_mov_b32_e32 v61, v59
.LBB78_54:                              ;   in Loop: Header=BB78_2 Depth=1
	s_or_b32 exec_lo, exec_lo, s12
	v_add_nc_u32_e32 v65, 1, v64
	v_add_nc_u32_e32 v67, 1, v63
	s_wait_dscnt 0x0
	v_bfe_i32 v68, v61, 0, 8
	s_delay_alu instid0(VALU_DEP_3) | instskip(SKIP_2) | instid1(VALU_DEP_3)
	v_cndmask_b32_e64 v66, v65, v64, s11
	v_bfe_i32 v64, v62, 0, 8
	v_cndmask_b32_e64 v65, v63, v67, s11
                                        ; implicit-def: $vgpr63
	v_cmp_ge_i32_e64 s12, v66, v15
	s_delay_alu instid0(VALU_DEP_3) | instskip(NEXT) | instid1(VALU_DEP_3)
	v_cmp_lt_i16_e64 s13, v64, v68
	v_cmp_lt_i32_e64 s14, v65, v16
	s_or_b32 s12, s12, s13
	s_wait_alu 0xfffe
	s_and_b32 s12, s14, s12
	s_wait_alu 0xfffe
	s_xor_b32 s13, s12, -1
	s_wait_alu 0xfffe
	s_and_saveexec_b32 s14, s13
	s_wait_alu 0xfffe
	s_xor_b32 s13, exec_lo, s14
; %bb.55:                               ;   in Loop: Header=BB78_2 Depth=1
	ds_load_u8 v63, v66 offset:1
; %bb.56:                               ;   in Loop: Header=BB78_2 Depth=1
	s_wait_alu 0xfffe
	s_or_saveexec_b32 s13, s13
	v_mov_b32_e32 v64, v62
	s_wait_alu 0xfffe
	s_xor_b32 exec_lo, exec_lo, s13
	s_cbranch_execz .LBB78_58
; %bb.57:                               ;   in Loop: Header=BB78_2 Depth=1
	ds_load_u8 v64, v65 offset:1
	s_wait_dscnt 0x1
	v_mov_b32_e32 v63, v61
.LBB78_58:                              ;   in Loop: Header=BB78_2 Depth=1
	s_or_b32 exec_lo, exec_lo, s13
	v_add_nc_u32_e32 v67, 1, v66
	v_add_nc_u32_e32 v69, 1, v65
	s_wait_dscnt 0x0
	v_bfe_i32 v70, v63, 0, 8
	s_delay_alu instid0(VALU_DEP_3) | instskip(SKIP_2) | instid1(VALU_DEP_3)
	v_cndmask_b32_e64 v68, v67, v66, s12
	v_bfe_i32 v66, v64, 0, 8
	v_cndmask_b32_e64 v67, v65, v69, s12
                                        ; implicit-def: $vgpr65
	v_cmp_ge_i32_e64 s13, v68, v15
	s_delay_alu instid0(VALU_DEP_3) | instskip(NEXT) | instid1(VALU_DEP_3)
	v_cmp_lt_i16_e64 s14, v66, v70
	v_cmp_lt_i32_e64 s15, v67, v16
	s_or_b32 s13, s13, s14
	s_wait_alu 0xfffe
	s_and_b32 s13, s15, s13
	s_wait_alu 0xfffe
	s_xor_b32 s14, s13, -1
	s_wait_alu 0xfffe
	s_and_saveexec_b32 s15, s14
	s_wait_alu 0xfffe
	s_xor_b32 s14, exec_lo, s15
; %bb.59:                               ;   in Loop: Header=BB78_2 Depth=1
	ds_load_u8 v65, v68 offset:1
; %bb.60:                               ;   in Loop: Header=BB78_2 Depth=1
	s_wait_alu 0xfffe
	s_or_saveexec_b32 s14, s14
	v_mov_b32_e32 v66, v64
	s_wait_alu 0xfffe
	s_xor_b32 exec_lo, exec_lo, s14
	s_cbranch_execz .LBB78_62
; %bb.61:                               ;   in Loop: Header=BB78_2 Depth=1
	ds_load_u8 v66, v67 offset:1
	s_wait_dscnt 0x1
	v_mov_b32_e32 v65, v63
.LBB78_62:                              ;   in Loop: Header=BB78_2 Depth=1
	s_or_b32 exec_lo, exec_lo, s14
	v_add_nc_u32_e32 v69, 1, v68
	v_add_nc_u32_e32 v70, 1, v67
	s_wait_dscnt 0x0
	v_bfe_i32 v71, v65, 0, 8
	v_bfe_i32 v72, v66, 0, 8
	v_cndmask_b32_e64 v69, v69, v68, s13
	v_cndmask_b32_e64 v68, v67, v70, s13
                                        ; implicit-def: $vgpr67
	s_delay_alu instid0(VALU_DEP_3) | instskip(NEXT) | instid1(VALU_DEP_3)
	v_cmp_lt_i16_e64 s15, v72, v71
	v_cmp_ge_i32_e64 s14, v69, v15
	s_delay_alu instid0(VALU_DEP_3)
	v_cmp_lt_i32_e64 s16, v68, v16
	s_or_b32 s14, s14, s15
	s_wait_alu 0xfffe
	s_and_b32 s14, s16, s14
	s_wait_alu 0xfffe
	s_xor_b32 s15, s14, -1
	s_wait_alu 0xfffe
	s_and_saveexec_b32 s16, s15
	s_delay_alu instid0(SALU_CYCLE_1)
	s_xor_b32 s15, exec_lo, s16
; %bb.63:                               ;   in Loop: Header=BB78_2 Depth=1
	ds_load_u8 v67, v69 offset:1
; %bb.64:                               ;   in Loop: Header=BB78_2 Depth=1
	s_wait_alu 0xfffe
	s_or_saveexec_b32 s15, s15
	v_mov_b32_e32 v70, v66
	s_wait_alu 0xfffe
	s_xor_b32 exec_lo, exec_lo, s15
	s_cbranch_execz .LBB78_66
; %bb.65:                               ;   in Loop: Header=BB78_2 Depth=1
	ds_load_u8 v70, v68 offset:1
	s_wait_dscnt 0x1
	v_mov_b32_e32 v67, v65
.LBB78_66:                              ;   in Loop: Header=BB78_2 Depth=1
	s_or_b32 exec_lo, exec_lo, s15
	v_cndmask_b32_e64 v59, v59, v60, s11
	v_cndmask_b32_e64 v55, v55, v56, s9
	;; [unrolled: 1-line block ×4, first 2 shown]
	v_add_nc_u32_e32 v71, 1, v69
	v_lshlrev_b16 v57, 8, v59
	v_lshlrev_b16 v55, 8, v55
	v_and_b32_e32 v53, 0xff, v53
	v_and_b32_e32 v54, 0xff, v54
	v_cndmask_b32_e64 v65, v65, v66, s14
	v_add_nc_u32_e32 v66, 1, v68
	s_wait_dscnt 0x0
	v_bfe_i32 v72, v67, 0, 8
	v_or_b32_e32 v53, v53, v55
	v_or_b32_e32 v54, v54, v57
	v_bfe_i32 v73, v70, 0, 8
	v_cndmask_b32_e64 v69, v71, v69, s14
	v_cndmask_b32_e64 v63, v63, v64, s13
	v_and_b32_e32 v53, 0xffff, v53
	v_lshlrev_b32_e32 v54, 16, v54
	v_cndmask_b32_e64 v61, v61, v62, s12
	v_cmp_lt_i16_e64 s12, v73, v72
	v_cmp_ge_i32_e64 s13, v69, v15
	v_lshlrev_b16 v58, 8, v63
	v_or_b32_e32 v54, v53, v54
	v_mov_b32_e32 v53, v47
	v_cndmask_b32_e64 v64, v68, v66, s14
	s_or_b32 s8, s13, s12
	v_and_b32_e32 v59, 0xff, v61
	v_and_b32_e32 v60, 0xff, v65
	s_wait_loadcnt 0x0
	v_cmp_lt_i32_e64 s11, v64, v16
	s_barrier_signal -1
	v_or_b32_e32 v55, v59, v58
	s_barrier_wait -1
	global_inv scope:SCOPE_SE
	s_wait_alu 0xfffe
	s_and_b32 s8, s11, s8
	s_wait_alu 0xfffe
	v_cndmask_b32_e64 v56, v67, v70, s8
	v_and_b32_e32 v55, 0xffff, v55
	s_delay_alu instid0(VALU_DEP_2) | instskip(NEXT) | instid1(VALU_DEP_1)
	v_lshlrev_b16 v56, 8, v56
	v_or_b32_e32 v56, v60, v56
	s_delay_alu instid0(VALU_DEP_1) | instskip(NEXT) | instid1(VALU_DEP_1)
	v_lshlrev_b32_e32 v56, 16, v56
	v_or_b32_e32 v55, v55, v56
	ds_store_b64 v1, v[54:55]
	s_wait_loadcnt_dscnt 0x0
	s_barrier_signal -1
	s_barrier_wait -1
	global_inv scope:SCOPE_SE
	s_and_saveexec_b32 s9, s2
	s_cbranch_execz .LBB78_70
; %bb.67:                               ;   in Loop: Header=BB78_2 Depth=1
	v_dual_mov_b32 v53, v47 :: v_dual_mov_b32 v54, v39
	s_mov_b32 s10, 0
.LBB78_68:                              ;   Parent Loop BB78_2 Depth=1
                                        ; =>  This Inner Loop Header: Depth=2
	s_delay_alu instid0(VALU_DEP_1) | instskip(NEXT) | instid1(VALU_DEP_1)
	v_sub_nc_u32_e32 v55, v54, v53
	v_lshrrev_b32_e32 v55, 1, v55
	s_delay_alu instid0(VALU_DEP_1) | instskip(NEXT) | instid1(VALU_DEP_1)
	v_add_nc_u32_e32 v55, v55, v53
	v_add_nc_u32_e32 v56, v4, v55
	v_xad_u32 v57, v55, -1, v31
	v_add_nc_u32_e32 v58, 1, v55
	ds_load_i8 v56, v56
	ds_load_i8 v57, v57
	s_wait_dscnt 0x0
	v_cmp_lt_i16_e64 s8, v57, v56
	s_wait_alu 0xf1ff
	s_delay_alu instid0(VALU_DEP_1) | instskip(SKIP_1) | instid1(VALU_DEP_1)
	v_cndmask_b32_e64 v54, v54, v55, s8
	v_cndmask_b32_e64 v53, v58, v53, s8
	v_cmp_ge_i32_e64 s8, v53, v54
	s_wait_alu 0xfffe
	s_or_b32 s10, s8, s10
	s_wait_alu 0xfffe
	s_and_not1_b32 exec_lo, exec_lo, s10
	s_cbranch_execnz .LBB78_68
; %bb.69:                               ;   in Loop: Header=BB78_2 Depth=1
	s_or_b32 exec_lo, exec_lo, s10
.LBB78_70:                              ;   in Loop: Header=BB78_2 Depth=1
	s_wait_alu 0xfffe
	s_or_b32 exec_lo, exec_lo, s9
	v_add_nc_u32_e32 v58, v53, v4
	v_sub_nc_u32_e32 v57, v31, v53
                                        ; implicit-def: $vgpr55
	ds_load_u8 v53, v58
	ds_load_u8 v54, v57
	v_cmp_le_i32_e64 s8, v17, v58
	v_cmp_gt_i32_e64 s10, v18, v57
	s_wait_dscnt 0x1
	v_bfe_i32 v53, v53, 0, 8
	s_wait_dscnt 0x0
	v_bfe_i32 v54, v54, 0, 8
	s_delay_alu instid0(VALU_DEP_1)
	v_cmp_lt_i16_e64 s9, v54, v53
	s_or_b32 s8, s8, s9
	s_wait_alu 0xfffe
	s_and_b32 s8, s10, s8
	s_wait_alu 0xfffe
	s_xor_b32 s9, s8, -1
	s_wait_alu 0xfffe
	s_and_saveexec_b32 s10, s9
	s_wait_alu 0xfffe
	s_xor_b32 s9, exec_lo, s10
; %bb.71:                               ;   in Loop: Header=BB78_2 Depth=1
	ds_load_u8 v55, v58 offset:1
; %bb.72:                               ;   in Loop: Header=BB78_2 Depth=1
	s_wait_alu 0xfffe
	s_or_saveexec_b32 s9, s9
	v_mov_b32_e32 v56, v54
	s_wait_alu 0xfffe
	s_xor_b32 exec_lo, exec_lo, s9
	s_cbranch_execz .LBB78_74
; %bb.73:                               ;   in Loop: Header=BB78_2 Depth=1
	ds_load_u8 v56, v57 offset:1
	s_wait_dscnt 0x1
	v_mov_b32_e32 v55, v53
.LBB78_74:                              ;   in Loop: Header=BB78_2 Depth=1
	s_or_b32 exec_lo, exec_lo, s9
	v_add_nc_u32_e32 v59, 1, v58
	v_add_nc_u32_e32 v61, 1, v57
	s_wait_dscnt 0x0
	v_bfe_i32 v62, v55, 0, 8
	s_delay_alu instid0(VALU_DEP_3) | instskip(SKIP_2) | instid1(VALU_DEP_3)
	v_cndmask_b32_e64 v60, v59, v58, s8
	v_bfe_i32 v58, v56, 0, 8
	v_cndmask_b32_e64 v59, v57, v61, s8
                                        ; implicit-def: $vgpr57
	v_cmp_ge_i32_e64 s9, v60, v17
	s_delay_alu instid0(VALU_DEP_3) | instskip(NEXT) | instid1(VALU_DEP_3)
	v_cmp_lt_i16_e64 s10, v58, v62
	v_cmp_lt_i32_e64 s11, v59, v18
	s_or_b32 s9, s9, s10
	s_wait_alu 0xfffe
	s_and_b32 s9, s11, s9
	s_wait_alu 0xfffe
	s_xor_b32 s10, s9, -1
	s_wait_alu 0xfffe
	s_and_saveexec_b32 s11, s10
	s_wait_alu 0xfffe
	s_xor_b32 s10, exec_lo, s11
; %bb.75:                               ;   in Loop: Header=BB78_2 Depth=1
	ds_load_u8 v57, v60 offset:1
; %bb.76:                               ;   in Loop: Header=BB78_2 Depth=1
	s_wait_alu 0xfffe
	s_or_saveexec_b32 s10, s10
	v_mov_b32_e32 v58, v56
	s_wait_alu 0xfffe
	s_xor_b32 exec_lo, exec_lo, s10
	s_cbranch_execz .LBB78_78
; %bb.77:                               ;   in Loop: Header=BB78_2 Depth=1
	ds_load_u8 v58, v59 offset:1
	s_wait_dscnt 0x1
	v_mov_b32_e32 v57, v55
.LBB78_78:                              ;   in Loop: Header=BB78_2 Depth=1
	s_or_b32 exec_lo, exec_lo, s10
	v_add_nc_u32_e32 v61, 1, v60
	v_add_nc_u32_e32 v63, 1, v59
	s_wait_dscnt 0x0
	v_bfe_i32 v64, v57, 0, 8
	s_delay_alu instid0(VALU_DEP_3) | instskip(SKIP_2) | instid1(VALU_DEP_3)
	v_cndmask_b32_e64 v62, v61, v60, s9
	v_bfe_i32 v60, v58, 0, 8
	v_cndmask_b32_e64 v61, v59, v63, s9
                                        ; implicit-def: $vgpr59
	v_cmp_ge_i32_e64 s10, v62, v17
	s_delay_alu instid0(VALU_DEP_3) | instskip(NEXT) | instid1(VALU_DEP_3)
	v_cmp_lt_i16_e64 s11, v60, v64
	v_cmp_lt_i32_e64 s12, v61, v18
	s_or_b32 s10, s10, s11
	s_wait_alu 0xfffe
	s_and_b32 s10, s12, s10
	s_wait_alu 0xfffe
	s_xor_b32 s11, s10, -1
	s_wait_alu 0xfffe
	s_and_saveexec_b32 s12, s11
	s_wait_alu 0xfffe
	s_xor_b32 s11, exec_lo, s12
; %bb.79:                               ;   in Loop: Header=BB78_2 Depth=1
	ds_load_u8 v59, v62 offset:1
; %bb.80:                               ;   in Loop: Header=BB78_2 Depth=1
	s_wait_alu 0xfffe
	s_or_saveexec_b32 s11, s11
	v_mov_b32_e32 v60, v58
	s_wait_alu 0xfffe
	s_xor_b32 exec_lo, exec_lo, s11
	s_cbranch_execz .LBB78_82
; %bb.81:                               ;   in Loop: Header=BB78_2 Depth=1
	ds_load_u8 v60, v61 offset:1
	s_wait_dscnt 0x1
	v_mov_b32_e32 v59, v57
.LBB78_82:                              ;   in Loop: Header=BB78_2 Depth=1
	s_or_b32 exec_lo, exec_lo, s11
	v_add_nc_u32_e32 v63, 1, v62
	v_add_nc_u32_e32 v65, 1, v61
	s_wait_dscnt 0x0
	v_bfe_i32 v66, v59, 0, 8
	s_delay_alu instid0(VALU_DEP_3) | instskip(SKIP_2) | instid1(VALU_DEP_3)
	v_cndmask_b32_e64 v64, v63, v62, s10
	v_bfe_i32 v62, v60, 0, 8
	v_cndmask_b32_e64 v63, v61, v65, s10
                                        ; implicit-def: $vgpr61
	v_cmp_ge_i32_e64 s11, v64, v17
	s_delay_alu instid0(VALU_DEP_3) | instskip(NEXT) | instid1(VALU_DEP_3)
	v_cmp_lt_i16_e64 s12, v62, v66
	v_cmp_lt_i32_e64 s13, v63, v18
	s_or_b32 s11, s11, s12
	s_wait_alu 0xfffe
	s_and_b32 s11, s13, s11
	s_wait_alu 0xfffe
	s_xor_b32 s12, s11, -1
	s_wait_alu 0xfffe
	s_and_saveexec_b32 s13, s12
	s_wait_alu 0xfffe
	s_xor_b32 s12, exec_lo, s13
; %bb.83:                               ;   in Loop: Header=BB78_2 Depth=1
	ds_load_u8 v61, v64 offset:1
; %bb.84:                               ;   in Loop: Header=BB78_2 Depth=1
	s_wait_alu 0xfffe
	s_or_saveexec_b32 s12, s12
	v_mov_b32_e32 v62, v60
	s_wait_alu 0xfffe
	s_xor_b32 exec_lo, exec_lo, s12
	s_cbranch_execz .LBB78_86
; %bb.85:                               ;   in Loop: Header=BB78_2 Depth=1
	ds_load_u8 v62, v63 offset:1
	s_wait_dscnt 0x1
	v_mov_b32_e32 v61, v59
.LBB78_86:                              ;   in Loop: Header=BB78_2 Depth=1
	s_or_b32 exec_lo, exec_lo, s12
	v_add_nc_u32_e32 v65, 1, v64
	v_add_nc_u32_e32 v67, 1, v63
	s_wait_dscnt 0x0
	v_bfe_i32 v68, v61, 0, 8
	s_delay_alu instid0(VALU_DEP_3) | instskip(SKIP_2) | instid1(VALU_DEP_3)
	v_cndmask_b32_e64 v66, v65, v64, s11
	v_bfe_i32 v64, v62, 0, 8
	v_cndmask_b32_e64 v65, v63, v67, s11
                                        ; implicit-def: $vgpr63
	v_cmp_ge_i32_e64 s12, v66, v17
	s_delay_alu instid0(VALU_DEP_3) | instskip(NEXT) | instid1(VALU_DEP_3)
	v_cmp_lt_i16_e64 s13, v64, v68
	v_cmp_lt_i32_e64 s14, v65, v18
	s_or_b32 s12, s12, s13
	s_wait_alu 0xfffe
	s_and_b32 s12, s14, s12
	s_wait_alu 0xfffe
	s_xor_b32 s13, s12, -1
	s_wait_alu 0xfffe
	s_and_saveexec_b32 s14, s13
	s_wait_alu 0xfffe
	s_xor_b32 s13, exec_lo, s14
; %bb.87:                               ;   in Loop: Header=BB78_2 Depth=1
	ds_load_u8 v63, v66 offset:1
; %bb.88:                               ;   in Loop: Header=BB78_2 Depth=1
	s_wait_alu 0xfffe
	s_or_saveexec_b32 s13, s13
	v_mov_b32_e32 v64, v62
	s_wait_alu 0xfffe
	s_xor_b32 exec_lo, exec_lo, s13
	s_cbranch_execz .LBB78_90
; %bb.89:                               ;   in Loop: Header=BB78_2 Depth=1
	ds_load_u8 v64, v65 offset:1
	s_wait_dscnt 0x1
	v_mov_b32_e32 v63, v61
.LBB78_90:                              ;   in Loop: Header=BB78_2 Depth=1
	s_or_b32 exec_lo, exec_lo, s13
	v_add_nc_u32_e32 v67, 1, v66
	v_add_nc_u32_e32 v69, 1, v65
	s_wait_dscnt 0x0
	v_bfe_i32 v70, v63, 0, 8
	s_delay_alu instid0(VALU_DEP_3) | instskip(SKIP_2) | instid1(VALU_DEP_3)
	v_cndmask_b32_e64 v68, v67, v66, s12
	v_bfe_i32 v66, v64, 0, 8
	v_cndmask_b32_e64 v67, v65, v69, s12
                                        ; implicit-def: $vgpr65
	v_cmp_ge_i32_e64 s13, v68, v17
	s_delay_alu instid0(VALU_DEP_3) | instskip(NEXT) | instid1(VALU_DEP_3)
	v_cmp_lt_i16_e64 s14, v66, v70
	v_cmp_lt_i32_e64 s15, v67, v18
	s_or_b32 s13, s13, s14
	s_wait_alu 0xfffe
	s_and_b32 s13, s15, s13
	s_wait_alu 0xfffe
	s_xor_b32 s14, s13, -1
	s_wait_alu 0xfffe
	s_and_saveexec_b32 s15, s14
	s_wait_alu 0xfffe
	s_xor_b32 s14, exec_lo, s15
; %bb.91:                               ;   in Loop: Header=BB78_2 Depth=1
	ds_load_u8 v65, v68 offset:1
; %bb.92:                               ;   in Loop: Header=BB78_2 Depth=1
	s_wait_alu 0xfffe
	s_or_saveexec_b32 s14, s14
	v_mov_b32_e32 v66, v64
	s_wait_alu 0xfffe
	s_xor_b32 exec_lo, exec_lo, s14
	s_cbranch_execz .LBB78_94
; %bb.93:                               ;   in Loop: Header=BB78_2 Depth=1
	ds_load_u8 v66, v67 offset:1
	s_wait_dscnt 0x1
	v_mov_b32_e32 v65, v63
.LBB78_94:                              ;   in Loop: Header=BB78_2 Depth=1
	s_or_b32 exec_lo, exec_lo, s14
	v_add_nc_u32_e32 v69, 1, v68
	v_add_nc_u32_e32 v70, 1, v67
	s_wait_dscnt 0x0
	v_bfe_i32 v71, v65, 0, 8
	v_bfe_i32 v72, v66, 0, 8
	v_cndmask_b32_e64 v69, v69, v68, s13
	v_cndmask_b32_e64 v68, v67, v70, s13
                                        ; implicit-def: $vgpr67
	s_delay_alu instid0(VALU_DEP_3) | instskip(NEXT) | instid1(VALU_DEP_3)
	v_cmp_lt_i16_e64 s15, v72, v71
	v_cmp_ge_i32_e64 s14, v69, v17
	s_delay_alu instid0(VALU_DEP_3)
	v_cmp_lt_i32_e64 s16, v68, v18
	s_or_b32 s14, s14, s15
	s_wait_alu 0xfffe
	s_and_b32 s14, s16, s14
	s_wait_alu 0xfffe
	s_xor_b32 s15, s14, -1
	s_wait_alu 0xfffe
	s_and_saveexec_b32 s16, s15
	s_delay_alu instid0(SALU_CYCLE_1)
	s_xor_b32 s15, exec_lo, s16
; %bb.95:                               ;   in Loop: Header=BB78_2 Depth=1
	ds_load_u8 v67, v69 offset:1
; %bb.96:                               ;   in Loop: Header=BB78_2 Depth=1
	s_wait_alu 0xfffe
	s_or_saveexec_b32 s15, s15
	v_mov_b32_e32 v70, v66
	s_wait_alu 0xfffe
	s_xor_b32 exec_lo, exec_lo, s15
	s_cbranch_execz .LBB78_98
; %bb.97:                               ;   in Loop: Header=BB78_2 Depth=1
	ds_load_u8 v70, v68 offset:1
	s_wait_dscnt 0x1
	v_mov_b32_e32 v67, v65
.LBB78_98:                              ;   in Loop: Header=BB78_2 Depth=1
	s_or_b32 exec_lo, exec_lo, s15
	v_cndmask_b32_e64 v59, v59, v60, s11
	v_cndmask_b32_e64 v55, v55, v56, s9
	v_cndmask_b32_e64 v53, v53, v54, s8
	v_cndmask_b32_e64 v54, v57, v58, s10
	v_add_nc_u32_e32 v71, 1, v69
	v_lshlrev_b16 v57, 8, v59
	v_lshlrev_b16 v55, 8, v55
	v_and_b32_e32 v53, 0xff, v53
	v_and_b32_e32 v54, 0xff, v54
	v_cndmask_b32_e64 v65, v65, v66, s14
	v_add_nc_u32_e32 v66, 1, v68
	s_wait_dscnt 0x0
	v_bfe_i32 v72, v67, 0, 8
	v_or_b32_e32 v53, v53, v55
	v_or_b32_e32 v54, v54, v57
	v_bfe_i32 v73, v70, 0, 8
	v_cndmask_b32_e64 v69, v71, v69, s14
	v_cndmask_b32_e64 v63, v63, v64, s13
	v_and_b32_e32 v53, 0xffff, v53
	v_lshlrev_b32_e32 v54, 16, v54
	v_cndmask_b32_e64 v61, v61, v62, s12
	v_cmp_lt_i16_e64 s12, v73, v72
	v_cmp_ge_i32_e64 s13, v69, v17
	v_lshlrev_b16 v58, 8, v63
	v_or_b32_e32 v54, v53, v54
	v_mov_b32_e32 v53, v48
	v_cndmask_b32_e64 v64, v68, v66, s14
	s_or_b32 s8, s13, s12
	v_and_b32_e32 v59, 0xff, v61
	v_and_b32_e32 v60, 0xff, v65
	s_wait_loadcnt 0x0
	v_cmp_lt_i32_e64 s11, v64, v18
	s_barrier_signal -1
	v_or_b32_e32 v55, v59, v58
	s_barrier_wait -1
	global_inv scope:SCOPE_SE
	s_wait_alu 0xfffe
	s_and_b32 s8, s11, s8
	s_wait_alu 0xfffe
	v_cndmask_b32_e64 v56, v67, v70, s8
	v_and_b32_e32 v55, 0xffff, v55
	s_delay_alu instid0(VALU_DEP_2) | instskip(NEXT) | instid1(VALU_DEP_1)
	v_lshlrev_b16 v56, 8, v56
	v_or_b32_e32 v56, v60, v56
	s_delay_alu instid0(VALU_DEP_1) | instskip(NEXT) | instid1(VALU_DEP_1)
	v_lshlrev_b32_e32 v56, 16, v56
	v_or_b32_e32 v55, v55, v56
	ds_store_b64 v1, v[54:55]
	s_wait_loadcnt_dscnt 0x0
	s_barrier_signal -1
	s_barrier_wait -1
	global_inv scope:SCOPE_SE
	s_and_saveexec_b32 s9, s3
	s_cbranch_execz .LBB78_102
; %bb.99:                               ;   in Loop: Header=BB78_2 Depth=1
	v_dual_mov_b32 v53, v48 :: v_dual_mov_b32 v54, v40
	s_mov_b32 s10, 0
.LBB78_100:                             ;   Parent Loop BB78_2 Depth=1
                                        ; =>  This Inner Loop Header: Depth=2
	s_delay_alu instid0(VALU_DEP_1) | instskip(NEXT) | instid1(VALU_DEP_1)
	v_sub_nc_u32_e32 v55, v54, v53
	v_lshrrev_b32_e32 v55, 1, v55
	s_delay_alu instid0(VALU_DEP_1) | instskip(NEXT) | instid1(VALU_DEP_1)
	v_add_nc_u32_e32 v55, v55, v53
	v_add_nc_u32_e32 v56, v5, v55
	v_xad_u32 v57, v55, -1, v32
	v_add_nc_u32_e32 v58, 1, v55
	ds_load_i8 v56, v56
	ds_load_i8 v57, v57
	s_wait_dscnt 0x0
	v_cmp_lt_i16_e64 s8, v57, v56
	s_wait_alu 0xf1ff
	s_delay_alu instid0(VALU_DEP_1) | instskip(SKIP_1) | instid1(VALU_DEP_1)
	v_cndmask_b32_e64 v54, v54, v55, s8
	v_cndmask_b32_e64 v53, v58, v53, s8
	v_cmp_ge_i32_e64 s8, v53, v54
	s_wait_alu 0xfffe
	s_or_b32 s10, s8, s10
	s_wait_alu 0xfffe
	s_and_not1_b32 exec_lo, exec_lo, s10
	s_cbranch_execnz .LBB78_100
; %bb.101:                              ;   in Loop: Header=BB78_2 Depth=1
	s_or_b32 exec_lo, exec_lo, s10
.LBB78_102:                             ;   in Loop: Header=BB78_2 Depth=1
	s_wait_alu 0xfffe
	s_or_b32 exec_lo, exec_lo, s9
	v_add_nc_u32_e32 v58, v53, v5
	v_sub_nc_u32_e32 v57, v32, v53
                                        ; implicit-def: $vgpr55
	ds_load_u8 v53, v58
	ds_load_u8 v54, v57
	v_cmp_le_i32_e64 s8, v19, v58
	v_cmp_gt_i32_e64 s10, v20, v57
	s_wait_dscnt 0x1
	v_bfe_i32 v53, v53, 0, 8
	s_wait_dscnt 0x0
	v_bfe_i32 v54, v54, 0, 8
	s_delay_alu instid0(VALU_DEP_1)
	v_cmp_lt_i16_e64 s9, v54, v53
	s_or_b32 s8, s8, s9
	s_wait_alu 0xfffe
	s_and_b32 s8, s10, s8
	s_wait_alu 0xfffe
	s_xor_b32 s9, s8, -1
	s_wait_alu 0xfffe
	s_and_saveexec_b32 s10, s9
	s_wait_alu 0xfffe
	s_xor_b32 s9, exec_lo, s10
; %bb.103:                              ;   in Loop: Header=BB78_2 Depth=1
	ds_load_u8 v55, v58 offset:1
; %bb.104:                              ;   in Loop: Header=BB78_2 Depth=1
	s_wait_alu 0xfffe
	s_or_saveexec_b32 s9, s9
	v_mov_b32_e32 v56, v54
	s_wait_alu 0xfffe
	s_xor_b32 exec_lo, exec_lo, s9
	s_cbranch_execz .LBB78_106
; %bb.105:                              ;   in Loop: Header=BB78_2 Depth=1
	ds_load_u8 v56, v57 offset:1
	s_wait_dscnt 0x1
	v_mov_b32_e32 v55, v53
.LBB78_106:                             ;   in Loop: Header=BB78_2 Depth=1
	s_or_b32 exec_lo, exec_lo, s9
	v_add_nc_u32_e32 v59, 1, v58
	v_add_nc_u32_e32 v61, 1, v57
	s_wait_dscnt 0x0
	v_bfe_i32 v62, v55, 0, 8
	s_delay_alu instid0(VALU_DEP_3) | instskip(SKIP_2) | instid1(VALU_DEP_3)
	v_cndmask_b32_e64 v60, v59, v58, s8
	v_bfe_i32 v58, v56, 0, 8
	v_cndmask_b32_e64 v59, v57, v61, s8
                                        ; implicit-def: $vgpr57
	v_cmp_ge_i32_e64 s9, v60, v19
	s_delay_alu instid0(VALU_DEP_3) | instskip(NEXT) | instid1(VALU_DEP_3)
	v_cmp_lt_i16_e64 s10, v58, v62
	v_cmp_lt_i32_e64 s11, v59, v20
	s_or_b32 s9, s9, s10
	s_wait_alu 0xfffe
	s_and_b32 s9, s11, s9
	s_wait_alu 0xfffe
	s_xor_b32 s10, s9, -1
	s_wait_alu 0xfffe
	s_and_saveexec_b32 s11, s10
	s_wait_alu 0xfffe
	s_xor_b32 s10, exec_lo, s11
; %bb.107:                              ;   in Loop: Header=BB78_2 Depth=1
	ds_load_u8 v57, v60 offset:1
; %bb.108:                              ;   in Loop: Header=BB78_2 Depth=1
	s_wait_alu 0xfffe
	s_or_saveexec_b32 s10, s10
	v_mov_b32_e32 v58, v56
	s_wait_alu 0xfffe
	s_xor_b32 exec_lo, exec_lo, s10
	s_cbranch_execz .LBB78_110
; %bb.109:                              ;   in Loop: Header=BB78_2 Depth=1
	ds_load_u8 v58, v59 offset:1
	s_wait_dscnt 0x1
	v_mov_b32_e32 v57, v55
.LBB78_110:                             ;   in Loop: Header=BB78_2 Depth=1
	s_or_b32 exec_lo, exec_lo, s10
	v_add_nc_u32_e32 v61, 1, v60
	v_add_nc_u32_e32 v63, 1, v59
	s_wait_dscnt 0x0
	v_bfe_i32 v64, v57, 0, 8
	s_delay_alu instid0(VALU_DEP_3) | instskip(SKIP_2) | instid1(VALU_DEP_3)
	v_cndmask_b32_e64 v62, v61, v60, s9
	v_bfe_i32 v60, v58, 0, 8
	v_cndmask_b32_e64 v61, v59, v63, s9
                                        ; implicit-def: $vgpr59
	v_cmp_ge_i32_e64 s10, v62, v19
	s_delay_alu instid0(VALU_DEP_3) | instskip(NEXT) | instid1(VALU_DEP_3)
	v_cmp_lt_i16_e64 s11, v60, v64
	v_cmp_lt_i32_e64 s12, v61, v20
	s_or_b32 s10, s10, s11
	s_wait_alu 0xfffe
	s_and_b32 s10, s12, s10
	s_wait_alu 0xfffe
	s_xor_b32 s11, s10, -1
	s_wait_alu 0xfffe
	s_and_saveexec_b32 s12, s11
	s_wait_alu 0xfffe
	s_xor_b32 s11, exec_lo, s12
; %bb.111:                              ;   in Loop: Header=BB78_2 Depth=1
	ds_load_u8 v59, v62 offset:1
; %bb.112:                              ;   in Loop: Header=BB78_2 Depth=1
	s_wait_alu 0xfffe
	s_or_saveexec_b32 s11, s11
	v_mov_b32_e32 v60, v58
	s_wait_alu 0xfffe
	s_xor_b32 exec_lo, exec_lo, s11
	s_cbranch_execz .LBB78_114
; %bb.113:                              ;   in Loop: Header=BB78_2 Depth=1
	ds_load_u8 v60, v61 offset:1
	s_wait_dscnt 0x1
	v_mov_b32_e32 v59, v57
.LBB78_114:                             ;   in Loop: Header=BB78_2 Depth=1
	s_or_b32 exec_lo, exec_lo, s11
	v_add_nc_u32_e32 v63, 1, v62
	v_add_nc_u32_e32 v65, 1, v61
	s_wait_dscnt 0x0
	v_bfe_i32 v66, v59, 0, 8
	s_delay_alu instid0(VALU_DEP_3) | instskip(SKIP_2) | instid1(VALU_DEP_3)
	v_cndmask_b32_e64 v64, v63, v62, s10
	v_bfe_i32 v62, v60, 0, 8
	v_cndmask_b32_e64 v63, v61, v65, s10
                                        ; implicit-def: $vgpr61
	v_cmp_ge_i32_e64 s11, v64, v19
	s_delay_alu instid0(VALU_DEP_3) | instskip(NEXT) | instid1(VALU_DEP_3)
	v_cmp_lt_i16_e64 s12, v62, v66
	v_cmp_lt_i32_e64 s13, v63, v20
	s_or_b32 s11, s11, s12
	s_wait_alu 0xfffe
	s_and_b32 s11, s13, s11
	s_wait_alu 0xfffe
	s_xor_b32 s12, s11, -1
	s_wait_alu 0xfffe
	s_and_saveexec_b32 s13, s12
	s_wait_alu 0xfffe
	s_xor_b32 s12, exec_lo, s13
; %bb.115:                              ;   in Loop: Header=BB78_2 Depth=1
	ds_load_u8 v61, v64 offset:1
; %bb.116:                              ;   in Loop: Header=BB78_2 Depth=1
	s_wait_alu 0xfffe
	s_or_saveexec_b32 s12, s12
	v_mov_b32_e32 v62, v60
	s_wait_alu 0xfffe
	s_xor_b32 exec_lo, exec_lo, s12
	s_cbranch_execz .LBB78_118
; %bb.117:                              ;   in Loop: Header=BB78_2 Depth=1
	ds_load_u8 v62, v63 offset:1
	s_wait_dscnt 0x1
	v_mov_b32_e32 v61, v59
.LBB78_118:                             ;   in Loop: Header=BB78_2 Depth=1
	s_or_b32 exec_lo, exec_lo, s12
	v_add_nc_u32_e32 v65, 1, v64
	v_add_nc_u32_e32 v67, 1, v63
	s_wait_dscnt 0x0
	v_bfe_i32 v68, v61, 0, 8
	s_delay_alu instid0(VALU_DEP_3) | instskip(SKIP_2) | instid1(VALU_DEP_3)
	v_cndmask_b32_e64 v66, v65, v64, s11
	v_bfe_i32 v64, v62, 0, 8
	v_cndmask_b32_e64 v65, v63, v67, s11
                                        ; implicit-def: $vgpr63
	v_cmp_ge_i32_e64 s12, v66, v19
	s_delay_alu instid0(VALU_DEP_3) | instskip(NEXT) | instid1(VALU_DEP_3)
	v_cmp_lt_i16_e64 s13, v64, v68
	v_cmp_lt_i32_e64 s14, v65, v20
	s_or_b32 s12, s12, s13
	s_wait_alu 0xfffe
	s_and_b32 s12, s14, s12
	s_wait_alu 0xfffe
	s_xor_b32 s13, s12, -1
	s_wait_alu 0xfffe
	s_and_saveexec_b32 s14, s13
	s_wait_alu 0xfffe
	s_xor_b32 s13, exec_lo, s14
; %bb.119:                              ;   in Loop: Header=BB78_2 Depth=1
	ds_load_u8 v63, v66 offset:1
; %bb.120:                              ;   in Loop: Header=BB78_2 Depth=1
	s_wait_alu 0xfffe
	s_or_saveexec_b32 s13, s13
	v_mov_b32_e32 v64, v62
	s_wait_alu 0xfffe
	s_xor_b32 exec_lo, exec_lo, s13
	s_cbranch_execz .LBB78_122
; %bb.121:                              ;   in Loop: Header=BB78_2 Depth=1
	ds_load_u8 v64, v65 offset:1
	s_wait_dscnt 0x1
	v_mov_b32_e32 v63, v61
.LBB78_122:                             ;   in Loop: Header=BB78_2 Depth=1
	s_or_b32 exec_lo, exec_lo, s13
	v_add_nc_u32_e32 v67, 1, v66
	v_add_nc_u32_e32 v69, 1, v65
	s_wait_dscnt 0x0
	v_bfe_i32 v70, v63, 0, 8
	s_delay_alu instid0(VALU_DEP_3) | instskip(SKIP_2) | instid1(VALU_DEP_3)
	v_cndmask_b32_e64 v68, v67, v66, s12
	v_bfe_i32 v66, v64, 0, 8
	v_cndmask_b32_e64 v67, v65, v69, s12
                                        ; implicit-def: $vgpr65
	v_cmp_ge_i32_e64 s13, v68, v19
	s_delay_alu instid0(VALU_DEP_3) | instskip(NEXT) | instid1(VALU_DEP_3)
	v_cmp_lt_i16_e64 s14, v66, v70
	v_cmp_lt_i32_e64 s15, v67, v20
	s_or_b32 s13, s13, s14
	s_wait_alu 0xfffe
	s_and_b32 s13, s15, s13
	s_wait_alu 0xfffe
	s_xor_b32 s14, s13, -1
	s_wait_alu 0xfffe
	s_and_saveexec_b32 s15, s14
	s_wait_alu 0xfffe
	s_xor_b32 s14, exec_lo, s15
; %bb.123:                              ;   in Loop: Header=BB78_2 Depth=1
	ds_load_u8 v65, v68 offset:1
; %bb.124:                              ;   in Loop: Header=BB78_2 Depth=1
	s_wait_alu 0xfffe
	s_or_saveexec_b32 s14, s14
	v_mov_b32_e32 v66, v64
	s_wait_alu 0xfffe
	s_xor_b32 exec_lo, exec_lo, s14
	s_cbranch_execz .LBB78_126
; %bb.125:                              ;   in Loop: Header=BB78_2 Depth=1
	ds_load_u8 v66, v67 offset:1
	s_wait_dscnt 0x1
	v_mov_b32_e32 v65, v63
.LBB78_126:                             ;   in Loop: Header=BB78_2 Depth=1
	s_or_b32 exec_lo, exec_lo, s14
	v_add_nc_u32_e32 v69, 1, v68
	v_add_nc_u32_e32 v70, 1, v67
	s_wait_dscnt 0x0
	v_bfe_i32 v71, v65, 0, 8
	v_bfe_i32 v72, v66, 0, 8
	v_cndmask_b32_e64 v69, v69, v68, s13
	v_cndmask_b32_e64 v68, v67, v70, s13
                                        ; implicit-def: $vgpr67
	s_delay_alu instid0(VALU_DEP_3) | instskip(NEXT) | instid1(VALU_DEP_3)
	v_cmp_lt_i16_e64 s15, v72, v71
	v_cmp_ge_i32_e64 s14, v69, v19
	s_delay_alu instid0(VALU_DEP_3)
	v_cmp_lt_i32_e64 s16, v68, v20
	s_or_b32 s14, s14, s15
	s_wait_alu 0xfffe
	s_and_b32 s14, s16, s14
	s_wait_alu 0xfffe
	s_xor_b32 s15, s14, -1
	s_wait_alu 0xfffe
	s_and_saveexec_b32 s16, s15
	s_delay_alu instid0(SALU_CYCLE_1)
	s_xor_b32 s15, exec_lo, s16
; %bb.127:                              ;   in Loop: Header=BB78_2 Depth=1
	ds_load_u8 v67, v69 offset:1
; %bb.128:                              ;   in Loop: Header=BB78_2 Depth=1
	s_wait_alu 0xfffe
	s_or_saveexec_b32 s15, s15
	v_mov_b32_e32 v70, v66
	s_wait_alu 0xfffe
	s_xor_b32 exec_lo, exec_lo, s15
	s_cbranch_execz .LBB78_130
; %bb.129:                              ;   in Loop: Header=BB78_2 Depth=1
	ds_load_u8 v70, v68 offset:1
	s_wait_dscnt 0x1
	v_mov_b32_e32 v67, v65
.LBB78_130:                             ;   in Loop: Header=BB78_2 Depth=1
	s_or_b32 exec_lo, exec_lo, s15
	v_cndmask_b32_e64 v59, v59, v60, s11
	v_cndmask_b32_e64 v55, v55, v56, s9
	;; [unrolled: 1-line block ×4, first 2 shown]
	v_add_nc_u32_e32 v71, 1, v69
	v_lshlrev_b16 v57, 8, v59
	v_lshlrev_b16 v55, 8, v55
	v_and_b32_e32 v53, 0xff, v53
	v_and_b32_e32 v54, 0xff, v54
	v_cndmask_b32_e64 v65, v65, v66, s14
	v_add_nc_u32_e32 v66, 1, v68
	s_wait_dscnt 0x0
	v_bfe_i32 v72, v67, 0, 8
	v_or_b32_e32 v53, v53, v55
	v_or_b32_e32 v54, v54, v57
	v_bfe_i32 v73, v70, 0, 8
	v_cndmask_b32_e64 v69, v71, v69, s14
	v_cndmask_b32_e64 v63, v63, v64, s13
	v_and_b32_e32 v53, 0xffff, v53
	v_lshlrev_b32_e32 v54, 16, v54
	v_cndmask_b32_e64 v61, v61, v62, s12
	v_cmp_lt_i16_e64 s12, v73, v72
	v_cmp_ge_i32_e64 s13, v69, v19
	v_lshlrev_b16 v58, 8, v63
	v_or_b32_e32 v54, v53, v54
	v_mov_b32_e32 v53, v49
	v_cndmask_b32_e64 v64, v68, v66, s14
	s_or_b32 s8, s13, s12
	v_and_b32_e32 v59, 0xff, v61
	v_and_b32_e32 v60, 0xff, v65
	s_wait_loadcnt 0x0
	v_cmp_lt_i32_e64 s11, v64, v20
	s_barrier_signal -1
	v_or_b32_e32 v55, v59, v58
	s_barrier_wait -1
	global_inv scope:SCOPE_SE
	s_wait_alu 0xfffe
	s_and_b32 s8, s11, s8
	s_wait_alu 0xfffe
	v_cndmask_b32_e64 v56, v67, v70, s8
	v_and_b32_e32 v55, 0xffff, v55
	s_delay_alu instid0(VALU_DEP_2) | instskip(NEXT) | instid1(VALU_DEP_1)
	v_lshlrev_b16 v56, 8, v56
	v_or_b32_e32 v56, v60, v56
	s_delay_alu instid0(VALU_DEP_1) | instskip(NEXT) | instid1(VALU_DEP_1)
	v_lshlrev_b32_e32 v56, 16, v56
	v_or_b32_e32 v55, v55, v56
	ds_store_b64 v1, v[54:55]
	s_wait_loadcnt_dscnt 0x0
	s_barrier_signal -1
	s_barrier_wait -1
	global_inv scope:SCOPE_SE
	s_and_saveexec_b32 s9, s4
	s_cbranch_execz .LBB78_134
; %bb.131:                              ;   in Loop: Header=BB78_2 Depth=1
	v_dual_mov_b32 v53, v49 :: v_dual_mov_b32 v54, v41
	s_mov_b32 s10, 0
.LBB78_132:                             ;   Parent Loop BB78_2 Depth=1
                                        ; =>  This Inner Loop Header: Depth=2
	s_delay_alu instid0(VALU_DEP_1) | instskip(NEXT) | instid1(VALU_DEP_1)
	v_sub_nc_u32_e32 v55, v54, v53
	v_lshrrev_b32_e32 v55, 1, v55
	s_delay_alu instid0(VALU_DEP_1) | instskip(NEXT) | instid1(VALU_DEP_1)
	v_add_nc_u32_e32 v55, v55, v53
	v_add_nc_u32_e32 v56, v6, v55
	v_xad_u32 v57, v55, -1, v33
	v_add_nc_u32_e32 v58, 1, v55
	ds_load_i8 v56, v56
	ds_load_i8 v57, v57
	s_wait_dscnt 0x0
	v_cmp_lt_i16_e64 s8, v57, v56
	s_wait_alu 0xf1ff
	s_delay_alu instid0(VALU_DEP_1) | instskip(SKIP_1) | instid1(VALU_DEP_1)
	v_cndmask_b32_e64 v54, v54, v55, s8
	v_cndmask_b32_e64 v53, v58, v53, s8
	v_cmp_ge_i32_e64 s8, v53, v54
	s_wait_alu 0xfffe
	s_or_b32 s10, s8, s10
	s_wait_alu 0xfffe
	s_and_not1_b32 exec_lo, exec_lo, s10
	s_cbranch_execnz .LBB78_132
; %bb.133:                              ;   in Loop: Header=BB78_2 Depth=1
	s_or_b32 exec_lo, exec_lo, s10
.LBB78_134:                             ;   in Loop: Header=BB78_2 Depth=1
	s_wait_alu 0xfffe
	s_or_b32 exec_lo, exec_lo, s9
	v_add_nc_u32_e32 v58, v53, v6
	v_sub_nc_u32_e32 v57, v33, v53
                                        ; implicit-def: $vgpr55
	ds_load_u8 v53, v58
	ds_load_u8 v54, v57
	v_cmp_le_i32_e64 s8, v21, v58
	v_cmp_gt_i32_e64 s10, v22, v57
	s_wait_dscnt 0x1
	v_bfe_i32 v53, v53, 0, 8
	s_wait_dscnt 0x0
	v_bfe_i32 v54, v54, 0, 8
	s_delay_alu instid0(VALU_DEP_1)
	v_cmp_lt_i16_e64 s9, v54, v53
	s_or_b32 s8, s8, s9
	s_wait_alu 0xfffe
	s_and_b32 s8, s10, s8
	s_wait_alu 0xfffe
	s_xor_b32 s9, s8, -1
	s_wait_alu 0xfffe
	s_and_saveexec_b32 s10, s9
	s_wait_alu 0xfffe
	s_xor_b32 s9, exec_lo, s10
; %bb.135:                              ;   in Loop: Header=BB78_2 Depth=1
	ds_load_u8 v55, v58 offset:1
; %bb.136:                              ;   in Loop: Header=BB78_2 Depth=1
	s_wait_alu 0xfffe
	s_or_saveexec_b32 s9, s9
	v_mov_b32_e32 v56, v54
	s_wait_alu 0xfffe
	s_xor_b32 exec_lo, exec_lo, s9
	s_cbranch_execz .LBB78_138
; %bb.137:                              ;   in Loop: Header=BB78_2 Depth=1
	ds_load_u8 v56, v57 offset:1
	s_wait_dscnt 0x1
	v_mov_b32_e32 v55, v53
.LBB78_138:                             ;   in Loop: Header=BB78_2 Depth=1
	s_or_b32 exec_lo, exec_lo, s9
	v_add_nc_u32_e32 v59, 1, v58
	v_add_nc_u32_e32 v61, 1, v57
	s_wait_dscnt 0x0
	v_bfe_i32 v62, v55, 0, 8
	s_delay_alu instid0(VALU_DEP_3) | instskip(SKIP_2) | instid1(VALU_DEP_3)
	v_cndmask_b32_e64 v60, v59, v58, s8
	v_bfe_i32 v58, v56, 0, 8
	v_cndmask_b32_e64 v59, v57, v61, s8
                                        ; implicit-def: $vgpr57
	v_cmp_ge_i32_e64 s9, v60, v21
	s_delay_alu instid0(VALU_DEP_3) | instskip(NEXT) | instid1(VALU_DEP_3)
	v_cmp_lt_i16_e64 s10, v58, v62
	v_cmp_lt_i32_e64 s11, v59, v22
	s_or_b32 s9, s9, s10
	s_wait_alu 0xfffe
	s_and_b32 s9, s11, s9
	s_wait_alu 0xfffe
	s_xor_b32 s10, s9, -1
	s_wait_alu 0xfffe
	s_and_saveexec_b32 s11, s10
	s_wait_alu 0xfffe
	s_xor_b32 s10, exec_lo, s11
; %bb.139:                              ;   in Loop: Header=BB78_2 Depth=1
	ds_load_u8 v57, v60 offset:1
; %bb.140:                              ;   in Loop: Header=BB78_2 Depth=1
	s_wait_alu 0xfffe
	s_or_saveexec_b32 s10, s10
	v_mov_b32_e32 v58, v56
	s_wait_alu 0xfffe
	s_xor_b32 exec_lo, exec_lo, s10
	s_cbranch_execz .LBB78_142
; %bb.141:                              ;   in Loop: Header=BB78_2 Depth=1
	ds_load_u8 v58, v59 offset:1
	s_wait_dscnt 0x1
	v_mov_b32_e32 v57, v55
.LBB78_142:                             ;   in Loop: Header=BB78_2 Depth=1
	s_or_b32 exec_lo, exec_lo, s10
	v_add_nc_u32_e32 v61, 1, v60
	v_add_nc_u32_e32 v63, 1, v59
	s_wait_dscnt 0x0
	v_bfe_i32 v64, v57, 0, 8
	s_delay_alu instid0(VALU_DEP_3) | instskip(SKIP_2) | instid1(VALU_DEP_3)
	v_cndmask_b32_e64 v62, v61, v60, s9
	v_bfe_i32 v60, v58, 0, 8
	v_cndmask_b32_e64 v61, v59, v63, s9
                                        ; implicit-def: $vgpr59
	v_cmp_ge_i32_e64 s10, v62, v21
	s_delay_alu instid0(VALU_DEP_3) | instskip(NEXT) | instid1(VALU_DEP_3)
	v_cmp_lt_i16_e64 s11, v60, v64
	v_cmp_lt_i32_e64 s12, v61, v22
	s_or_b32 s10, s10, s11
	s_wait_alu 0xfffe
	s_and_b32 s10, s12, s10
	s_wait_alu 0xfffe
	s_xor_b32 s11, s10, -1
	s_wait_alu 0xfffe
	s_and_saveexec_b32 s12, s11
	s_wait_alu 0xfffe
	s_xor_b32 s11, exec_lo, s12
; %bb.143:                              ;   in Loop: Header=BB78_2 Depth=1
	ds_load_u8 v59, v62 offset:1
; %bb.144:                              ;   in Loop: Header=BB78_2 Depth=1
	s_wait_alu 0xfffe
	s_or_saveexec_b32 s11, s11
	v_mov_b32_e32 v60, v58
	s_wait_alu 0xfffe
	s_xor_b32 exec_lo, exec_lo, s11
	s_cbranch_execz .LBB78_146
; %bb.145:                              ;   in Loop: Header=BB78_2 Depth=1
	ds_load_u8 v60, v61 offset:1
	s_wait_dscnt 0x1
	v_mov_b32_e32 v59, v57
.LBB78_146:                             ;   in Loop: Header=BB78_2 Depth=1
	s_or_b32 exec_lo, exec_lo, s11
	v_add_nc_u32_e32 v63, 1, v62
	v_add_nc_u32_e32 v65, 1, v61
	s_wait_dscnt 0x0
	v_bfe_i32 v66, v59, 0, 8
	s_delay_alu instid0(VALU_DEP_3) | instskip(SKIP_2) | instid1(VALU_DEP_3)
	v_cndmask_b32_e64 v64, v63, v62, s10
	v_bfe_i32 v62, v60, 0, 8
	v_cndmask_b32_e64 v63, v61, v65, s10
                                        ; implicit-def: $vgpr61
	v_cmp_ge_i32_e64 s11, v64, v21
	s_delay_alu instid0(VALU_DEP_3) | instskip(NEXT) | instid1(VALU_DEP_3)
	v_cmp_lt_i16_e64 s12, v62, v66
	v_cmp_lt_i32_e64 s13, v63, v22
	s_or_b32 s11, s11, s12
	s_wait_alu 0xfffe
	s_and_b32 s11, s13, s11
	s_wait_alu 0xfffe
	s_xor_b32 s12, s11, -1
	s_wait_alu 0xfffe
	s_and_saveexec_b32 s13, s12
	s_wait_alu 0xfffe
	s_xor_b32 s12, exec_lo, s13
; %bb.147:                              ;   in Loop: Header=BB78_2 Depth=1
	ds_load_u8 v61, v64 offset:1
; %bb.148:                              ;   in Loop: Header=BB78_2 Depth=1
	s_wait_alu 0xfffe
	s_or_saveexec_b32 s12, s12
	v_mov_b32_e32 v62, v60
	s_wait_alu 0xfffe
	s_xor_b32 exec_lo, exec_lo, s12
	s_cbranch_execz .LBB78_150
; %bb.149:                              ;   in Loop: Header=BB78_2 Depth=1
	ds_load_u8 v62, v63 offset:1
	s_wait_dscnt 0x1
	v_mov_b32_e32 v61, v59
.LBB78_150:                             ;   in Loop: Header=BB78_2 Depth=1
	s_or_b32 exec_lo, exec_lo, s12
	v_add_nc_u32_e32 v65, 1, v64
	v_add_nc_u32_e32 v67, 1, v63
	s_wait_dscnt 0x0
	v_bfe_i32 v68, v61, 0, 8
	s_delay_alu instid0(VALU_DEP_3) | instskip(SKIP_2) | instid1(VALU_DEP_3)
	v_cndmask_b32_e64 v66, v65, v64, s11
	v_bfe_i32 v64, v62, 0, 8
	v_cndmask_b32_e64 v65, v63, v67, s11
                                        ; implicit-def: $vgpr63
	v_cmp_ge_i32_e64 s12, v66, v21
	s_delay_alu instid0(VALU_DEP_3) | instskip(NEXT) | instid1(VALU_DEP_3)
	v_cmp_lt_i16_e64 s13, v64, v68
	v_cmp_lt_i32_e64 s14, v65, v22
	s_or_b32 s12, s12, s13
	s_wait_alu 0xfffe
	s_and_b32 s12, s14, s12
	s_wait_alu 0xfffe
	s_xor_b32 s13, s12, -1
	s_wait_alu 0xfffe
	s_and_saveexec_b32 s14, s13
	s_wait_alu 0xfffe
	s_xor_b32 s13, exec_lo, s14
; %bb.151:                              ;   in Loop: Header=BB78_2 Depth=1
	ds_load_u8 v63, v66 offset:1
; %bb.152:                              ;   in Loop: Header=BB78_2 Depth=1
	s_wait_alu 0xfffe
	s_or_saveexec_b32 s13, s13
	v_mov_b32_e32 v64, v62
	s_wait_alu 0xfffe
	s_xor_b32 exec_lo, exec_lo, s13
	s_cbranch_execz .LBB78_154
; %bb.153:                              ;   in Loop: Header=BB78_2 Depth=1
	ds_load_u8 v64, v65 offset:1
	s_wait_dscnt 0x1
	v_mov_b32_e32 v63, v61
.LBB78_154:                             ;   in Loop: Header=BB78_2 Depth=1
	s_or_b32 exec_lo, exec_lo, s13
	v_add_nc_u32_e32 v67, 1, v66
	v_add_nc_u32_e32 v69, 1, v65
	s_wait_dscnt 0x0
	v_bfe_i32 v70, v63, 0, 8
	s_delay_alu instid0(VALU_DEP_3) | instskip(SKIP_2) | instid1(VALU_DEP_3)
	v_cndmask_b32_e64 v68, v67, v66, s12
	v_bfe_i32 v66, v64, 0, 8
	v_cndmask_b32_e64 v67, v65, v69, s12
                                        ; implicit-def: $vgpr65
	v_cmp_ge_i32_e64 s13, v68, v21
	s_delay_alu instid0(VALU_DEP_3) | instskip(NEXT) | instid1(VALU_DEP_3)
	v_cmp_lt_i16_e64 s14, v66, v70
	v_cmp_lt_i32_e64 s15, v67, v22
	s_or_b32 s13, s13, s14
	s_wait_alu 0xfffe
	s_and_b32 s13, s15, s13
	s_wait_alu 0xfffe
	s_xor_b32 s14, s13, -1
	s_wait_alu 0xfffe
	s_and_saveexec_b32 s15, s14
	s_wait_alu 0xfffe
	s_xor_b32 s14, exec_lo, s15
; %bb.155:                              ;   in Loop: Header=BB78_2 Depth=1
	ds_load_u8 v65, v68 offset:1
; %bb.156:                              ;   in Loop: Header=BB78_2 Depth=1
	s_wait_alu 0xfffe
	s_or_saveexec_b32 s14, s14
	v_mov_b32_e32 v66, v64
	s_wait_alu 0xfffe
	s_xor_b32 exec_lo, exec_lo, s14
	s_cbranch_execz .LBB78_158
; %bb.157:                              ;   in Loop: Header=BB78_2 Depth=1
	ds_load_u8 v66, v67 offset:1
	s_wait_dscnt 0x1
	v_mov_b32_e32 v65, v63
.LBB78_158:                             ;   in Loop: Header=BB78_2 Depth=1
	s_or_b32 exec_lo, exec_lo, s14
	v_add_nc_u32_e32 v69, 1, v68
	v_add_nc_u32_e32 v70, 1, v67
	s_wait_dscnt 0x0
	v_bfe_i32 v71, v65, 0, 8
	v_bfe_i32 v72, v66, 0, 8
	v_cndmask_b32_e64 v69, v69, v68, s13
	v_cndmask_b32_e64 v68, v67, v70, s13
                                        ; implicit-def: $vgpr67
	s_delay_alu instid0(VALU_DEP_3) | instskip(NEXT) | instid1(VALU_DEP_3)
	v_cmp_lt_i16_e64 s15, v72, v71
	v_cmp_ge_i32_e64 s14, v69, v21
	s_delay_alu instid0(VALU_DEP_3)
	v_cmp_lt_i32_e64 s16, v68, v22
	s_or_b32 s14, s14, s15
	s_wait_alu 0xfffe
	s_and_b32 s14, s16, s14
	s_wait_alu 0xfffe
	s_xor_b32 s15, s14, -1
	s_wait_alu 0xfffe
	s_and_saveexec_b32 s16, s15
	s_delay_alu instid0(SALU_CYCLE_1)
	s_xor_b32 s15, exec_lo, s16
; %bb.159:                              ;   in Loop: Header=BB78_2 Depth=1
	ds_load_u8 v67, v69 offset:1
; %bb.160:                              ;   in Loop: Header=BB78_2 Depth=1
	s_wait_alu 0xfffe
	s_or_saveexec_b32 s15, s15
	v_mov_b32_e32 v70, v66
	s_wait_alu 0xfffe
	s_xor_b32 exec_lo, exec_lo, s15
	s_cbranch_execz .LBB78_162
; %bb.161:                              ;   in Loop: Header=BB78_2 Depth=1
	ds_load_u8 v70, v68 offset:1
	s_wait_dscnt 0x1
	v_mov_b32_e32 v67, v65
.LBB78_162:                             ;   in Loop: Header=BB78_2 Depth=1
	s_or_b32 exec_lo, exec_lo, s15
	v_cndmask_b32_e64 v59, v59, v60, s11
	v_cndmask_b32_e64 v55, v55, v56, s9
	;; [unrolled: 1-line block ×4, first 2 shown]
	v_add_nc_u32_e32 v71, 1, v69
	v_lshlrev_b16 v57, 8, v59
	v_lshlrev_b16 v55, 8, v55
	v_and_b32_e32 v53, 0xff, v53
	v_and_b32_e32 v54, 0xff, v54
	v_cndmask_b32_e64 v65, v65, v66, s14
	v_add_nc_u32_e32 v66, 1, v68
	s_wait_dscnt 0x0
	v_bfe_i32 v72, v67, 0, 8
	v_or_b32_e32 v53, v53, v55
	v_or_b32_e32 v54, v54, v57
	v_bfe_i32 v73, v70, 0, 8
	v_cndmask_b32_e64 v69, v71, v69, s14
	v_cndmask_b32_e64 v63, v63, v64, s13
	v_and_b32_e32 v53, 0xffff, v53
	v_lshlrev_b32_e32 v54, 16, v54
	v_cndmask_b32_e64 v61, v61, v62, s12
	v_cmp_lt_i16_e64 s12, v73, v72
	v_cmp_ge_i32_e64 s13, v69, v21
	v_lshlrev_b16 v58, 8, v63
	v_or_b32_e32 v54, v53, v54
	v_mov_b32_e32 v53, v50
	v_cndmask_b32_e64 v64, v68, v66, s14
	s_or_b32 s8, s13, s12
	v_and_b32_e32 v59, 0xff, v61
	v_and_b32_e32 v60, 0xff, v65
	s_wait_loadcnt 0x0
	v_cmp_lt_i32_e64 s11, v64, v22
	s_barrier_signal -1
	v_or_b32_e32 v55, v59, v58
	s_barrier_wait -1
	global_inv scope:SCOPE_SE
	s_wait_alu 0xfffe
	s_and_b32 s8, s11, s8
	s_wait_alu 0xfffe
	v_cndmask_b32_e64 v56, v67, v70, s8
	v_and_b32_e32 v55, 0xffff, v55
	s_delay_alu instid0(VALU_DEP_2) | instskip(NEXT) | instid1(VALU_DEP_1)
	v_lshlrev_b16 v56, 8, v56
	v_or_b32_e32 v56, v60, v56
	s_delay_alu instid0(VALU_DEP_1) | instskip(NEXT) | instid1(VALU_DEP_1)
	v_lshlrev_b32_e32 v56, 16, v56
	v_or_b32_e32 v55, v55, v56
	ds_store_b64 v1, v[54:55]
	s_wait_loadcnt_dscnt 0x0
	s_barrier_signal -1
	s_barrier_wait -1
	global_inv scope:SCOPE_SE
	s_and_saveexec_b32 s9, s5
	s_cbranch_execz .LBB78_166
; %bb.163:                              ;   in Loop: Header=BB78_2 Depth=1
	v_dual_mov_b32 v53, v50 :: v_dual_mov_b32 v54, v42
	s_mov_b32 s10, 0
.LBB78_164:                             ;   Parent Loop BB78_2 Depth=1
                                        ; =>  This Inner Loop Header: Depth=2
	s_delay_alu instid0(VALU_DEP_1) | instskip(NEXT) | instid1(VALU_DEP_1)
	v_sub_nc_u32_e32 v55, v54, v53
	v_lshrrev_b32_e32 v55, 1, v55
	s_delay_alu instid0(VALU_DEP_1) | instskip(NEXT) | instid1(VALU_DEP_1)
	v_add_nc_u32_e32 v55, v55, v53
	v_add_nc_u32_e32 v56, v7, v55
	v_xad_u32 v57, v55, -1, v34
	v_add_nc_u32_e32 v58, 1, v55
	ds_load_i8 v56, v56
	ds_load_i8 v57, v57
	s_wait_dscnt 0x0
	v_cmp_lt_i16_e64 s8, v57, v56
	s_wait_alu 0xf1ff
	s_delay_alu instid0(VALU_DEP_1) | instskip(SKIP_1) | instid1(VALU_DEP_1)
	v_cndmask_b32_e64 v54, v54, v55, s8
	v_cndmask_b32_e64 v53, v58, v53, s8
	v_cmp_ge_i32_e64 s8, v53, v54
	s_wait_alu 0xfffe
	s_or_b32 s10, s8, s10
	s_wait_alu 0xfffe
	s_and_not1_b32 exec_lo, exec_lo, s10
	s_cbranch_execnz .LBB78_164
; %bb.165:                              ;   in Loop: Header=BB78_2 Depth=1
	s_or_b32 exec_lo, exec_lo, s10
.LBB78_166:                             ;   in Loop: Header=BB78_2 Depth=1
	s_wait_alu 0xfffe
	s_or_b32 exec_lo, exec_lo, s9
	v_add_nc_u32_e32 v58, v53, v7
	v_sub_nc_u32_e32 v57, v34, v53
                                        ; implicit-def: $vgpr55
	ds_load_u8 v53, v58
	ds_load_u8 v54, v57
	v_cmp_le_i32_e64 s8, v23, v58
	v_cmp_gt_i32_e64 s10, v24, v57
	s_wait_dscnt 0x1
	v_bfe_i32 v53, v53, 0, 8
	s_wait_dscnt 0x0
	v_bfe_i32 v54, v54, 0, 8
	s_delay_alu instid0(VALU_DEP_1)
	v_cmp_lt_i16_e64 s9, v54, v53
	s_or_b32 s8, s8, s9
	s_wait_alu 0xfffe
	s_and_b32 s8, s10, s8
	s_wait_alu 0xfffe
	s_xor_b32 s9, s8, -1
	s_wait_alu 0xfffe
	s_and_saveexec_b32 s10, s9
	s_wait_alu 0xfffe
	s_xor_b32 s9, exec_lo, s10
; %bb.167:                              ;   in Loop: Header=BB78_2 Depth=1
	ds_load_u8 v55, v58 offset:1
; %bb.168:                              ;   in Loop: Header=BB78_2 Depth=1
	s_wait_alu 0xfffe
	s_or_saveexec_b32 s9, s9
	v_mov_b32_e32 v56, v54
	s_wait_alu 0xfffe
	s_xor_b32 exec_lo, exec_lo, s9
	s_cbranch_execz .LBB78_170
; %bb.169:                              ;   in Loop: Header=BB78_2 Depth=1
	ds_load_u8 v56, v57 offset:1
	s_wait_dscnt 0x1
	v_mov_b32_e32 v55, v53
.LBB78_170:                             ;   in Loop: Header=BB78_2 Depth=1
	s_or_b32 exec_lo, exec_lo, s9
	v_add_nc_u32_e32 v59, 1, v58
	v_add_nc_u32_e32 v61, 1, v57
	s_wait_dscnt 0x0
	v_bfe_i32 v62, v55, 0, 8
	s_delay_alu instid0(VALU_DEP_3) | instskip(SKIP_2) | instid1(VALU_DEP_3)
	v_cndmask_b32_e64 v60, v59, v58, s8
	v_bfe_i32 v58, v56, 0, 8
	v_cndmask_b32_e64 v59, v57, v61, s8
                                        ; implicit-def: $vgpr57
	v_cmp_ge_i32_e64 s9, v60, v23
	s_delay_alu instid0(VALU_DEP_3) | instskip(NEXT) | instid1(VALU_DEP_3)
	v_cmp_lt_i16_e64 s10, v58, v62
	v_cmp_lt_i32_e64 s11, v59, v24
	s_or_b32 s9, s9, s10
	s_wait_alu 0xfffe
	s_and_b32 s9, s11, s9
	s_wait_alu 0xfffe
	s_xor_b32 s10, s9, -1
	s_wait_alu 0xfffe
	s_and_saveexec_b32 s11, s10
	s_wait_alu 0xfffe
	s_xor_b32 s10, exec_lo, s11
; %bb.171:                              ;   in Loop: Header=BB78_2 Depth=1
	ds_load_u8 v57, v60 offset:1
; %bb.172:                              ;   in Loop: Header=BB78_2 Depth=1
	s_wait_alu 0xfffe
	s_or_saveexec_b32 s10, s10
	v_mov_b32_e32 v58, v56
	s_wait_alu 0xfffe
	s_xor_b32 exec_lo, exec_lo, s10
	s_cbranch_execz .LBB78_174
; %bb.173:                              ;   in Loop: Header=BB78_2 Depth=1
	ds_load_u8 v58, v59 offset:1
	s_wait_dscnt 0x1
	v_mov_b32_e32 v57, v55
.LBB78_174:                             ;   in Loop: Header=BB78_2 Depth=1
	s_or_b32 exec_lo, exec_lo, s10
	v_add_nc_u32_e32 v61, 1, v60
	v_add_nc_u32_e32 v63, 1, v59
	s_wait_dscnt 0x0
	v_bfe_i32 v64, v57, 0, 8
	s_delay_alu instid0(VALU_DEP_3) | instskip(SKIP_2) | instid1(VALU_DEP_3)
	v_cndmask_b32_e64 v62, v61, v60, s9
	v_bfe_i32 v60, v58, 0, 8
	v_cndmask_b32_e64 v61, v59, v63, s9
                                        ; implicit-def: $vgpr59
	v_cmp_ge_i32_e64 s10, v62, v23
	s_delay_alu instid0(VALU_DEP_3) | instskip(NEXT) | instid1(VALU_DEP_3)
	v_cmp_lt_i16_e64 s11, v60, v64
	v_cmp_lt_i32_e64 s12, v61, v24
	s_or_b32 s10, s10, s11
	s_wait_alu 0xfffe
	s_and_b32 s10, s12, s10
	s_wait_alu 0xfffe
	s_xor_b32 s11, s10, -1
	s_wait_alu 0xfffe
	s_and_saveexec_b32 s12, s11
	s_wait_alu 0xfffe
	s_xor_b32 s11, exec_lo, s12
; %bb.175:                              ;   in Loop: Header=BB78_2 Depth=1
	ds_load_u8 v59, v62 offset:1
; %bb.176:                              ;   in Loop: Header=BB78_2 Depth=1
	s_wait_alu 0xfffe
	s_or_saveexec_b32 s11, s11
	v_mov_b32_e32 v60, v58
	s_wait_alu 0xfffe
	s_xor_b32 exec_lo, exec_lo, s11
	s_cbranch_execz .LBB78_178
; %bb.177:                              ;   in Loop: Header=BB78_2 Depth=1
	ds_load_u8 v60, v61 offset:1
	s_wait_dscnt 0x1
	v_mov_b32_e32 v59, v57
.LBB78_178:                             ;   in Loop: Header=BB78_2 Depth=1
	s_or_b32 exec_lo, exec_lo, s11
	v_add_nc_u32_e32 v63, 1, v62
	v_add_nc_u32_e32 v65, 1, v61
	s_wait_dscnt 0x0
	v_bfe_i32 v66, v59, 0, 8
	s_delay_alu instid0(VALU_DEP_3) | instskip(SKIP_2) | instid1(VALU_DEP_3)
	v_cndmask_b32_e64 v64, v63, v62, s10
	v_bfe_i32 v62, v60, 0, 8
	v_cndmask_b32_e64 v63, v61, v65, s10
                                        ; implicit-def: $vgpr61
	v_cmp_ge_i32_e64 s11, v64, v23
	s_delay_alu instid0(VALU_DEP_3) | instskip(NEXT) | instid1(VALU_DEP_3)
	v_cmp_lt_i16_e64 s12, v62, v66
	v_cmp_lt_i32_e64 s13, v63, v24
	s_or_b32 s11, s11, s12
	s_wait_alu 0xfffe
	s_and_b32 s11, s13, s11
	s_wait_alu 0xfffe
	s_xor_b32 s12, s11, -1
	s_wait_alu 0xfffe
	s_and_saveexec_b32 s13, s12
	s_wait_alu 0xfffe
	s_xor_b32 s12, exec_lo, s13
; %bb.179:                              ;   in Loop: Header=BB78_2 Depth=1
	ds_load_u8 v61, v64 offset:1
; %bb.180:                              ;   in Loop: Header=BB78_2 Depth=1
	s_wait_alu 0xfffe
	s_or_saveexec_b32 s12, s12
	v_mov_b32_e32 v62, v60
	s_wait_alu 0xfffe
	s_xor_b32 exec_lo, exec_lo, s12
	s_cbranch_execz .LBB78_182
; %bb.181:                              ;   in Loop: Header=BB78_2 Depth=1
	ds_load_u8 v62, v63 offset:1
	s_wait_dscnt 0x1
	v_mov_b32_e32 v61, v59
.LBB78_182:                             ;   in Loop: Header=BB78_2 Depth=1
	s_or_b32 exec_lo, exec_lo, s12
	v_add_nc_u32_e32 v65, 1, v64
	v_add_nc_u32_e32 v67, 1, v63
	s_wait_dscnt 0x0
	v_bfe_i32 v68, v61, 0, 8
	s_delay_alu instid0(VALU_DEP_3) | instskip(SKIP_2) | instid1(VALU_DEP_3)
	v_cndmask_b32_e64 v66, v65, v64, s11
	v_bfe_i32 v64, v62, 0, 8
	v_cndmask_b32_e64 v65, v63, v67, s11
                                        ; implicit-def: $vgpr63
	v_cmp_ge_i32_e64 s12, v66, v23
	s_delay_alu instid0(VALU_DEP_3) | instskip(NEXT) | instid1(VALU_DEP_3)
	v_cmp_lt_i16_e64 s13, v64, v68
	v_cmp_lt_i32_e64 s14, v65, v24
	s_or_b32 s12, s12, s13
	s_wait_alu 0xfffe
	s_and_b32 s12, s14, s12
	s_wait_alu 0xfffe
	s_xor_b32 s13, s12, -1
	s_wait_alu 0xfffe
	s_and_saveexec_b32 s14, s13
	s_wait_alu 0xfffe
	s_xor_b32 s13, exec_lo, s14
; %bb.183:                              ;   in Loop: Header=BB78_2 Depth=1
	ds_load_u8 v63, v66 offset:1
; %bb.184:                              ;   in Loop: Header=BB78_2 Depth=1
	s_wait_alu 0xfffe
	s_or_saveexec_b32 s13, s13
	v_mov_b32_e32 v64, v62
	s_wait_alu 0xfffe
	s_xor_b32 exec_lo, exec_lo, s13
	s_cbranch_execz .LBB78_186
; %bb.185:                              ;   in Loop: Header=BB78_2 Depth=1
	ds_load_u8 v64, v65 offset:1
	s_wait_dscnt 0x1
	v_mov_b32_e32 v63, v61
.LBB78_186:                             ;   in Loop: Header=BB78_2 Depth=1
	s_or_b32 exec_lo, exec_lo, s13
	v_add_nc_u32_e32 v67, 1, v66
	v_add_nc_u32_e32 v69, 1, v65
	s_wait_dscnt 0x0
	v_bfe_i32 v70, v63, 0, 8
	s_delay_alu instid0(VALU_DEP_3) | instskip(SKIP_2) | instid1(VALU_DEP_3)
	v_cndmask_b32_e64 v68, v67, v66, s12
	v_bfe_i32 v66, v64, 0, 8
	v_cndmask_b32_e64 v67, v65, v69, s12
                                        ; implicit-def: $vgpr65
	v_cmp_ge_i32_e64 s13, v68, v23
	s_delay_alu instid0(VALU_DEP_3) | instskip(NEXT) | instid1(VALU_DEP_3)
	v_cmp_lt_i16_e64 s14, v66, v70
	v_cmp_lt_i32_e64 s15, v67, v24
	s_or_b32 s13, s13, s14
	s_wait_alu 0xfffe
	s_and_b32 s13, s15, s13
	s_wait_alu 0xfffe
	s_xor_b32 s14, s13, -1
	s_wait_alu 0xfffe
	s_and_saveexec_b32 s15, s14
	s_wait_alu 0xfffe
	s_xor_b32 s14, exec_lo, s15
; %bb.187:                              ;   in Loop: Header=BB78_2 Depth=1
	ds_load_u8 v65, v68 offset:1
; %bb.188:                              ;   in Loop: Header=BB78_2 Depth=1
	s_wait_alu 0xfffe
	s_or_saveexec_b32 s14, s14
	v_mov_b32_e32 v66, v64
	s_wait_alu 0xfffe
	s_xor_b32 exec_lo, exec_lo, s14
	s_cbranch_execz .LBB78_190
; %bb.189:                              ;   in Loop: Header=BB78_2 Depth=1
	ds_load_u8 v66, v67 offset:1
	s_wait_dscnt 0x1
	v_mov_b32_e32 v65, v63
.LBB78_190:                             ;   in Loop: Header=BB78_2 Depth=1
	s_or_b32 exec_lo, exec_lo, s14
	v_add_nc_u32_e32 v69, 1, v68
	v_add_nc_u32_e32 v70, 1, v67
	s_wait_dscnt 0x0
	v_bfe_i32 v71, v65, 0, 8
	v_bfe_i32 v72, v66, 0, 8
	v_cndmask_b32_e64 v69, v69, v68, s13
	v_cndmask_b32_e64 v68, v67, v70, s13
                                        ; implicit-def: $vgpr67
	s_delay_alu instid0(VALU_DEP_3) | instskip(NEXT) | instid1(VALU_DEP_3)
	v_cmp_lt_i16_e64 s15, v72, v71
	v_cmp_ge_i32_e64 s14, v69, v23
	s_delay_alu instid0(VALU_DEP_3)
	v_cmp_lt_i32_e64 s16, v68, v24
	s_or_b32 s14, s14, s15
	s_wait_alu 0xfffe
	s_and_b32 s14, s16, s14
	s_wait_alu 0xfffe
	s_xor_b32 s15, s14, -1
	s_wait_alu 0xfffe
	s_and_saveexec_b32 s16, s15
	s_delay_alu instid0(SALU_CYCLE_1)
	s_xor_b32 s15, exec_lo, s16
; %bb.191:                              ;   in Loop: Header=BB78_2 Depth=1
	ds_load_u8 v67, v69 offset:1
; %bb.192:                              ;   in Loop: Header=BB78_2 Depth=1
	s_wait_alu 0xfffe
	s_or_saveexec_b32 s15, s15
	v_mov_b32_e32 v70, v66
	s_wait_alu 0xfffe
	s_xor_b32 exec_lo, exec_lo, s15
	s_cbranch_execz .LBB78_194
; %bb.193:                              ;   in Loop: Header=BB78_2 Depth=1
	ds_load_u8 v70, v68 offset:1
	s_wait_dscnt 0x1
	v_mov_b32_e32 v67, v65
.LBB78_194:                             ;   in Loop: Header=BB78_2 Depth=1
	s_or_b32 exec_lo, exec_lo, s15
	v_cndmask_b32_e64 v59, v59, v60, s11
	v_cndmask_b32_e64 v55, v55, v56, s9
	;; [unrolled: 1-line block ×4, first 2 shown]
	v_add_nc_u32_e32 v71, 1, v69
	v_lshlrev_b16 v57, 8, v59
	v_lshlrev_b16 v55, 8, v55
	v_and_b32_e32 v53, 0xff, v53
	v_and_b32_e32 v54, 0xff, v54
	v_cndmask_b32_e64 v65, v65, v66, s14
	v_add_nc_u32_e32 v66, 1, v68
	s_wait_dscnt 0x0
	v_bfe_i32 v72, v67, 0, 8
	v_or_b32_e32 v53, v53, v55
	v_or_b32_e32 v54, v54, v57
	v_bfe_i32 v73, v70, 0, 8
	v_cndmask_b32_e64 v69, v71, v69, s14
	v_cndmask_b32_e64 v63, v63, v64, s13
	v_and_b32_e32 v53, 0xffff, v53
	v_lshlrev_b32_e32 v54, 16, v54
	v_cndmask_b32_e64 v61, v61, v62, s12
	v_cmp_lt_i16_e64 s12, v73, v72
	v_cmp_ge_i32_e64 s13, v69, v23
	v_lshlrev_b16 v58, 8, v63
	v_or_b32_e32 v54, v53, v54
	v_mov_b32_e32 v53, v51
	v_cndmask_b32_e64 v64, v68, v66, s14
	s_or_b32 s8, s13, s12
	v_and_b32_e32 v59, 0xff, v61
	v_and_b32_e32 v60, 0xff, v65
	s_wait_loadcnt 0x0
	v_cmp_lt_i32_e64 s11, v64, v24
	s_barrier_signal -1
	v_or_b32_e32 v55, v59, v58
	s_barrier_wait -1
	global_inv scope:SCOPE_SE
	s_wait_alu 0xfffe
	s_and_b32 s8, s11, s8
	s_wait_alu 0xfffe
	v_cndmask_b32_e64 v56, v67, v70, s8
	v_and_b32_e32 v55, 0xffff, v55
	s_delay_alu instid0(VALU_DEP_2) | instskip(NEXT) | instid1(VALU_DEP_1)
	v_lshlrev_b16 v56, 8, v56
	v_or_b32_e32 v56, v60, v56
	s_delay_alu instid0(VALU_DEP_1) | instskip(NEXT) | instid1(VALU_DEP_1)
	v_lshlrev_b32_e32 v56, 16, v56
	v_or_b32_e32 v55, v55, v56
	ds_store_b64 v1, v[54:55]
	s_wait_loadcnt_dscnt 0x0
	s_barrier_signal -1
	s_barrier_wait -1
	global_inv scope:SCOPE_SE
	s_and_saveexec_b32 s9, s6
	s_cbranch_execz .LBB78_198
; %bb.195:                              ;   in Loop: Header=BB78_2 Depth=1
	v_dual_mov_b32 v53, v51 :: v_dual_mov_b32 v54, v43
	s_mov_b32 s10, 0
.LBB78_196:                             ;   Parent Loop BB78_2 Depth=1
                                        ; =>  This Inner Loop Header: Depth=2
	s_delay_alu instid0(VALU_DEP_1) | instskip(NEXT) | instid1(VALU_DEP_1)
	v_sub_nc_u32_e32 v55, v54, v53
	v_lshrrev_b32_e32 v55, 1, v55
	s_delay_alu instid0(VALU_DEP_1) | instskip(NEXT) | instid1(VALU_DEP_1)
	v_add_nc_u32_e32 v55, v55, v53
	v_add_nc_u32_e32 v56, v8, v55
	v_xad_u32 v57, v55, -1, v35
	v_add_nc_u32_e32 v58, 1, v55
	ds_load_i8 v56, v56
	ds_load_i8 v57, v57
	s_wait_dscnt 0x0
	v_cmp_lt_i16_e64 s8, v57, v56
	s_wait_alu 0xf1ff
	s_delay_alu instid0(VALU_DEP_1) | instskip(SKIP_1) | instid1(VALU_DEP_1)
	v_cndmask_b32_e64 v54, v54, v55, s8
	v_cndmask_b32_e64 v53, v58, v53, s8
	v_cmp_ge_i32_e64 s8, v53, v54
	s_wait_alu 0xfffe
	s_or_b32 s10, s8, s10
	s_wait_alu 0xfffe
	s_and_not1_b32 exec_lo, exec_lo, s10
	s_cbranch_execnz .LBB78_196
; %bb.197:                              ;   in Loop: Header=BB78_2 Depth=1
	s_or_b32 exec_lo, exec_lo, s10
.LBB78_198:                             ;   in Loop: Header=BB78_2 Depth=1
	s_wait_alu 0xfffe
	s_or_b32 exec_lo, exec_lo, s9
	v_add_nc_u32_e32 v58, v53, v8
	v_sub_nc_u32_e32 v57, v35, v53
                                        ; implicit-def: $vgpr55
	ds_load_u8 v53, v58
	ds_load_u8 v54, v57
	v_cmp_le_i32_e64 s8, v25, v58
	v_cmp_gt_i32_e64 s10, v26, v57
	s_wait_dscnt 0x1
	v_bfe_i32 v53, v53, 0, 8
	s_wait_dscnt 0x0
	v_bfe_i32 v54, v54, 0, 8
	s_delay_alu instid0(VALU_DEP_1)
	v_cmp_lt_i16_e64 s9, v54, v53
	s_or_b32 s8, s8, s9
	s_wait_alu 0xfffe
	s_and_b32 s8, s10, s8
	s_wait_alu 0xfffe
	s_xor_b32 s9, s8, -1
	s_wait_alu 0xfffe
	s_and_saveexec_b32 s10, s9
	s_wait_alu 0xfffe
	s_xor_b32 s9, exec_lo, s10
; %bb.199:                              ;   in Loop: Header=BB78_2 Depth=1
	ds_load_u8 v55, v58 offset:1
; %bb.200:                              ;   in Loop: Header=BB78_2 Depth=1
	s_wait_alu 0xfffe
	s_or_saveexec_b32 s9, s9
	v_mov_b32_e32 v56, v54
	s_wait_alu 0xfffe
	s_xor_b32 exec_lo, exec_lo, s9
	s_cbranch_execz .LBB78_202
; %bb.201:                              ;   in Loop: Header=BB78_2 Depth=1
	ds_load_u8 v56, v57 offset:1
	s_wait_dscnt 0x1
	v_mov_b32_e32 v55, v53
.LBB78_202:                             ;   in Loop: Header=BB78_2 Depth=1
	s_or_b32 exec_lo, exec_lo, s9
	v_add_nc_u32_e32 v59, 1, v58
	v_add_nc_u32_e32 v61, 1, v57
	s_wait_dscnt 0x0
	v_bfe_i32 v62, v55, 0, 8
	s_delay_alu instid0(VALU_DEP_3) | instskip(SKIP_2) | instid1(VALU_DEP_3)
	v_cndmask_b32_e64 v60, v59, v58, s8
	v_bfe_i32 v58, v56, 0, 8
	v_cndmask_b32_e64 v59, v57, v61, s8
                                        ; implicit-def: $vgpr57
	v_cmp_ge_i32_e64 s9, v60, v25
	s_delay_alu instid0(VALU_DEP_3) | instskip(NEXT) | instid1(VALU_DEP_3)
	v_cmp_lt_i16_e64 s10, v58, v62
	v_cmp_lt_i32_e64 s11, v59, v26
	s_or_b32 s9, s9, s10
	s_wait_alu 0xfffe
	s_and_b32 s9, s11, s9
	s_wait_alu 0xfffe
	s_xor_b32 s10, s9, -1
	s_wait_alu 0xfffe
	s_and_saveexec_b32 s11, s10
	s_wait_alu 0xfffe
	s_xor_b32 s10, exec_lo, s11
; %bb.203:                              ;   in Loop: Header=BB78_2 Depth=1
	ds_load_u8 v57, v60 offset:1
; %bb.204:                              ;   in Loop: Header=BB78_2 Depth=1
	s_wait_alu 0xfffe
	s_or_saveexec_b32 s10, s10
	v_mov_b32_e32 v58, v56
	s_wait_alu 0xfffe
	s_xor_b32 exec_lo, exec_lo, s10
	s_cbranch_execz .LBB78_206
; %bb.205:                              ;   in Loop: Header=BB78_2 Depth=1
	ds_load_u8 v58, v59 offset:1
	s_wait_dscnt 0x1
	v_mov_b32_e32 v57, v55
.LBB78_206:                             ;   in Loop: Header=BB78_2 Depth=1
	s_or_b32 exec_lo, exec_lo, s10
	v_add_nc_u32_e32 v61, 1, v60
	v_add_nc_u32_e32 v63, 1, v59
	s_wait_dscnt 0x0
	v_bfe_i32 v64, v57, 0, 8
	s_delay_alu instid0(VALU_DEP_3) | instskip(SKIP_2) | instid1(VALU_DEP_3)
	v_cndmask_b32_e64 v62, v61, v60, s9
	v_bfe_i32 v60, v58, 0, 8
	v_cndmask_b32_e64 v61, v59, v63, s9
                                        ; implicit-def: $vgpr59
	v_cmp_ge_i32_e64 s10, v62, v25
	s_delay_alu instid0(VALU_DEP_3) | instskip(NEXT) | instid1(VALU_DEP_3)
	v_cmp_lt_i16_e64 s11, v60, v64
	v_cmp_lt_i32_e64 s12, v61, v26
	s_or_b32 s10, s10, s11
	s_wait_alu 0xfffe
	s_and_b32 s10, s12, s10
	s_wait_alu 0xfffe
	s_xor_b32 s11, s10, -1
	s_wait_alu 0xfffe
	s_and_saveexec_b32 s12, s11
	s_wait_alu 0xfffe
	s_xor_b32 s11, exec_lo, s12
; %bb.207:                              ;   in Loop: Header=BB78_2 Depth=1
	ds_load_u8 v59, v62 offset:1
; %bb.208:                              ;   in Loop: Header=BB78_2 Depth=1
	s_wait_alu 0xfffe
	s_or_saveexec_b32 s11, s11
	v_mov_b32_e32 v60, v58
	s_wait_alu 0xfffe
	s_xor_b32 exec_lo, exec_lo, s11
	s_cbranch_execz .LBB78_210
; %bb.209:                              ;   in Loop: Header=BB78_2 Depth=1
	ds_load_u8 v60, v61 offset:1
	s_wait_dscnt 0x1
	v_mov_b32_e32 v59, v57
.LBB78_210:                             ;   in Loop: Header=BB78_2 Depth=1
	s_or_b32 exec_lo, exec_lo, s11
	v_add_nc_u32_e32 v63, 1, v62
	v_add_nc_u32_e32 v65, 1, v61
	s_wait_dscnt 0x0
	v_bfe_i32 v66, v59, 0, 8
	s_delay_alu instid0(VALU_DEP_3) | instskip(SKIP_2) | instid1(VALU_DEP_3)
	v_cndmask_b32_e64 v64, v63, v62, s10
	v_bfe_i32 v62, v60, 0, 8
	v_cndmask_b32_e64 v63, v61, v65, s10
                                        ; implicit-def: $vgpr61
	v_cmp_ge_i32_e64 s11, v64, v25
	s_delay_alu instid0(VALU_DEP_3) | instskip(NEXT) | instid1(VALU_DEP_3)
	v_cmp_lt_i16_e64 s12, v62, v66
	v_cmp_lt_i32_e64 s13, v63, v26
	s_or_b32 s11, s11, s12
	s_wait_alu 0xfffe
	s_and_b32 s11, s13, s11
	s_wait_alu 0xfffe
	s_xor_b32 s12, s11, -1
	s_wait_alu 0xfffe
	s_and_saveexec_b32 s13, s12
	s_wait_alu 0xfffe
	s_xor_b32 s12, exec_lo, s13
; %bb.211:                              ;   in Loop: Header=BB78_2 Depth=1
	ds_load_u8 v61, v64 offset:1
; %bb.212:                              ;   in Loop: Header=BB78_2 Depth=1
	s_wait_alu 0xfffe
	s_or_saveexec_b32 s12, s12
	v_mov_b32_e32 v62, v60
	s_wait_alu 0xfffe
	s_xor_b32 exec_lo, exec_lo, s12
	s_cbranch_execz .LBB78_214
; %bb.213:                              ;   in Loop: Header=BB78_2 Depth=1
	ds_load_u8 v62, v63 offset:1
	s_wait_dscnt 0x1
	v_mov_b32_e32 v61, v59
.LBB78_214:                             ;   in Loop: Header=BB78_2 Depth=1
	s_or_b32 exec_lo, exec_lo, s12
	v_add_nc_u32_e32 v65, 1, v64
	v_add_nc_u32_e32 v67, 1, v63
	s_wait_dscnt 0x0
	v_bfe_i32 v68, v61, 0, 8
	s_delay_alu instid0(VALU_DEP_3) | instskip(SKIP_2) | instid1(VALU_DEP_3)
	v_cndmask_b32_e64 v66, v65, v64, s11
	v_bfe_i32 v64, v62, 0, 8
	v_cndmask_b32_e64 v65, v63, v67, s11
                                        ; implicit-def: $vgpr63
	v_cmp_ge_i32_e64 s12, v66, v25
	s_delay_alu instid0(VALU_DEP_3) | instskip(NEXT) | instid1(VALU_DEP_3)
	v_cmp_lt_i16_e64 s13, v64, v68
	v_cmp_lt_i32_e64 s14, v65, v26
	s_or_b32 s12, s12, s13
	s_wait_alu 0xfffe
	s_and_b32 s12, s14, s12
	s_wait_alu 0xfffe
	s_xor_b32 s13, s12, -1
	s_wait_alu 0xfffe
	s_and_saveexec_b32 s14, s13
	s_wait_alu 0xfffe
	s_xor_b32 s13, exec_lo, s14
; %bb.215:                              ;   in Loop: Header=BB78_2 Depth=1
	ds_load_u8 v63, v66 offset:1
; %bb.216:                              ;   in Loop: Header=BB78_2 Depth=1
	s_wait_alu 0xfffe
	s_or_saveexec_b32 s13, s13
	v_mov_b32_e32 v64, v62
	s_wait_alu 0xfffe
	s_xor_b32 exec_lo, exec_lo, s13
	s_cbranch_execz .LBB78_218
; %bb.217:                              ;   in Loop: Header=BB78_2 Depth=1
	ds_load_u8 v64, v65 offset:1
	s_wait_dscnt 0x1
	v_mov_b32_e32 v63, v61
.LBB78_218:                             ;   in Loop: Header=BB78_2 Depth=1
	s_or_b32 exec_lo, exec_lo, s13
	v_add_nc_u32_e32 v67, 1, v66
	v_add_nc_u32_e32 v69, 1, v65
	s_wait_dscnt 0x0
	v_bfe_i32 v70, v63, 0, 8
	s_delay_alu instid0(VALU_DEP_3) | instskip(SKIP_2) | instid1(VALU_DEP_3)
	v_cndmask_b32_e64 v68, v67, v66, s12
	v_bfe_i32 v66, v64, 0, 8
	v_cndmask_b32_e64 v67, v65, v69, s12
                                        ; implicit-def: $vgpr65
	v_cmp_ge_i32_e64 s13, v68, v25
	s_delay_alu instid0(VALU_DEP_3) | instskip(NEXT) | instid1(VALU_DEP_3)
	v_cmp_lt_i16_e64 s14, v66, v70
	v_cmp_lt_i32_e64 s15, v67, v26
	s_or_b32 s13, s13, s14
	s_wait_alu 0xfffe
	s_and_b32 s13, s15, s13
	s_wait_alu 0xfffe
	s_xor_b32 s14, s13, -1
	s_wait_alu 0xfffe
	s_and_saveexec_b32 s15, s14
	s_wait_alu 0xfffe
	s_xor_b32 s14, exec_lo, s15
; %bb.219:                              ;   in Loop: Header=BB78_2 Depth=1
	ds_load_u8 v65, v68 offset:1
; %bb.220:                              ;   in Loop: Header=BB78_2 Depth=1
	s_wait_alu 0xfffe
	s_or_saveexec_b32 s14, s14
	v_mov_b32_e32 v66, v64
	s_wait_alu 0xfffe
	s_xor_b32 exec_lo, exec_lo, s14
	s_cbranch_execz .LBB78_222
; %bb.221:                              ;   in Loop: Header=BB78_2 Depth=1
	ds_load_u8 v66, v67 offset:1
	s_wait_dscnt 0x1
	v_mov_b32_e32 v65, v63
.LBB78_222:                             ;   in Loop: Header=BB78_2 Depth=1
	s_or_b32 exec_lo, exec_lo, s14
	v_add_nc_u32_e32 v69, 1, v68
	v_add_nc_u32_e32 v70, 1, v67
	s_wait_dscnt 0x0
	v_bfe_i32 v71, v65, 0, 8
	v_bfe_i32 v72, v66, 0, 8
	v_cndmask_b32_e64 v69, v69, v68, s13
	v_cndmask_b32_e64 v68, v67, v70, s13
                                        ; implicit-def: $vgpr67
	s_delay_alu instid0(VALU_DEP_3) | instskip(NEXT) | instid1(VALU_DEP_3)
	v_cmp_lt_i16_e64 s15, v72, v71
	v_cmp_ge_i32_e64 s14, v69, v25
	s_delay_alu instid0(VALU_DEP_3)
	v_cmp_lt_i32_e64 s16, v68, v26
	s_or_b32 s14, s14, s15
	s_wait_alu 0xfffe
	s_and_b32 s14, s16, s14
	s_wait_alu 0xfffe
	s_xor_b32 s15, s14, -1
	s_wait_alu 0xfffe
	s_and_saveexec_b32 s16, s15
	s_delay_alu instid0(SALU_CYCLE_1)
	s_xor_b32 s15, exec_lo, s16
; %bb.223:                              ;   in Loop: Header=BB78_2 Depth=1
	ds_load_u8 v67, v69 offset:1
; %bb.224:                              ;   in Loop: Header=BB78_2 Depth=1
	s_wait_alu 0xfffe
	s_or_saveexec_b32 s15, s15
	v_mov_b32_e32 v70, v66
	s_wait_alu 0xfffe
	s_xor_b32 exec_lo, exec_lo, s15
	s_cbranch_execz .LBB78_226
; %bb.225:                              ;   in Loop: Header=BB78_2 Depth=1
	ds_load_u8 v70, v68 offset:1
	s_wait_dscnt 0x1
	v_mov_b32_e32 v67, v65
.LBB78_226:                             ;   in Loop: Header=BB78_2 Depth=1
	s_or_b32 exec_lo, exec_lo, s15
	v_cndmask_b32_e64 v59, v59, v60, s11
	v_cndmask_b32_e64 v55, v55, v56, s9
	v_cndmask_b32_e64 v53, v53, v54, s8
	v_cndmask_b32_e64 v54, v57, v58, s10
	v_add_nc_u32_e32 v71, 1, v69
	v_lshlrev_b16 v57, 8, v59
	v_lshlrev_b16 v55, 8, v55
	v_and_b32_e32 v53, 0xff, v53
	v_and_b32_e32 v54, 0xff, v54
	v_cndmask_b32_e64 v65, v65, v66, s14
	v_add_nc_u32_e32 v66, 1, v68
	s_wait_dscnt 0x0
	v_bfe_i32 v72, v67, 0, 8
	v_or_b32_e32 v53, v53, v55
	v_or_b32_e32 v54, v54, v57
	v_bfe_i32 v73, v70, 0, 8
	v_cndmask_b32_e64 v69, v71, v69, s14
	v_cndmask_b32_e64 v63, v63, v64, s13
	v_and_b32_e32 v53, 0xffff, v53
	v_lshlrev_b32_e32 v54, 16, v54
	v_cndmask_b32_e64 v61, v61, v62, s12
	v_cmp_lt_i16_e64 s12, v73, v72
	v_cmp_ge_i32_e64 s13, v69, v25
	v_lshlrev_b16 v58, 8, v63
	v_or_b32_e32 v54, v53, v54
	v_mov_b32_e32 v53, v52
	v_cndmask_b32_e64 v64, v68, v66, s14
	s_or_b32 s8, s13, s12
	v_and_b32_e32 v59, 0xff, v61
	v_and_b32_e32 v60, 0xff, v65
	s_wait_loadcnt 0x0
	v_cmp_lt_i32_e64 s11, v64, v26
	s_barrier_signal -1
	v_or_b32_e32 v55, v59, v58
	s_barrier_wait -1
	global_inv scope:SCOPE_SE
	s_wait_alu 0xfffe
	s_and_b32 s8, s11, s8
	s_wait_alu 0xfffe
	v_cndmask_b32_e64 v56, v67, v70, s8
	v_and_b32_e32 v55, 0xffff, v55
	s_delay_alu instid0(VALU_DEP_2) | instskip(NEXT) | instid1(VALU_DEP_1)
	v_lshlrev_b16 v56, 8, v56
	v_or_b32_e32 v56, v60, v56
	s_delay_alu instid0(VALU_DEP_1) | instskip(NEXT) | instid1(VALU_DEP_1)
	v_lshlrev_b32_e32 v56, 16, v56
	v_or_b32_e32 v55, v55, v56
	ds_store_b64 v1, v[54:55]
	s_wait_loadcnt_dscnt 0x0
	s_barrier_signal -1
	s_barrier_wait -1
	global_inv scope:SCOPE_SE
	s_and_saveexec_b32 s9, s7
	s_cbranch_execz .LBB78_230
; %bb.227:                              ;   in Loop: Header=BB78_2 Depth=1
	v_dual_mov_b32 v53, v52 :: v_dual_mov_b32 v54, v44
	s_mov_b32 s10, 0
.LBB78_228:                             ;   Parent Loop BB78_2 Depth=1
                                        ; =>  This Inner Loop Header: Depth=2
	s_delay_alu instid0(VALU_DEP_1) | instskip(NEXT) | instid1(VALU_DEP_1)
	v_sub_nc_u32_e32 v55, v54, v53
	v_lshrrev_b32_e32 v55, 1, v55
	s_delay_alu instid0(VALU_DEP_1) | instskip(NEXT) | instid1(VALU_DEP_1)
	v_add_nc_u32_e32 v55, v55, v53
	v_add_nc_u32_e32 v56, v9, v55
	v_xad_u32 v57, v55, -1, v36
	v_add_nc_u32_e32 v58, 1, v55
	ds_load_i8 v56, v56
	ds_load_i8 v57, v57
	s_wait_dscnt 0x0
	v_cmp_lt_i16_e64 s8, v57, v56
	s_wait_alu 0xf1ff
	s_delay_alu instid0(VALU_DEP_1) | instskip(SKIP_1) | instid1(VALU_DEP_1)
	v_cndmask_b32_e64 v54, v54, v55, s8
	v_cndmask_b32_e64 v53, v58, v53, s8
	v_cmp_ge_i32_e64 s8, v53, v54
	s_wait_alu 0xfffe
	s_or_b32 s10, s8, s10
	s_wait_alu 0xfffe
	s_and_not1_b32 exec_lo, exec_lo, s10
	s_cbranch_execnz .LBB78_228
; %bb.229:                              ;   in Loop: Header=BB78_2 Depth=1
	s_or_b32 exec_lo, exec_lo, s10
.LBB78_230:                             ;   in Loop: Header=BB78_2 Depth=1
	s_wait_alu 0xfffe
	s_or_b32 exec_lo, exec_lo, s9
	v_add_nc_u32_e32 v58, v53, v9
	v_sub_nc_u32_e32 v57, v36, v53
                                        ; implicit-def: $vgpr55
	ds_load_u8 v53, v58
	ds_load_u8 v54, v57
	v_cmp_le_i32_e64 s8, v27, v58
	v_cmp_gt_i32_e64 s10, v28, v57
	s_wait_dscnt 0x1
	v_bfe_i32 v53, v53, 0, 8
	s_wait_dscnt 0x0
	v_bfe_i32 v54, v54, 0, 8
	s_delay_alu instid0(VALU_DEP_1)
	v_cmp_lt_i16_e64 s9, v54, v53
	s_or_b32 s8, s8, s9
	s_wait_alu 0xfffe
	s_and_b32 s8, s10, s8
	s_wait_alu 0xfffe
	s_xor_b32 s9, s8, -1
	s_wait_alu 0xfffe
	s_and_saveexec_b32 s10, s9
	s_wait_alu 0xfffe
	s_xor_b32 s9, exec_lo, s10
; %bb.231:                              ;   in Loop: Header=BB78_2 Depth=1
	ds_load_u8 v55, v58 offset:1
; %bb.232:                              ;   in Loop: Header=BB78_2 Depth=1
	s_wait_alu 0xfffe
	s_or_saveexec_b32 s9, s9
	v_mov_b32_e32 v56, v54
	s_wait_alu 0xfffe
	s_xor_b32 exec_lo, exec_lo, s9
	s_cbranch_execz .LBB78_234
; %bb.233:                              ;   in Loop: Header=BB78_2 Depth=1
	ds_load_u8 v56, v57 offset:1
	s_wait_dscnt 0x1
	v_mov_b32_e32 v55, v53
.LBB78_234:                             ;   in Loop: Header=BB78_2 Depth=1
	s_or_b32 exec_lo, exec_lo, s9
	v_add_nc_u32_e32 v59, 1, v58
	v_add_nc_u32_e32 v61, 1, v57
	s_wait_dscnt 0x0
	v_bfe_i32 v62, v55, 0, 8
	s_delay_alu instid0(VALU_DEP_3) | instskip(SKIP_2) | instid1(VALU_DEP_3)
	v_cndmask_b32_e64 v60, v59, v58, s8
	v_bfe_i32 v58, v56, 0, 8
	v_cndmask_b32_e64 v59, v57, v61, s8
                                        ; implicit-def: $vgpr57
	v_cmp_ge_i32_e64 s9, v60, v27
	s_delay_alu instid0(VALU_DEP_3) | instskip(NEXT) | instid1(VALU_DEP_3)
	v_cmp_lt_i16_e64 s10, v58, v62
	v_cmp_lt_i32_e64 s11, v59, v28
	s_or_b32 s9, s9, s10
	s_wait_alu 0xfffe
	s_and_b32 s9, s11, s9
	s_wait_alu 0xfffe
	s_xor_b32 s10, s9, -1
	s_wait_alu 0xfffe
	s_and_saveexec_b32 s11, s10
	s_wait_alu 0xfffe
	s_xor_b32 s10, exec_lo, s11
; %bb.235:                              ;   in Loop: Header=BB78_2 Depth=1
	ds_load_u8 v57, v60 offset:1
; %bb.236:                              ;   in Loop: Header=BB78_2 Depth=1
	s_wait_alu 0xfffe
	s_or_saveexec_b32 s10, s10
	v_mov_b32_e32 v58, v56
	s_wait_alu 0xfffe
	s_xor_b32 exec_lo, exec_lo, s10
	s_cbranch_execz .LBB78_238
; %bb.237:                              ;   in Loop: Header=BB78_2 Depth=1
	ds_load_u8 v58, v59 offset:1
	s_wait_dscnt 0x1
	v_mov_b32_e32 v57, v55
.LBB78_238:                             ;   in Loop: Header=BB78_2 Depth=1
	s_or_b32 exec_lo, exec_lo, s10
	v_add_nc_u32_e32 v61, 1, v60
	v_add_nc_u32_e32 v63, 1, v59
	s_wait_dscnt 0x0
	v_bfe_i32 v64, v57, 0, 8
	s_delay_alu instid0(VALU_DEP_3) | instskip(SKIP_2) | instid1(VALU_DEP_3)
	v_cndmask_b32_e64 v62, v61, v60, s9
	v_bfe_i32 v60, v58, 0, 8
	v_cndmask_b32_e64 v61, v59, v63, s9
                                        ; implicit-def: $vgpr59
	v_cmp_ge_i32_e64 s10, v62, v27
	s_delay_alu instid0(VALU_DEP_3) | instskip(NEXT) | instid1(VALU_DEP_3)
	v_cmp_lt_i16_e64 s11, v60, v64
	v_cmp_lt_i32_e64 s12, v61, v28
	s_or_b32 s10, s10, s11
	s_wait_alu 0xfffe
	s_and_b32 s10, s12, s10
	s_wait_alu 0xfffe
	s_xor_b32 s11, s10, -1
	s_wait_alu 0xfffe
	s_and_saveexec_b32 s12, s11
	s_wait_alu 0xfffe
	s_xor_b32 s11, exec_lo, s12
; %bb.239:                              ;   in Loop: Header=BB78_2 Depth=1
	ds_load_u8 v59, v62 offset:1
; %bb.240:                              ;   in Loop: Header=BB78_2 Depth=1
	s_wait_alu 0xfffe
	s_or_saveexec_b32 s11, s11
	v_mov_b32_e32 v60, v58
	s_wait_alu 0xfffe
	s_xor_b32 exec_lo, exec_lo, s11
	s_cbranch_execz .LBB78_242
; %bb.241:                              ;   in Loop: Header=BB78_2 Depth=1
	ds_load_u8 v60, v61 offset:1
	s_wait_dscnt 0x1
	v_mov_b32_e32 v59, v57
.LBB78_242:                             ;   in Loop: Header=BB78_2 Depth=1
	s_or_b32 exec_lo, exec_lo, s11
	v_add_nc_u32_e32 v63, 1, v62
	v_add_nc_u32_e32 v65, 1, v61
	s_wait_dscnt 0x0
	v_bfe_i32 v66, v59, 0, 8
	s_delay_alu instid0(VALU_DEP_3) | instskip(SKIP_2) | instid1(VALU_DEP_3)
	v_cndmask_b32_e64 v64, v63, v62, s10
	v_bfe_i32 v62, v60, 0, 8
	v_cndmask_b32_e64 v63, v61, v65, s10
                                        ; implicit-def: $vgpr61
	v_cmp_ge_i32_e64 s11, v64, v27
	s_delay_alu instid0(VALU_DEP_3) | instskip(NEXT) | instid1(VALU_DEP_3)
	v_cmp_lt_i16_e64 s12, v62, v66
	v_cmp_lt_i32_e64 s13, v63, v28
	s_or_b32 s11, s11, s12
	s_wait_alu 0xfffe
	s_and_b32 s11, s13, s11
	s_wait_alu 0xfffe
	s_xor_b32 s12, s11, -1
	s_wait_alu 0xfffe
	s_and_saveexec_b32 s13, s12
	s_wait_alu 0xfffe
	s_xor_b32 s12, exec_lo, s13
; %bb.243:                              ;   in Loop: Header=BB78_2 Depth=1
	ds_load_u8 v61, v64 offset:1
; %bb.244:                              ;   in Loop: Header=BB78_2 Depth=1
	s_wait_alu 0xfffe
	s_or_saveexec_b32 s12, s12
	v_mov_b32_e32 v62, v60
	s_wait_alu 0xfffe
	s_xor_b32 exec_lo, exec_lo, s12
	s_cbranch_execz .LBB78_246
; %bb.245:                              ;   in Loop: Header=BB78_2 Depth=1
	ds_load_u8 v62, v63 offset:1
	s_wait_dscnt 0x1
	v_mov_b32_e32 v61, v59
.LBB78_246:                             ;   in Loop: Header=BB78_2 Depth=1
	s_or_b32 exec_lo, exec_lo, s12
	v_add_nc_u32_e32 v65, 1, v64
	v_add_nc_u32_e32 v67, 1, v63
	s_wait_dscnt 0x0
	v_bfe_i32 v68, v61, 0, 8
	s_delay_alu instid0(VALU_DEP_3) | instskip(SKIP_2) | instid1(VALU_DEP_3)
	v_cndmask_b32_e64 v66, v65, v64, s11
	v_bfe_i32 v64, v62, 0, 8
	v_cndmask_b32_e64 v65, v63, v67, s11
                                        ; implicit-def: $vgpr63
	v_cmp_ge_i32_e64 s12, v66, v27
	s_delay_alu instid0(VALU_DEP_3) | instskip(NEXT) | instid1(VALU_DEP_3)
	v_cmp_lt_i16_e64 s13, v64, v68
	v_cmp_lt_i32_e64 s14, v65, v28
	s_or_b32 s12, s12, s13
	s_wait_alu 0xfffe
	s_and_b32 s12, s14, s12
	s_wait_alu 0xfffe
	s_xor_b32 s13, s12, -1
	s_wait_alu 0xfffe
	s_and_saveexec_b32 s14, s13
	s_wait_alu 0xfffe
	s_xor_b32 s13, exec_lo, s14
; %bb.247:                              ;   in Loop: Header=BB78_2 Depth=1
	ds_load_u8 v63, v66 offset:1
; %bb.248:                              ;   in Loop: Header=BB78_2 Depth=1
	s_wait_alu 0xfffe
	s_or_saveexec_b32 s13, s13
	v_mov_b32_e32 v64, v62
	s_wait_alu 0xfffe
	s_xor_b32 exec_lo, exec_lo, s13
	s_cbranch_execz .LBB78_250
; %bb.249:                              ;   in Loop: Header=BB78_2 Depth=1
	ds_load_u8 v64, v65 offset:1
	s_wait_dscnt 0x1
	v_mov_b32_e32 v63, v61
.LBB78_250:                             ;   in Loop: Header=BB78_2 Depth=1
	s_or_b32 exec_lo, exec_lo, s13
	v_add_nc_u32_e32 v67, 1, v66
	v_add_nc_u32_e32 v69, 1, v65
	s_wait_dscnt 0x0
	v_bfe_i32 v70, v63, 0, 8
	s_delay_alu instid0(VALU_DEP_3) | instskip(SKIP_2) | instid1(VALU_DEP_3)
	v_cndmask_b32_e64 v68, v67, v66, s12
	v_bfe_i32 v66, v64, 0, 8
	v_cndmask_b32_e64 v67, v65, v69, s12
                                        ; implicit-def: $vgpr65
	v_cmp_ge_i32_e64 s13, v68, v27
	s_delay_alu instid0(VALU_DEP_3) | instskip(NEXT) | instid1(VALU_DEP_3)
	v_cmp_lt_i16_e64 s14, v66, v70
	v_cmp_lt_i32_e64 s15, v67, v28
	s_or_b32 s13, s13, s14
	s_wait_alu 0xfffe
	s_and_b32 s13, s15, s13
	s_wait_alu 0xfffe
	s_xor_b32 s14, s13, -1
	s_wait_alu 0xfffe
	s_and_saveexec_b32 s15, s14
	s_wait_alu 0xfffe
	s_xor_b32 s14, exec_lo, s15
; %bb.251:                              ;   in Loop: Header=BB78_2 Depth=1
	ds_load_u8 v65, v68 offset:1
; %bb.252:                              ;   in Loop: Header=BB78_2 Depth=1
	s_wait_alu 0xfffe
	s_or_saveexec_b32 s14, s14
	v_mov_b32_e32 v66, v64
	s_wait_alu 0xfffe
	s_xor_b32 exec_lo, exec_lo, s14
	s_cbranch_execz .LBB78_254
; %bb.253:                              ;   in Loop: Header=BB78_2 Depth=1
	ds_load_u8 v66, v67 offset:1
	s_wait_dscnt 0x1
	v_mov_b32_e32 v65, v63
.LBB78_254:                             ;   in Loop: Header=BB78_2 Depth=1
	s_or_b32 exec_lo, exec_lo, s14
	v_add_nc_u32_e32 v69, 1, v68
	v_add_nc_u32_e32 v70, 1, v67
	s_wait_dscnt 0x0
	v_bfe_i32 v71, v65, 0, 8
	v_bfe_i32 v72, v66, 0, 8
	v_cndmask_b32_e64 v69, v69, v68, s13
	v_cndmask_b32_e64 v68, v67, v70, s13
                                        ; implicit-def: $vgpr67
	s_delay_alu instid0(VALU_DEP_3) | instskip(NEXT) | instid1(VALU_DEP_3)
	v_cmp_lt_i16_e64 s15, v72, v71
	v_cmp_ge_i32_e64 s14, v69, v27
	s_delay_alu instid0(VALU_DEP_3)
	v_cmp_lt_i32_e64 s16, v68, v28
	s_or_b32 s14, s14, s15
	s_wait_alu 0xfffe
	s_and_b32 s14, s16, s14
	s_wait_alu 0xfffe
	s_xor_b32 s15, s14, -1
	s_wait_alu 0xfffe
	s_and_saveexec_b32 s16, s15
	s_delay_alu instid0(SALU_CYCLE_1)
	s_xor_b32 s15, exec_lo, s16
; %bb.255:                              ;   in Loop: Header=BB78_2 Depth=1
	ds_load_u8 v67, v69 offset:1
; %bb.256:                              ;   in Loop: Header=BB78_2 Depth=1
	s_wait_alu 0xfffe
	s_or_saveexec_b32 s15, s15
	v_mov_b32_e32 v70, v66
	s_wait_alu 0xfffe
	s_xor_b32 exec_lo, exec_lo, s15
	s_cbranch_execz .LBB78_258
; %bb.257:                              ;   in Loop: Header=BB78_2 Depth=1
	ds_load_u8 v70, v68 offset:1
	s_wait_dscnt 0x1
	v_mov_b32_e32 v67, v65
.LBB78_258:                             ;   in Loop: Header=BB78_2 Depth=1
	s_or_b32 exec_lo, exec_lo, s15
	v_cndmask_b32_e64 v59, v59, v60, s11
	v_cndmask_b32_e64 v53, v53, v54, s8
	;; [unrolled: 1-line block ×3, first 2 shown]
	v_add_nc_u32_e32 v71, 1, v69
	v_cndmask_b32_e64 v65, v65, v66, s14
	v_add_nc_u32_e32 v66, 1, v68
	v_lshlrev_b16 v57, 8, v59
	v_and_b32_e32 v54, 0xff, v54
	s_wait_dscnt 0x0
	v_bfe_i32 v72, v67, 0, 8
	v_bfe_i32 v73, v70, 0, 8
	v_cndmask_b32_e64 v69, v71, v69, s14
	v_cndmask_b32_e64 v63, v63, v64, s13
	v_or_b32_e32 v54, v54, v57
	v_mov_b32_e32 v57, v10
	v_cndmask_b32_e64 v64, v68, v66, s14
	v_cndmask_b32_e64 v61, v61, v62, s12
	v_cmp_lt_i16_e64 s12, v73, v72
	v_cmp_ge_i32_e64 s13, v69, v27
	v_cndmask_b32_e64 v55, v55, v56, s9
	v_cmp_lt_i32_e64 s11, v64, v28
	v_and_b32_e32 v53, 0xff, v53
	v_lshlrev_b16 v58, 8, v63
	s_or_b32 s8, s13, s12
	v_lshlrev_b16 v55, 8, v55
	s_wait_alu 0xfffe
	s_and_b32 s8, s11, s8
	v_and_b32_e32 v59, 0xff, v61
	s_wait_alu 0xfffe
	v_cndmask_b32_e64 v56, v67, v70, s8
	v_and_b32_e32 v60, 0xff, v65
	v_or_b32_e32 v53, v53, v55
	v_lshlrev_b32_e32 v54, 16, v54
	v_or_b32_e32 v55, v59, v58
	v_lshlrev_b16 v56, 8, v56
	s_wait_loadcnt 0x0
	v_and_b32_e32 v53, 0xffff, v53
	s_barrier_signal -1
	v_and_b32_e32 v55, 0xffff, v55
	v_or_b32_e32 v56, v60, v56
	s_barrier_wait -1
	v_or_b32_e32 v53, v53, v54
	global_inv scope:SCOPE_SE
	v_lshlrev_b32_e32 v56, 16, v56
	s_delay_alu instid0(VALU_DEP_1)
	v_or_b32_e32 v54, v55, v56
	ds_store_b64 v1, v[53:54]
	s_wait_loadcnt_dscnt 0x0
	s_barrier_signal -1
	s_barrier_wait -1
	global_inv scope:SCOPE_SE
	s_and_saveexec_b32 s9, vcc_lo
	s_cbranch_execz .LBB78_262
; %bb.259:                              ;   in Loop: Header=BB78_2 Depth=1
	v_mov_b32_e32 v57, v10
	v_mov_b32_e32 v53, v11
	s_mov_b32 s10, 0
.LBB78_260:                             ;   Parent Loop BB78_2 Depth=1
                                        ; =>  This Inner Loop Header: Depth=2
	s_delay_alu instid0(VALU_DEP_1) | instskip(NEXT) | instid1(VALU_DEP_1)
	v_sub_nc_u32_e32 v54, v53, v57
	v_lshrrev_b32_e32 v54, 1, v54
	s_delay_alu instid0(VALU_DEP_1) | instskip(NEXT) | instid1(VALU_DEP_1)
	v_add_nc_u32_e32 v54, v54, v57
	v_xad_u32 v55, v54, -1, v12
	v_add_nc_u32_e32 v58, 1, v54
	ds_load_i8 v56, v54
	ds_load_i8 v55, v55
	s_wait_dscnt 0x0
	v_cmp_lt_i16_e64 s8, v55, v56
	s_wait_alu 0xf1ff
	s_delay_alu instid0(VALU_DEP_1) | instskip(SKIP_1) | instid1(VALU_DEP_1)
	v_cndmask_b32_e64 v53, v53, v54, s8
	v_cndmask_b32_e64 v57, v58, v57, s8
	v_cmp_ge_i32_e64 s8, v57, v53
	s_wait_alu 0xfffe
	s_or_b32 s10, s8, s10
	s_wait_alu 0xfffe
	s_and_not1_b32 exec_lo, exec_lo, s10
	s_cbranch_execnz .LBB78_260
; %bb.261:                              ;   in Loop: Header=BB78_2 Depth=1
	s_or_b32 exec_lo, exec_lo, s10
.LBB78_262:                             ;   in Loop: Header=BB78_2 Depth=1
	s_wait_alu 0xfffe
	s_or_b32 exec_lo, exec_lo, s9
	v_sub_nc_u32_e32 v58, v12, v57
	v_cmp_le_i32_e64 s8, 0x800, v57
                                        ; implicit-def: $vgpr55
	ds_load_u8 v53, v57
	ds_load_u8 v54, v58
	v_cmp_gt_i32_e64 s10, 0x1000, v58
	s_wait_dscnt 0x1
	v_bfe_i32 v53, v53, 0, 8
	s_wait_dscnt 0x0
	v_bfe_i32 v54, v54, 0, 8
	s_delay_alu instid0(VALU_DEP_1)
	v_cmp_lt_i16_e64 s9, v54, v53
	s_or_b32 s8, s8, s9
	s_wait_alu 0xfffe
	s_and_b32 s8, s10, s8
	s_wait_alu 0xfffe
	s_xor_b32 s9, s8, -1
	s_wait_alu 0xfffe
	s_and_saveexec_b32 s10, s9
	s_wait_alu 0xfffe
	s_xor_b32 s9, exec_lo, s10
; %bb.263:                              ;   in Loop: Header=BB78_2 Depth=1
	ds_load_u8 v55, v57 offset:1
; %bb.264:                              ;   in Loop: Header=BB78_2 Depth=1
	s_wait_alu 0xfffe
	s_or_saveexec_b32 s9, s9
	v_mov_b32_e32 v56, v54
	s_wait_alu 0xfffe
	s_xor_b32 exec_lo, exec_lo, s9
	s_cbranch_execz .LBB78_266
; %bb.265:                              ;   in Loop: Header=BB78_2 Depth=1
	ds_load_u8 v56, v58 offset:1
	s_wait_dscnt 0x1
	v_mov_b32_e32 v55, v53
.LBB78_266:                             ;   in Loop: Header=BB78_2 Depth=1
	s_or_b32 exec_lo, exec_lo, s9
	v_add_nc_u32_e32 v59, 1, v57
	v_add_nc_u32_e32 v61, 1, v58
	s_wait_dscnt 0x0
	v_bfe_i32 v62, v55, 0, 8
	s_delay_alu instid0(VALU_DEP_3) | instskip(SKIP_2) | instid1(VALU_DEP_3)
	v_cndmask_b32_e64 v60, v59, v57, s8
	v_bfe_i32 v57, v56, 0, 8
	v_cndmask_b32_e64 v59, v58, v61, s8
	v_cmp_le_i32_e64 s9, 0x800, v60
	s_delay_alu instid0(VALU_DEP_3) | instskip(NEXT) | instid1(VALU_DEP_3)
	v_cmp_lt_i16_e64 s10, v57, v62
	v_cmp_gt_i32_e64 s11, 0x1000, v59
                                        ; implicit-def: $vgpr57
	s_or_b32 s9, s9, s10
	s_wait_alu 0xfffe
	s_and_b32 s9, s11, s9
	s_wait_alu 0xfffe
	s_xor_b32 s10, s9, -1
	s_wait_alu 0xfffe
	s_and_saveexec_b32 s11, s10
	s_wait_alu 0xfffe
	s_xor_b32 s10, exec_lo, s11
; %bb.267:                              ;   in Loop: Header=BB78_2 Depth=1
	ds_load_u8 v57, v60 offset:1
; %bb.268:                              ;   in Loop: Header=BB78_2 Depth=1
	s_wait_alu 0xfffe
	s_or_saveexec_b32 s10, s10
	v_mov_b32_e32 v58, v56
	s_wait_alu 0xfffe
	s_xor_b32 exec_lo, exec_lo, s10
	s_cbranch_execz .LBB78_270
; %bb.269:                              ;   in Loop: Header=BB78_2 Depth=1
	ds_load_u8 v58, v59 offset:1
	s_wait_dscnt 0x1
	v_mov_b32_e32 v57, v55
.LBB78_270:                             ;   in Loop: Header=BB78_2 Depth=1
	s_or_b32 exec_lo, exec_lo, s10
	v_add_nc_u32_e32 v61, 1, v60
	v_add_nc_u32_e32 v63, 1, v59
	s_wait_dscnt 0x0
	v_bfe_i32 v64, v57, 0, 8
	s_delay_alu instid0(VALU_DEP_3) | instskip(SKIP_2) | instid1(VALU_DEP_3)
	v_cndmask_b32_e64 v62, v61, v60, s9
	v_bfe_i32 v60, v58, 0, 8
	v_cndmask_b32_e64 v61, v59, v63, s9
                                        ; implicit-def: $vgpr59
	v_cmp_le_i32_e64 s10, 0x800, v62
	s_delay_alu instid0(VALU_DEP_3) | instskip(NEXT) | instid1(VALU_DEP_3)
	v_cmp_lt_i16_e64 s11, v60, v64
	v_cmp_gt_i32_e64 s12, 0x1000, v61
	s_or_b32 s10, s10, s11
	s_wait_alu 0xfffe
	s_and_b32 s10, s12, s10
	s_wait_alu 0xfffe
	s_xor_b32 s11, s10, -1
	s_wait_alu 0xfffe
	s_and_saveexec_b32 s12, s11
	s_wait_alu 0xfffe
	s_xor_b32 s11, exec_lo, s12
; %bb.271:                              ;   in Loop: Header=BB78_2 Depth=1
	ds_load_u8 v59, v62 offset:1
; %bb.272:                              ;   in Loop: Header=BB78_2 Depth=1
	s_wait_alu 0xfffe
	s_or_saveexec_b32 s11, s11
	v_mov_b32_e32 v60, v58
	s_wait_alu 0xfffe
	s_xor_b32 exec_lo, exec_lo, s11
	s_cbranch_execz .LBB78_274
; %bb.273:                              ;   in Loop: Header=BB78_2 Depth=1
	ds_load_u8 v60, v61 offset:1
	s_wait_dscnt 0x1
	v_mov_b32_e32 v59, v57
.LBB78_274:                             ;   in Loop: Header=BB78_2 Depth=1
	s_or_b32 exec_lo, exec_lo, s11
	v_add_nc_u32_e32 v63, 1, v62
	v_add_nc_u32_e32 v65, 1, v61
	s_wait_dscnt 0x0
	v_bfe_i32 v66, v59, 0, 8
	s_delay_alu instid0(VALU_DEP_3) | instskip(SKIP_2) | instid1(VALU_DEP_3)
	v_cndmask_b32_e64 v64, v63, v62, s10
	v_bfe_i32 v62, v60, 0, 8
	v_cndmask_b32_e64 v63, v61, v65, s10
                                        ; implicit-def: $vgpr61
	v_cmp_le_i32_e64 s11, 0x800, v64
	s_delay_alu instid0(VALU_DEP_3) | instskip(NEXT) | instid1(VALU_DEP_3)
	v_cmp_lt_i16_e64 s12, v62, v66
	v_cmp_gt_i32_e64 s13, 0x1000, v63
	s_or_b32 s11, s11, s12
	s_wait_alu 0xfffe
	s_and_b32 s11, s13, s11
	s_wait_alu 0xfffe
	s_xor_b32 s12, s11, -1
	s_wait_alu 0xfffe
	s_and_saveexec_b32 s13, s12
	s_wait_alu 0xfffe
	s_xor_b32 s12, exec_lo, s13
; %bb.275:                              ;   in Loop: Header=BB78_2 Depth=1
	ds_load_u8 v61, v64 offset:1
; %bb.276:                              ;   in Loop: Header=BB78_2 Depth=1
	s_wait_alu 0xfffe
	s_or_saveexec_b32 s12, s12
	v_mov_b32_e32 v62, v60
	s_wait_alu 0xfffe
	s_xor_b32 exec_lo, exec_lo, s12
	s_cbranch_execz .LBB78_278
; %bb.277:                              ;   in Loop: Header=BB78_2 Depth=1
	ds_load_u8 v62, v63 offset:1
	s_wait_dscnt 0x1
	v_mov_b32_e32 v61, v59
.LBB78_278:                             ;   in Loop: Header=BB78_2 Depth=1
	s_or_b32 exec_lo, exec_lo, s12
	v_add_nc_u32_e32 v65, 1, v64
	v_add_nc_u32_e32 v67, 1, v63
	s_wait_dscnt 0x0
	v_bfe_i32 v68, v61, 0, 8
	s_delay_alu instid0(VALU_DEP_3) | instskip(SKIP_2) | instid1(VALU_DEP_3)
	v_cndmask_b32_e64 v66, v65, v64, s11
	v_bfe_i32 v64, v62, 0, 8
	v_cndmask_b32_e64 v65, v63, v67, s11
                                        ; implicit-def: $vgpr63
	v_cmp_le_i32_e64 s12, 0x800, v66
	s_delay_alu instid0(VALU_DEP_3) | instskip(NEXT) | instid1(VALU_DEP_3)
	v_cmp_lt_i16_e64 s13, v64, v68
	v_cmp_gt_i32_e64 s14, 0x1000, v65
	s_or_b32 s12, s12, s13
	s_wait_alu 0xfffe
	s_and_b32 s12, s14, s12
	s_wait_alu 0xfffe
	s_xor_b32 s13, s12, -1
	s_wait_alu 0xfffe
	s_and_saveexec_b32 s14, s13
	s_wait_alu 0xfffe
	s_xor_b32 s13, exec_lo, s14
; %bb.279:                              ;   in Loop: Header=BB78_2 Depth=1
	ds_load_u8 v63, v66 offset:1
; %bb.280:                              ;   in Loop: Header=BB78_2 Depth=1
	s_wait_alu 0xfffe
	s_or_saveexec_b32 s13, s13
	v_mov_b32_e32 v64, v62
	s_wait_alu 0xfffe
	s_xor_b32 exec_lo, exec_lo, s13
	s_cbranch_execz .LBB78_282
; %bb.281:                              ;   in Loop: Header=BB78_2 Depth=1
	ds_load_u8 v64, v65 offset:1
	s_wait_dscnt 0x1
	v_mov_b32_e32 v63, v61
.LBB78_282:                             ;   in Loop: Header=BB78_2 Depth=1
	s_or_b32 exec_lo, exec_lo, s13
	v_add_nc_u32_e32 v67, 1, v66
	v_add_nc_u32_e32 v69, 1, v65
	s_wait_dscnt 0x0
	v_bfe_i32 v70, v63, 0, 8
	s_delay_alu instid0(VALU_DEP_3) | instskip(SKIP_2) | instid1(VALU_DEP_3)
	v_cndmask_b32_e64 v68, v67, v66, s12
	v_bfe_i32 v66, v64, 0, 8
	v_cndmask_b32_e64 v67, v65, v69, s12
                                        ; implicit-def: $vgpr65
	v_cmp_le_i32_e64 s13, 0x800, v68
	s_delay_alu instid0(VALU_DEP_3) | instskip(NEXT) | instid1(VALU_DEP_3)
	v_cmp_lt_i16_e64 s14, v66, v70
	v_cmp_gt_i32_e64 s15, 0x1000, v67
	s_or_b32 s13, s13, s14
	s_wait_alu 0xfffe
	s_and_b32 s13, s15, s13
	s_wait_alu 0xfffe
	s_xor_b32 s14, s13, -1
	s_wait_alu 0xfffe
	s_and_saveexec_b32 s15, s14
	s_wait_alu 0xfffe
	s_xor_b32 s14, exec_lo, s15
; %bb.283:                              ;   in Loop: Header=BB78_2 Depth=1
	ds_load_u8 v65, v68 offset:1
; %bb.284:                              ;   in Loop: Header=BB78_2 Depth=1
	s_wait_alu 0xfffe
	s_or_saveexec_b32 s14, s14
	v_mov_b32_e32 v66, v64
	s_wait_alu 0xfffe
	s_xor_b32 exec_lo, exec_lo, s14
	s_cbranch_execz .LBB78_286
; %bb.285:                              ;   in Loop: Header=BB78_2 Depth=1
	ds_load_u8 v66, v67 offset:1
	s_wait_dscnt 0x1
	v_mov_b32_e32 v65, v63
.LBB78_286:                             ;   in Loop: Header=BB78_2 Depth=1
	s_or_b32 exec_lo, exec_lo, s14
	v_add_nc_u32_e32 v69, 1, v68
	v_add_nc_u32_e32 v70, 1, v67
	s_wait_dscnt 0x0
	v_bfe_i32 v72, v65, 0, 8
	s_delay_alu instid0(VALU_DEP_3) | instskip(SKIP_2) | instid1(VALU_DEP_3)
	v_cndmask_b32_e64 v71, v69, v68, s13
	v_bfe_i32 v68, v66, 0, 8
	v_cndmask_b32_e64 v67, v67, v70, s13
                                        ; implicit-def: $vgpr69
	v_cmp_le_i32_e64 s14, 0x800, v71
	s_delay_alu instid0(VALU_DEP_3) | instskip(NEXT) | instid1(VALU_DEP_3)
	v_cmp_lt_i16_e64 s15, v68, v72
	v_cmp_gt_i32_e64 s16, 0x1000, v67
                                        ; implicit-def: $vgpr68
	s_or_b32 s14, s14, s15
	s_wait_alu 0xfffe
	s_and_b32 s14, s16, s14
	s_wait_alu 0xfffe
	s_xor_b32 s15, s14, -1
	s_wait_alu 0xfffe
	s_and_saveexec_b32 s16, s15
	s_delay_alu instid0(SALU_CYCLE_1)
	s_xor_b32 s15, exec_lo, s16
; %bb.287:                              ;   in Loop: Header=BB78_2 Depth=1
	ds_load_u8 v68, v71 offset:1
	v_add_nc_u32_e32 v69, 1, v71
                                        ; implicit-def: $vgpr71
; %bb.288:                              ;   in Loop: Header=BB78_2 Depth=1
	s_wait_alu 0xfffe
	s_or_saveexec_b32 s15, s15
	v_mov_b32_e32 v70, v66
	s_wait_alu 0xfffe
	s_xor_b32 exec_lo, exec_lo, s15
	s_cbranch_execz .LBB78_1
; %bb.289:                              ;   in Loop: Header=BB78_2 Depth=1
	ds_load_u8 v70, v67 offset:1
	s_wait_dscnt 0x1
	v_dual_mov_b32 v68, v65 :: v_dual_add_nc_u32 v67, 1, v67
	v_mov_b32_e32 v69, v71
	s_branch .LBB78_1
.LBB78_290:
	s_add_nc_u64 s[0:1], s[18:19], s[20:21]
	s_wait_alu 0xfffe
	v_add_co_u32 v0, s0, s0, v0
	s_wait_alu 0xf1ff
	v_add_co_ci_u32_e64 v1, null, s1, 0, s0
	s_clause 0x7
	global_store_b8 v[0:1], v54, off
	global_store_b8 v[0:1], v55, off offset:512
	global_store_b8 v[0:1], v56, off offset:1024
	;; [unrolled: 1-line block ×7, first 2 shown]
	s_endpgm
	.section	.rodata,"a",@progbits
	.p2align	6, 0x0
	.amdhsa_kernel _Z16sort_keys_kernelIaLj512ELj8EN10test_utils4lessELj10EEvPKT_PS2_T2_
		.amdhsa_group_segment_fixed_size 4097
		.amdhsa_private_segment_fixed_size 0
		.amdhsa_kernarg_size 20
		.amdhsa_user_sgpr_count 2
		.amdhsa_user_sgpr_dispatch_ptr 0
		.amdhsa_user_sgpr_queue_ptr 0
		.amdhsa_user_sgpr_kernarg_segment_ptr 1
		.amdhsa_user_sgpr_dispatch_id 0
		.amdhsa_user_sgpr_private_segment_size 0
		.amdhsa_wavefront_size32 1
		.amdhsa_uses_dynamic_stack 0
		.amdhsa_enable_private_segment 0
		.amdhsa_system_sgpr_workgroup_id_x 1
		.amdhsa_system_sgpr_workgroup_id_y 0
		.amdhsa_system_sgpr_workgroup_id_z 0
		.amdhsa_system_sgpr_workgroup_info 0
		.amdhsa_system_vgpr_workitem_id 0
		.amdhsa_next_free_vgpr 79
		.amdhsa_next_free_sgpr 22
		.amdhsa_reserve_vcc 1
		.amdhsa_float_round_mode_32 0
		.amdhsa_float_round_mode_16_64 0
		.amdhsa_float_denorm_mode_32 3
		.amdhsa_float_denorm_mode_16_64 3
		.amdhsa_fp16_overflow 0
		.amdhsa_workgroup_processor_mode 1
		.amdhsa_memory_ordered 1
		.amdhsa_forward_progress 1
		.amdhsa_inst_pref_size 141
		.amdhsa_round_robin_scheduling 0
		.amdhsa_exception_fp_ieee_invalid_op 0
		.amdhsa_exception_fp_denorm_src 0
		.amdhsa_exception_fp_ieee_div_zero 0
		.amdhsa_exception_fp_ieee_overflow 0
		.amdhsa_exception_fp_ieee_underflow 0
		.amdhsa_exception_fp_ieee_inexact 0
		.amdhsa_exception_int_div_zero 0
	.end_amdhsa_kernel
	.section	.text._Z16sort_keys_kernelIaLj512ELj8EN10test_utils4lessELj10EEvPKT_PS2_T2_,"axG",@progbits,_Z16sort_keys_kernelIaLj512ELj8EN10test_utils4lessELj10EEvPKT_PS2_T2_,comdat
.Lfunc_end78:
	.size	_Z16sort_keys_kernelIaLj512ELj8EN10test_utils4lessELj10EEvPKT_PS2_T2_, .Lfunc_end78-_Z16sort_keys_kernelIaLj512ELj8EN10test_utils4lessELj10EEvPKT_PS2_T2_
                                        ; -- End function
	.set _Z16sort_keys_kernelIaLj512ELj8EN10test_utils4lessELj10EEvPKT_PS2_T2_.num_vgpr, 79
	.set _Z16sort_keys_kernelIaLj512ELj8EN10test_utils4lessELj10EEvPKT_PS2_T2_.num_agpr, 0
	.set _Z16sort_keys_kernelIaLj512ELj8EN10test_utils4lessELj10EEvPKT_PS2_T2_.numbered_sgpr, 22
	.set _Z16sort_keys_kernelIaLj512ELj8EN10test_utils4lessELj10EEvPKT_PS2_T2_.num_named_barrier, 0
	.set _Z16sort_keys_kernelIaLj512ELj8EN10test_utils4lessELj10EEvPKT_PS2_T2_.private_seg_size, 0
	.set _Z16sort_keys_kernelIaLj512ELj8EN10test_utils4lessELj10EEvPKT_PS2_T2_.uses_vcc, 1
	.set _Z16sort_keys_kernelIaLj512ELj8EN10test_utils4lessELj10EEvPKT_PS2_T2_.uses_flat_scratch, 0
	.set _Z16sort_keys_kernelIaLj512ELj8EN10test_utils4lessELj10EEvPKT_PS2_T2_.has_dyn_sized_stack, 0
	.set _Z16sort_keys_kernelIaLj512ELj8EN10test_utils4lessELj10EEvPKT_PS2_T2_.has_recursion, 0
	.set _Z16sort_keys_kernelIaLj512ELj8EN10test_utils4lessELj10EEvPKT_PS2_T2_.has_indirect_call, 0
	.section	.AMDGPU.csdata,"",@progbits
; Kernel info:
; codeLenInByte = 17980
; TotalNumSgprs: 24
; NumVgprs: 79
; ScratchSize: 0
; MemoryBound: 0
; FloatMode: 240
; IeeeMode: 1
; LDSByteSize: 4097 bytes/workgroup (compile time only)
; SGPRBlocks: 0
; VGPRBlocks: 9
; NumSGPRsForWavesPerEU: 24
; NumVGPRsForWavesPerEU: 79
; Occupancy: 16
; WaveLimiterHint : 1
; COMPUTE_PGM_RSRC2:SCRATCH_EN: 0
; COMPUTE_PGM_RSRC2:USER_SGPR: 2
; COMPUTE_PGM_RSRC2:TRAP_HANDLER: 0
; COMPUTE_PGM_RSRC2:TGID_X_EN: 1
; COMPUTE_PGM_RSRC2:TGID_Y_EN: 0
; COMPUTE_PGM_RSRC2:TGID_Z_EN: 0
; COMPUTE_PGM_RSRC2:TIDIG_COMP_CNT: 0
	.section	.text._Z17sort_pairs_kernelIaLj512ELj8EN10test_utils4lessELj10EEvPKT_PS2_T2_,"axG",@progbits,_Z17sort_pairs_kernelIaLj512ELj8EN10test_utils4lessELj10EEvPKT_PS2_T2_,comdat
	.protected	_Z17sort_pairs_kernelIaLj512ELj8EN10test_utils4lessELj10EEvPKT_PS2_T2_ ; -- Begin function _Z17sort_pairs_kernelIaLj512ELj8EN10test_utils4lessELj10EEvPKT_PS2_T2_
	.globl	_Z17sort_pairs_kernelIaLj512ELj8EN10test_utils4lessELj10EEvPKT_PS2_T2_
	.p2align	8
	.type	_Z17sort_pairs_kernelIaLj512ELj8EN10test_utils4lessELj10EEvPKT_PS2_T2_,@function
_Z17sort_pairs_kernelIaLj512ELj8EN10test_utils4lessELj10EEvPKT_PS2_T2_: ; @_Z17sort_pairs_kernelIaLj512ELj8EN10test_utils4lessELj10EEvPKT_PS2_T2_
; %bb.0:
	s_load_b128 s[44:47], s[0:1], 0x0
	s_lshl_b32 s48, ttmp9, 12
	s_mov_b32 s49, 0
	v_lshlrev_b32_e32 v5, 3, v0
	s_mov_b32 s50, s49
	s_delay_alu instid0(VALU_DEP_1)
	v_and_b32_e32 v6, 0xff0, v5
	v_and_b32_e32 v7, 0xfe0, v5
	;; [unrolled: 1-line block ×5, first 2 shown]
	v_or_b32_e32 v17, 8, v6
	v_add_nc_u32_e32 v18, 16, v6
	v_or_b32_e32 v19, 16, v7
	v_add_nc_u32_e32 v20, 32, v7
	v_and_b32_e32 v9, 0xf80, v5
	v_or_b32_e32 v21, 32, v8
	v_sub_nc_u32_e32 v61, v18, v17
	s_wait_kmcnt 0x0
	s_add_nc_u64 s[0:1], s[44:45], s[48:49]
	v_add_nc_u32_e32 v22, 64, v8
	s_clause 0x7
	global_load_u8 v1, v0, s[0:1]
	global_load_u8 v2, v0, s[0:1] offset:1024
	global_load_u8 v3, v0, s[0:1] offset:2048
	global_load_u8 v4, v0, s[0:1] offset:3072
	global_load_u8 v57, v0, s[0:1] offset:512
	global_load_u8 v58, v0, s[0:1] offset:1536
	global_load_u8 v59, v0, s[0:1] offset:3584
	global_load_u8 v60, v0, s[0:1] offset:2560
	v_sub_nc_u32_e32 v41, v17, v6
	v_sub_nc_u32_e32 v62, v20, v19
	;; [unrolled: 1-line block ×3, first 2 shown]
	v_cmp_ge_i32_e64 s0, v49, v61
	v_and_b32_e32 v51, 56, v5
	v_and_b32_e32 v10, 0xf00, v5
	v_or_b32_e32 v23, 64, v9
	v_add_nc_u32_e32 v24, 0x80, v9
	v_add_nc_u32_e32 v33, v17, v49
	v_sub_nc_u32_e32 v42, v19, v7
	v_sub_nc_u32_e32 v63, v22, v21
	v_min_i32_e32 v41, v49, v41
	v_sub_nc_u32_e32 v70, v50, v62
	v_cndmask_b32_e64 v49, 0, v69, s0
	v_cmp_ge_i32_e64 s0, v50, v62
	v_and_b32_e32 v52, 0x78, v5
	v_and_b32_e32 v11, 0xe00, v5
	v_or_b32_e32 v25, 0x80, v10
	v_add_nc_u32_e32 v26, 0x100, v10
	v_add_nc_u32_e32 v34, v19, v50
	v_sub_nc_u32_e32 v43, v21, v8
	v_sub_nc_u32_e32 v64, v24, v23
	v_min_i32_e32 v42, v50, v42
	v_sub_nc_u32_e32 v71, v51, v63
	s_wait_alu 0xf1ff
	v_cndmask_b32_e64 v50, 0, v70, s0
	v_cmp_ge_i32_e64 s0, v51, v63
	v_and_b32_e32 v53, 0xf8, v5
	v_and_b32_e32 v12, 0xc00, v5
	v_or_b32_e32 v27, 0x100, v11
	v_add_nc_u32_e32 v28, 0x200, v11
	v_add_nc_u32_e32 v35, v21, v51
	v_sub_nc_u32_e32 v44, v23, v9
	v_sub_nc_u32_e32 v65, v26, v25
	v_min_i32_e32 v43, v51, v43
	v_sub_nc_u32_e32 v72, v52, v64
	s_wait_alu 0xf1ff
	v_cndmask_b32_e64 v51, 0, v71, s0
	v_cmp_ge_i32_e64 s0, v52, v64
	v_and_b32_e32 v54, 0x1f8, v5
	v_or_b32_e32 v29, 0x200, v12
	v_add_nc_u32_e32 v30, 0x400, v12
	v_add_nc_u32_e32 v36, v23, v52
	v_sub_nc_u32_e32 v45, v25, v10
	v_sub_nc_u32_e32 v66, v28, v27
	v_min_i32_e32 v44, v52, v44
	v_sub_nc_u32_e32 v73, v53, v65
	s_wait_alu 0xf1ff
	v_cndmask_b32_e64 v52, 0, v72, s0
	v_cmp_ge_i32_e64 s0, v53, v65
	v_and_b32_e32 v55, 0x3f8, v5
	v_and_b32_e32 v13, 0x800, v5
	v_add_nc_u32_e32 v37, v25, v53
	v_sub_nc_u32_e32 v46, v27, v11
	v_sub_nc_u32_e32 v67, v30, v29
	v_min_i32_e32 v45, v53, v45
	v_sub_nc_u32_e32 v74, v54, v66
	s_wait_alu 0xf1ff
	v_cndmask_b32_e64 v53, 0, v73, s0
	v_cmp_ge_i32_e64 s0, v54, v66
	v_or_b32_e32 v31, 0x400, v13
	v_add_nc_u32_e32 v32, 0x800, v13
	v_add_nc_u32_e32 v38, v27, v54
	v_min_i32_e32 v46, v54, v46
	v_sub_nc_u32_e32 v75, v55, v67
	s_wait_alu 0xf1ff
	v_cndmask_b32_e64 v54, 0, v74, s0
	v_cmp_ge_i32_e64 s0, v55, v67
	v_and_b32_e32 v56, 0x7f8, v5
	v_sub_nc_u32_e32 v47, v29, v12
	v_sub_nc_u32_e32 v68, v32, v31
	v_add_nc_u32_e32 v39, v29, v55
	v_sub_nc_u32_e32 v48, v31, v13
	v_add_nc_u32_e32 v40, v31, v56
	v_min_i32_e32 v47, v55, v47
	v_sub_nc_u32_e32 v76, v56, v68
	s_wait_alu 0xf1ff
	v_cndmask_b32_e64 v55, 0, v75, s0
	v_cmp_ge_i32_e64 s0, v56, v68
	v_min_i32_e32 v48, v56, v48
	v_subrev_nc_u32_e64 v14, 0x800, v5 clamp
	v_min_i32_e32 v15, 0x800, v5
	v_add_nc_u32_e32 v16, 0x800, v5
	s_wait_alu 0xf1ff
	v_cndmask_b32_e64 v56, 0, v76, s0
	v_cmp_lt_i32_e64 s0, v49, v41
	v_cmp_lt_i32_e64 s1, v50, v42
	;; [unrolled: 1-line block ×8, first 2 shown]
	v_cmp_lt_i32_e32 vcc_lo, v14, v15
	s_wait_loadcnt 0x7
	v_add_nc_u16 v61, v1, 1
	s_wait_loadcnt 0x6
	v_add_nc_u16 v62, v2, 1
	;; [unrolled: 2-line block ×4, first 2 shown]
	s_wait_loadcnt 0x3
	v_perm_b32 v1, v1, v57, 0xc0c0004
	s_wait_loadcnt 0x2
	v_lshlrev_b16 v65, 8, v58
	v_lshlrev_b16 v57, 8, v57
	s_wait_loadcnt 0x1
	v_lshlrev_b16 v66, 8, v59
	s_wait_loadcnt 0x0
	v_lshlrev_b16 v67, 8, v60
	v_and_b32_e32 v61, 0xff, v61
	v_and_b32_e32 v62, 0xff, v62
	;; [unrolled: 1-line block ×4, first 2 shown]
	v_perm_b32 v2, v2, v58, 0xc0c0004
	v_or_b32_e32 v57, v57, v61
	v_or_b32_e32 v58, v65, v62
	;; [unrolled: 1-line block ×4, first 2 shown]
	v_perm_b32 v3, v3, v60, 0xc0c0004
	v_add_nc_u16 v57, 0x100, v57
	v_add_nc_u16 v58, 0x100, v58
	;; [unrolled: 1-line block ×4, first 2 shown]
	v_perm_b32 v4, v4, v59, 0xc0c0004
	v_and_b32_e32 v57, 0xffff, v57
	v_lshlrev_b32_e32 v58, 16, v58
	v_and_b32_e32 v59, 0xffff, v60
	v_lshlrev_b32_e32 v60, 16, v61
	v_lshl_or_b32 v70, v2, 16, v1
	v_lshl_or_b32 v61, v4, 16, v3
	v_or_b32_e32 v1, v57, v58
	s_delay_alu instid0(VALU_DEP_4)
	v_or_b32_e32 v2, v59, v60
	s_branch .LBB79_2
.LBB79_1:                               ;   in Loop: Header=BB79_2 Depth=1
	s_or_b32 exec_lo, exec_lo, s15
	v_cndmask_b32_e64 v69, v69, v71, s10
	v_cndmask_b32_e64 v71, v73, v74, s11
	s_wait_dscnt 0x0
	v_bfe_i32 v73, v91, 0, 8
	v_bfe_i32 v74, v92, 0, 8
	v_cndmask_b32_e64 v83, v63, v64, s8
	v_cndmask_b32_e64 v63, v77, v78, s12
	;; [unrolled: 1-line block ×4, first 2 shown]
	v_cmp_le_i32_e64 s11, 0x800, v90
	v_cmp_lt_i16_e64 s12, v74, v73
	v_cndmask_b32_e64 v61, v61, v62, s8
	v_cmp_gt_i32_e64 s8, 0x1000, v87
	v_perm_b32 v58, v58, v59, 0xc0c0004
	v_perm_b32 v57, v60, v57, 0xc0c0004
	;; [unrolled: 1-line block ×4, first 2 shown]
	v_cndmask_b32_e64 v68, v65, v68, s9
	v_cndmask_b32_e64 v66, v66, v67, s9
	s_or_b32 s9, s11, s12
	v_lshl_or_b32 v2, v57, 16, v58
	s_wait_alu 0xfffe
	s_and_b32 s8, s8, s9
	v_lshl_or_b32 v1, v4, 16, v1
	s_wait_alu 0xfffe
	v_cndmask_b32_e64 v59, v90, v87, s8
	v_cndmask_b32_e64 v70, v70, v72, s10
	;; [unrolled: 1-line block ×3, first 2 shown]
	s_wait_loadcnt 0x0
	s_barrier_signal -1
	s_barrier_wait -1
	global_inv scope:SCOPE_SE
	ds_store_b64 v5, v[1:2]
	s_wait_loadcnt_dscnt 0x0
	s_barrier_signal -1
	s_barrier_wait -1
	global_inv scope:SCOPE_SE
	ds_load_u8 v58, v61
	ds_load_u8 v4, v88
	;; [unrolled: 1-line block ×8, first 2 shown]
	v_cndmask_b32_e64 v64, v81, v82, s13
	v_cndmask_b32_e64 v65, v86, v89, s14
	;; [unrolled: 1-line block ×3, first 2 shown]
	v_lshlrev_b16 v1, 8, v68
	v_and_b32_e32 v2, 0xff, v83
	v_lshlrev_b16 v61, 8, v71
	v_and_b32_e32 v70, 0xff, v69
	;; [unrolled: 2-line block ×3, first 2 shown]
	v_and_b32_e32 v74, 0xff, v65
	v_lshlrev_b16 v75, 8, v3
	v_or_b32_e32 v1, v2, v1
	v_or_b32_e32 v2, v70, v61
	;; [unrolled: 1-line block ×3, first 2 shown]
	s_wait_dscnt 0x5
	v_perm_b32 v76, v4, v57, 0xc0c0004
	v_or_b32_e32 v70, v74, v75
	v_and_b32_e32 v1, 0xffff, v1
	v_lshlrev_b32_e32 v2, 16, v2
	v_and_b32_e32 v61, 0xffff, v61
	s_wait_dscnt 0x4
	v_perm_b32 v73, v58, v62, 0xc0c0004
	v_lshlrev_b32_e32 v72, 16, v70
	s_wait_dscnt 0x2
	v_perm_b32 v74, v66, v67, 0xc0c0004
	s_wait_dscnt 0x0
	v_perm_b32 v75, v59, v60, 0xc0c0004
	v_or_b32_e32 v70, v1, v2
	s_add_co_i32 s50, s50, 1
	v_or_b32_e32 v61, v61, v72
	v_lshl_or_b32 v1, v74, 16, v73
	v_lshl_or_b32 v2, v76, 16, v75
	s_cmp_eq_u32 s50, 10
	s_cbranch_scc1 .LBB79_290
.LBB79_2:                               ; =>This Loop Header: Depth=1
                                        ;     Child Loop BB79_4 Depth 2
                                        ;     Child Loop BB79_36 Depth 2
                                        ;     Child Loop BB79_68 Depth 2
                                        ;     Child Loop BB79_100 Depth 2
                                        ;     Child Loop BB79_132 Depth 2
                                        ;     Child Loop BB79_164 Depth 2
                                        ;     Child Loop BB79_196 Depth 2
                                        ;     Child Loop BB79_228 Depth 2
                                        ;     Child Loop BB79_260 Depth 2
	v_lshrrev_b32_e32 v3, 8, v70
	v_bfe_i32 v4, v70, 0, 8
	v_perm_b32 v57, v70, v70, 0x7060405
	v_lshrrev_b32_e32 v59, 8, v61
	v_bfe_i32 v60, v61, 0, 8
	v_bfe_i32 v3, v3, 0, 8
	v_perm_b32 v62, v61, v61, 0x7060405
	s_delay_alu instid0(VALU_DEP_4) | instskip(SKIP_1) | instid1(VALU_DEP_3)
	v_bfe_i32 v59, v59, 0, 8
	s_barrier_signal -1
	v_cmp_lt_i16_e64 s8, v3, v4
	s_barrier_wait -1
	global_inv scope:SCOPE_SE
	v_cmp_lt_i16_e64 s10, v59, v60
	s_wait_alu 0xf1ff
	v_cndmask_b32_e64 v3, v70, v57, s8
	s_delay_alu instid0(VALU_DEP_1) | instskip(SKIP_1) | instid1(VALU_DEP_2)
	v_lshrrev_b32_e32 v4, 16, v3
	v_lshrrev_b32_e32 v58, 24, v3
	v_perm_b32 v57, 0, v4, 0xc0c0001
	s_delay_alu instid0(VALU_DEP_2) | instskip(SKIP_1) | instid1(VALU_DEP_3)
	v_bfe_i32 v58, v58, 0, 8
	v_bfe_i32 v4, v4, 0, 8
	v_lshlrev_b32_e32 v57, 16, v57
	s_delay_alu instid0(VALU_DEP_2) | instskip(SKIP_1) | instid1(VALU_DEP_3)
	v_cmp_lt_i16_e64 s9, v58, v4
	v_cndmask_b32_e64 v4, v61, v62, s10
	v_and_or_b32 v57, 0xffff, v3, v57
	s_delay_alu instid0(VALU_DEP_2) | instskip(SKIP_2) | instid1(VALU_DEP_3)
	v_lshrrev_b32_e32 v59, 24, v4
	v_lshrrev_b32_e32 v60, 16, v4
	s_wait_alu 0xf1ff
	v_cndmask_b32_e64 v3, v3, v57, s9
	v_perm_b32 v62, v4, v4, 0x6070504
	v_bfe_i32 v59, v59, 0, 8
	v_bfe_i32 v60, v60, 0, 8
	s_delay_alu instid0(VALU_DEP_4) | instskip(SKIP_2) | instid1(VALU_DEP_4)
	v_lshrrev_b32_e32 v57, 16, v3
	v_lshrrev_b32_e32 v58, 8, v3
	v_perm_b32 v61, v3, v3, 0x7050604
	v_cmp_lt_i16_e64 s13, v59, v60
	s_delay_alu instid0(VALU_DEP_4) | instskip(NEXT) | instid1(VALU_DEP_4)
	v_bfe_i32 v57, v57, 0, 8
	v_bfe_i32 v58, v58, 0, 8
	s_wait_alu 0xf1ff
	s_delay_alu instid0(VALU_DEP_3) | instskip(NEXT) | instid1(VALU_DEP_2)
	v_cndmask_b32_e64 v4, v4, v62, s13
	v_cmp_lt_i16_e64 s12, v57, v58
	s_delay_alu instid0(VALU_DEP_2) | instskip(SKIP_2) | instid1(VALU_DEP_3)
	v_lshlrev_b16 v58, 8, v4
	v_bfe_i32 v59, v4, 0, 8
	s_wait_alu 0xf1ff
	v_cndmask_b32_e64 v3, v3, v61, s12
	s_delay_alu instid0(VALU_DEP_1) | instskip(NEXT) | instid1(VALU_DEP_1)
	v_lshrrev_b32_e32 v57, 16, v3
	v_and_b32_e32 v57, 0xff, v57
	s_delay_alu instid0(VALU_DEP_1) | instskip(SKIP_1) | instid1(VALU_DEP_2)
	v_or_b32_e32 v57, v57, v58
	v_lshrrev_b32_e32 v58, 24, v3
	v_lshlrev_b32_e32 v57, 16, v57
	s_delay_alu instid0(VALU_DEP_2) | instskip(NEXT) | instid1(VALU_DEP_2)
	v_bfe_i32 v58, v58, 0, 8
	v_and_or_b32 v57, 0xffff, v3, v57
	s_delay_alu instid0(VALU_DEP_2) | instskip(SKIP_1) | instid1(VALU_DEP_1)
	v_cmp_lt_i16_e64 s11, v59, v58
	s_wait_alu 0xf1ff
	v_cndmask_b32_e64 v57, v3, v57, s11
	v_perm_b32 v3, v3, v4, 0x3020107
	s_delay_alu instid0(VALU_DEP_2) | instskip(SKIP_1) | instid1(VALU_DEP_3)
	v_lshrrev_b32_e32 v58, 8, v57
	v_perm_b32 v59, 0, v57, 0xc0c0001
	v_cndmask_b32_e64 v3, v4, v3, s11
	v_bfe_i32 v4, v57, 0, 8
	s_delay_alu instid0(VALU_DEP_4) | instskip(NEXT) | instid1(VALU_DEP_4)
	v_bfe_i32 v58, v58, 0, 8
	v_and_or_b32 v59, 0xffff0000, v57, v59
	s_delay_alu instid0(VALU_DEP_4) | instskip(NEXT) | instid1(VALU_DEP_3)
	v_lshrrev_b32_e32 v60, 16, v3
	v_cmp_lt_i16_e64 s14, v58, v4
	s_delay_alu instid0(VALU_DEP_2) | instskip(SKIP_2) | instid1(VALU_DEP_3)
	v_bfe_i32 v58, v60, 0, 8
	v_perm_b32 v60, v3, v3, 0x7050604
	s_wait_alu 0xf1ff
	v_cndmask_b32_e64 v4, v57, v59, s14
	v_lshrrev_b32_e32 v57, 8, v3
	s_delay_alu instid0(VALU_DEP_2) | instskip(NEXT) | instid1(VALU_DEP_2)
	v_lshrrev_b32_e32 v59, 16, v4
	v_bfe_i32 v57, v57, 0, 8
	s_delay_alu instid0(VALU_DEP_2) | instskip(NEXT) | instid1(VALU_DEP_2)
	v_perm_b32 v61, 0, v59, 0xc0c0001
	v_cmp_lt_i16_e64 s15, v58, v57
	v_lshrrev_b32_e32 v57, 24, v4
	v_bfe_i32 v59, v59, 0, 8
	s_delay_alu instid0(VALU_DEP_4) | instskip(SKIP_3) | instid1(VALU_DEP_3)
	v_lshlrev_b32_e32 v58, 16, v61
	s_wait_alu 0xf1ff
	v_cndmask_b32_e64 v3, v3, v60, s15
	v_bfe_i32 v57, v57, 0, 8
	v_and_or_b32 v58, 0xffff, v4, v58
	s_delay_alu instid0(VALU_DEP_3) | instskip(SKIP_1) | instid1(VALU_DEP_4)
	v_lshrrev_b32_e32 v60, 8, v3
	v_bfe_i32 v61, v3, 0, 8
	v_cmp_lt_i16_e64 s16, v57, v59
	v_perm_b32 v62, v3, v3, 0x7060405
	s_delay_alu instid0(VALU_DEP_4) | instskip(SKIP_1) | instid1(VALU_DEP_3)
	v_bfe_i32 v60, v60, 0, 8
	s_wait_alu 0xf1ff
	v_cndmask_b32_e64 v4, v4, v58, s16
	s_delay_alu instid0(VALU_DEP_2) | instskip(NEXT) | instid1(VALU_DEP_2)
	v_cmp_lt_i16_e64 s17, v60, v61
	v_lshrrev_b32_e32 v57, 16, v4
	v_lshrrev_b32_e32 v58, 8, v4
	v_perm_b32 v61, v4, v4, 0x7050604
	s_wait_alu 0xf1ff
	v_cndmask_b32_e64 v3, v3, v62, s17
	v_bfe_i32 v57, v57, 0, 8
	v_bfe_i32 v58, v58, 0, 8
	s_delay_alu instid0(VALU_DEP_3) | instskip(SKIP_2) | instid1(VALU_DEP_4)
	v_lshrrev_b32_e32 v59, 24, v3
	v_lshrrev_b32_e32 v60, 16, v3
	v_perm_b32 v62, v3, v3, 0x6070504
	v_cmp_lt_i16_e64 s19, v57, v58
	s_delay_alu instid0(VALU_DEP_4) | instskip(NEXT) | instid1(VALU_DEP_4)
	v_bfe_i32 v59, v59, 0, 8
	v_bfe_i32 v60, v60, 0, 8
	s_wait_alu 0xf1ff
	s_delay_alu instid0(VALU_DEP_3) | instskip(NEXT) | instid1(VALU_DEP_2)
	v_cndmask_b32_e64 v4, v4, v61, s19
	v_cmp_lt_i16_e64 s20, v59, v60
	s_delay_alu instid0(VALU_DEP_2) | instskip(SKIP_1) | instid1(VALU_DEP_2)
	v_lshrrev_b32_e32 v57, 16, v4
	s_wait_alu 0xf1ff
	v_cndmask_b32_e64 v3, v3, v62, s20
	s_delay_alu instid0(VALU_DEP_2) | instskip(NEXT) | instid1(VALU_DEP_2)
	v_and_b32_e32 v57, 0xff, v57
	v_lshlrev_b16 v58, 8, v3
	v_bfe_i32 v59, v3, 0, 8
	s_delay_alu instid0(VALU_DEP_2) | instskip(SKIP_1) | instid1(VALU_DEP_2)
	v_or_b32_e32 v57, v57, v58
	v_lshrrev_b32_e32 v58, 24, v4
	v_lshlrev_b32_e32 v57, 16, v57
	s_delay_alu instid0(VALU_DEP_2) | instskip(NEXT) | instid1(VALU_DEP_2)
	v_bfe_i32 v58, v58, 0, 8
	v_and_or_b32 v57, 0xffff, v4, v57
	s_delay_alu instid0(VALU_DEP_2) | instskip(SKIP_1) | instid1(VALU_DEP_1)
	v_cmp_lt_i16_e64 s18, v59, v58
	s_wait_alu 0xf1ff
	v_cndmask_b32_e64 v57, v4, v57, s18
	v_perm_b32 v4, v4, v3, 0x3020107
	s_delay_alu instid0(VALU_DEP_2) | instskip(SKIP_1) | instid1(VALU_DEP_3)
	v_lshrrev_b32_e32 v58, 8, v57
	v_perm_b32 v59, 0, v57, 0xc0c0001
	v_cndmask_b32_e64 v3, v3, v4, s18
	v_bfe_i32 v4, v57, 0, 8
	s_delay_alu instid0(VALU_DEP_4) | instskip(NEXT) | instid1(VALU_DEP_4)
	v_bfe_i32 v58, v58, 0, 8
	v_and_or_b32 v59, 0xffff0000, v57, v59
	s_delay_alu instid0(VALU_DEP_4) | instskip(NEXT) | instid1(VALU_DEP_3)
	v_lshrrev_b32_e32 v60, 16, v3
	v_cmp_lt_i16_e64 s21, v58, v4
	s_delay_alu instid0(VALU_DEP_2) | instskip(SKIP_2) | instid1(VALU_DEP_3)
	v_bfe_i32 v58, v60, 0, 8
	v_perm_b32 v60, v3, v3, 0x7050604
	s_wait_alu 0xf1ff
	v_cndmask_b32_e64 v4, v57, v59, s21
	v_lshrrev_b32_e32 v57, 8, v3
	s_delay_alu instid0(VALU_DEP_2) | instskip(NEXT) | instid1(VALU_DEP_2)
	v_lshrrev_b32_e32 v59, 16, v4
	v_bfe_i32 v57, v57, 0, 8
	s_delay_alu instid0(VALU_DEP_2) | instskip(NEXT) | instid1(VALU_DEP_2)
	v_perm_b32 v61, 0, v59, 0xc0c0001
	v_cmp_lt_i16_e64 s22, v58, v57
	v_lshrrev_b32_e32 v57, 24, v4
	v_bfe_i32 v59, v59, 0, 8
	s_delay_alu instid0(VALU_DEP_4) | instskip(SKIP_3) | instid1(VALU_DEP_3)
	v_lshlrev_b32_e32 v58, 16, v61
	s_wait_alu 0xf1ff
	v_cndmask_b32_e64 v3, v3, v60, s22
	v_bfe_i32 v57, v57, 0, 8
	v_and_or_b32 v58, 0xffff, v4, v58
	s_delay_alu instid0(VALU_DEP_3) | instskip(SKIP_1) | instid1(VALU_DEP_4)
	v_lshrrev_b32_e32 v60, 8, v3
	v_bfe_i32 v61, v3, 0, 8
	v_cmp_lt_i16_e64 s24, v57, v59
	v_perm_b32 v62, v3, v3, 0x7060405
	s_delay_alu instid0(VALU_DEP_4) | instskip(SKIP_1) | instid1(VALU_DEP_3)
	v_bfe_i32 v60, v60, 0, 8
	s_wait_alu 0xf1ff
	v_cndmask_b32_e64 v4, v4, v58, s24
	s_delay_alu instid0(VALU_DEP_2) | instskip(NEXT) | instid1(VALU_DEP_2)
	v_cmp_lt_i16_e64 s25, v60, v61
	v_lshrrev_b32_e32 v57, 16, v4
	v_lshrrev_b32_e32 v58, 8, v4
	v_perm_b32 v61, v4, v4, 0x7050604
	s_wait_alu 0xf1ff
	v_cndmask_b32_e64 v3, v3, v62, s25
	v_bfe_i32 v57, v57, 0, 8
	v_bfe_i32 v58, v58, 0, 8
	s_delay_alu instid0(VALU_DEP_3) | instskip(SKIP_2) | instid1(VALU_DEP_4)
	v_lshrrev_b32_e32 v59, 24, v3
	v_lshrrev_b32_e32 v60, 16, v3
	v_perm_b32 v62, v3, v3, 0x6070504
	v_cmp_lt_i16_e64 s28, v57, v58
	s_delay_alu instid0(VALU_DEP_4) | instskip(NEXT) | instid1(VALU_DEP_4)
	v_bfe_i32 v59, v59, 0, 8
	v_bfe_i32 v60, v60, 0, 8
	s_wait_alu 0xf1ff
	s_delay_alu instid0(VALU_DEP_3) | instskip(NEXT) | instid1(VALU_DEP_2)
	v_cndmask_b32_e64 v4, v4, v61, s28
	v_cmp_lt_i16_e64 s29, v59, v60
	s_delay_alu instid0(VALU_DEP_2) | instskip(SKIP_1) | instid1(VALU_DEP_2)
	v_lshrrev_b32_e32 v57, 16, v4
	s_wait_alu 0xf1ff
	v_cndmask_b32_e64 v3, v3, v62, s29
	s_delay_alu instid0(VALU_DEP_2) | instskip(NEXT) | instid1(VALU_DEP_2)
	v_and_b32_e32 v57, 0xff, v57
	v_lshlrev_b16 v58, 8, v3
	v_bfe_i32 v59, v3, 0, 8
	s_delay_alu instid0(VALU_DEP_2) | instskip(SKIP_1) | instid1(VALU_DEP_2)
	v_or_b32_e32 v57, v57, v58
	v_lshrrev_b32_e32 v58, 24, v4
	v_lshlrev_b32_e32 v57, 16, v57
	s_delay_alu instid0(VALU_DEP_2) | instskip(NEXT) | instid1(VALU_DEP_2)
	v_bfe_i32 v58, v58, 0, 8
	v_and_or_b32 v57, 0xffff, v4, v57
	s_delay_alu instid0(VALU_DEP_2) | instskip(SKIP_1) | instid1(VALU_DEP_1)
	v_cmp_lt_i16_e64 s27, v59, v58
	s_wait_alu 0xf1ff
	v_cndmask_b32_e64 v57, v4, v57, s27
	v_perm_b32 v4, v4, v3, 0x3020107
	s_delay_alu instid0(VALU_DEP_2) | instskip(SKIP_1) | instid1(VALU_DEP_3)
	v_lshrrev_b32_e32 v58, 8, v57
	v_perm_b32 v59, 0, v57, 0xc0c0001
	v_cndmask_b32_e64 v3, v3, v4, s27
	v_bfe_i32 v4, v57, 0, 8
	s_delay_alu instid0(VALU_DEP_4) | instskip(NEXT) | instid1(VALU_DEP_4)
	v_bfe_i32 v58, v58, 0, 8
	v_and_or_b32 v59, 0xffff0000, v57, v59
	s_delay_alu instid0(VALU_DEP_4) | instskip(NEXT) | instid1(VALU_DEP_3)
	v_lshrrev_b32_e32 v60, 16, v3
	v_cmp_lt_i16_e64 s35, v58, v4
	s_delay_alu instid0(VALU_DEP_2) | instskip(SKIP_2) | instid1(VALU_DEP_3)
	v_bfe_i32 v58, v60, 0, 8
	v_perm_b32 v60, v3, v3, 0x7050604
	s_wait_alu 0xf1ff
	v_cndmask_b32_e64 v4, v57, v59, s35
	v_lshrrev_b32_e32 v57, 8, v3
	s_delay_alu instid0(VALU_DEP_2) | instskip(NEXT) | instid1(VALU_DEP_2)
	v_lshrrev_b32_e32 v59, 16, v4
	v_bfe_i32 v57, v57, 0, 8
	s_delay_alu instid0(VALU_DEP_2) | instskip(NEXT) | instid1(VALU_DEP_2)
	v_perm_b32 v61, 0, v59, 0xc0c0001
	v_cmp_lt_i16_e64 s34, v58, v57
	v_lshrrev_b32_e32 v57, 24, v4
	v_bfe_i32 v59, v59, 0, 8
	s_delay_alu instid0(VALU_DEP_4) | instskip(SKIP_3) | instid1(VALU_DEP_3)
	v_lshlrev_b32_e32 v58, 16, v61
	s_wait_alu 0xf1ff
	v_cndmask_b32_e64 v3, v3, v60, s34
	v_bfe_i32 v57, v57, 0, 8
	v_and_or_b32 v58, 0xffff, v4, v58
	s_delay_alu instid0(VALU_DEP_3) | instskip(SKIP_1) | instid1(VALU_DEP_4)
	v_lshrrev_b32_e32 v60, 8, v3
	v_bfe_i32 v61, v3, 0, 8
	v_cmp_lt_i16_e64 s36, v57, v59
	v_perm_b32 v62, v3, v3, 0x7060405
	s_delay_alu instid0(VALU_DEP_4) | instskip(SKIP_1) | instid1(VALU_DEP_3)
	v_bfe_i32 v60, v60, 0, 8
	s_wait_alu 0xf1ff
	v_cndmask_b32_e64 v4, v4, v58, s36
	s_delay_alu instid0(VALU_DEP_2) | instskip(NEXT) | instid1(VALU_DEP_2)
	v_cmp_lt_i16_e64 s30, v60, v61
	v_lshrrev_b32_e32 v57, 16, v4
	v_lshrrev_b32_e32 v58, 8, v4
	v_perm_b32 v61, v4, v4, 0x7050604
	s_wait_alu 0xf1ff
	v_cndmask_b32_e64 v3, v3, v62, s30
	v_bfe_i32 v57, v57, 0, 8
	v_bfe_i32 v58, v58, 0, 8
	s_delay_alu instid0(VALU_DEP_3) | instskip(SKIP_2) | instid1(VALU_DEP_4)
	v_lshrrev_b32_e32 v59, 24, v3
	v_lshrrev_b32_e32 v60, 16, v3
	v_perm_b32 v62, v3, v3, 0x6070504
	v_cmp_lt_i16_e64 s33, v57, v58
	s_delay_alu instid0(VALU_DEP_4) | instskip(NEXT) | instid1(VALU_DEP_4)
	v_bfe_i32 v59, v59, 0, 8
	v_bfe_i32 v60, v60, 0, 8
	s_wait_alu 0xf1ff
	s_delay_alu instid0(VALU_DEP_3) | instskip(NEXT) | instid1(VALU_DEP_2)
	v_cndmask_b32_e64 v4, v4, v61, s33
	v_cmp_lt_i16_e64 s31, v59, v60
	s_wait_alu 0xf1ff
	s_delay_alu instid0(VALU_DEP_1) | instskip(NEXT) | instid1(VALU_DEP_3)
	v_cndmask_b32_e64 v57, v3, v62, s31
	v_lshrrev_b32_e32 v3, 16, v4
	s_delay_alu instid0(VALU_DEP_2) | instskip(NEXT) | instid1(VALU_DEP_2)
	v_lshlrev_b16 v58, 8, v57
	v_and_b32_e32 v3, 0xff, v3
	v_bfe_i32 v59, v57, 0, 8
	v_perm_b32 v60, v4, v57, 0x3020107
	s_delay_alu instid0(VALU_DEP_3) | instskip(SKIP_1) | instid1(VALU_DEP_2)
	v_or_b32_e32 v3, v3, v58
	v_lshrrev_b32_e32 v58, 24, v4
	v_lshlrev_b32_e32 v3, 16, v3
	s_delay_alu instid0(VALU_DEP_2) | instskip(NEXT) | instid1(VALU_DEP_2)
	v_bfe_i32 v58, v58, 0, 8
	v_and_or_b32 v3, 0xffff, v4, v3
	s_delay_alu instid0(VALU_DEP_2) | instskip(SKIP_1) | instid1(VALU_DEP_1)
	v_cmp_lt_i16_e64 s23, v59, v58
	s_wait_alu 0xf1ff
	v_cndmask_b32_e64 v3, v4, v3, s23
	v_cndmask_b32_e64 v4, v57, v60, s23
	s_delay_alu instid0(VALU_DEP_1) | instskip(SKIP_2) | instid1(VALU_DEP_3)
	v_lshrrev_b32_e32 v57, 16, v4
	v_lshrrev_b32_e32 v58, 8, v4
	v_perm_b32 v59, v4, v4, 0x7050604
	v_bfe_i32 v57, v57, 0, 8
	s_delay_alu instid0(VALU_DEP_3) | instskip(NEXT) | instid1(VALU_DEP_1)
	v_bfe_i32 v58, v58, 0, 8
	v_cmp_lt_i16_e64 s26, v57, v58
	v_mov_b32_e32 v57, v49
	s_wait_alu 0xf1ff
	s_delay_alu instid0(VALU_DEP_2)
	v_cndmask_b32_e64 v4, v4, v59, s26
	ds_store_b64 v5, v[3:4]
	s_wait_loadcnt_dscnt 0x0
	s_barrier_signal -1
	s_barrier_wait -1
	global_inv scope:SCOPE_SE
	s_and_saveexec_b32 s38, s0
	s_cbranch_execz .LBB79_6
; %bb.3:                                ;   in Loop: Header=BB79_2 Depth=1
	v_mov_b32_e32 v57, v49
	v_mov_b32_e32 v3, v41
	s_mov_b32 s39, 0
.LBB79_4:                               ;   Parent Loop BB79_2 Depth=1
                                        ; =>  This Inner Loop Header: Depth=2
	s_delay_alu instid0(VALU_DEP_1) | instskip(NEXT) | instid1(VALU_DEP_1)
	v_sub_nc_u32_e32 v4, v3, v57
	v_lshrrev_b32_e32 v4, 1, v4
	s_delay_alu instid0(VALU_DEP_1) | instskip(NEXT) | instid1(VALU_DEP_1)
	v_add_nc_u32_e32 v4, v4, v57
	v_add_nc_u32_e32 v58, v6, v4
	v_xad_u32 v59, v4, -1, v33
	v_add_nc_u32_e32 v60, 1, v4
	ds_load_i8 v58, v58
	ds_load_i8 v59, v59
	s_wait_dscnt 0x0
	v_cmp_lt_i16_e64 s37, v59, v58
	s_wait_alu 0xf1ff
	s_delay_alu instid0(VALU_DEP_1) | instskip(SKIP_1) | instid1(VALU_DEP_1)
	v_cndmask_b32_e64 v3, v3, v4, s37
	v_cndmask_b32_e64 v57, v60, v57, s37
	v_cmp_ge_i32_e64 s37, v57, v3
	s_wait_alu 0xfffe
	s_or_b32 s39, s37, s39
	s_wait_alu 0xfffe
	s_and_not1_b32 exec_lo, exec_lo, s39
	s_cbranch_execnz .LBB79_4
; %bb.5:                                ;   in Loop: Header=BB79_2 Depth=1
	s_or_b32 exec_lo, exec_lo, s39
.LBB79_6:                               ;   in Loop: Header=BB79_2 Depth=1
	s_wait_alu 0xfffe
	s_or_b32 exec_lo, exec_lo, s38
	v_lshrrev_b64 v[3:4], 24, v[1:2]
	v_add_nc_u32_e32 v4, v57, v6
	v_sub_nc_u32_e32 v57, v33, v57
	v_lshrrev_b32_e32 v68, 8, v2
	v_lshrrev_b32_e32 v69, 16, v2
	;; [unrolled: 1-line block ×3, first 2 shown]
	ds_load_u8 v58, v4
	ds_load_u8 v59, v57
	v_cmp_le_i32_e64 s37, v17, v4
	v_cmp_gt_i32_e64 s39, v18, v57
	v_lshrrev_b32_e32 v71, 16, v1
	v_lshrrev_b32_e32 v73, 8, v1
                                        ; implicit-def: $vgpr60
	s_wait_dscnt 0x1
	v_bfe_i32 v58, v58, 0, 8
	s_wait_dscnt 0x0
	v_bfe_i32 v59, v59, 0, 8
	s_delay_alu instid0(VALU_DEP_1)
	v_cmp_lt_i16_e64 s38, v59, v58
	s_or_b32 s37, s37, s38
	s_wait_alu 0xfffe
	s_and_b32 s37, s39, s37
	s_wait_alu 0xfffe
	s_xor_b32 s38, s37, -1
	s_wait_alu 0xfffe
	s_and_saveexec_b32 s39, s38
	s_wait_alu 0xfffe
	s_xor_b32 s38, exec_lo, s39
; %bb.7:                                ;   in Loop: Header=BB79_2 Depth=1
	ds_load_u8 v60, v4 offset:1
; %bb.8:                                ;   in Loop: Header=BB79_2 Depth=1
	s_wait_alu 0xfffe
	s_or_saveexec_b32 s38, s38
	v_mov_b32_e32 v61, v59
	s_wait_alu 0xfffe
	s_xor_b32 exec_lo, exec_lo, s38
	s_cbranch_execz .LBB79_10
; %bb.9:                                ;   in Loop: Header=BB79_2 Depth=1
	ds_load_u8 v61, v57 offset:1
	s_wait_dscnt 0x1
	v_mov_b32_e32 v60, v58
.LBB79_10:                              ;   in Loop: Header=BB79_2 Depth=1
	s_or_b32 exec_lo, exec_lo, s38
	v_add_nc_u32_e32 v62, 1, v4
	v_add_nc_u32_e32 v63, 1, v57
	s_wait_dscnt 0x0
	v_bfe_i32 v64, v60, 0, 8
	v_bfe_i32 v65, v61, 0, 8
	v_cndmask_b32_e64 v62, v62, v4, s37
	v_cndmask_b32_e64 v63, v57, v63, s37
	s_delay_alu instid0(VALU_DEP_3) | instskip(NEXT) | instid1(VALU_DEP_3)
	v_cmp_lt_i16_e64 s39, v65, v64
                                        ; implicit-def: $vgpr64
	v_cmp_ge_i32_e64 s38, v62, v17
	s_delay_alu instid0(VALU_DEP_3)
	v_cmp_lt_i32_e64 s40, v63, v18
	s_or_b32 s38, s38, s39
	s_wait_alu 0xfffe
	s_and_b32 s38, s40, s38
	s_wait_alu 0xfffe
	s_xor_b32 s39, s38, -1
	s_wait_alu 0xfffe
	s_and_saveexec_b32 s40, s39
	s_wait_alu 0xfffe
	s_xor_b32 s39, exec_lo, s40
; %bb.11:                               ;   in Loop: Header=BB79_2 Depth=1
	ds_load_u8 v64, v62 offset:1
; %bb.12:                               ;   in Loop: Header=BB79_2 Depth=1
	s_wait_alu 0xfffe
	s_or_saveexec_b32 s39, s39
	v_mov_b32_e32 v65, v61
	s_wait_alu 0xfffe
	s_xor_b32 exec_lo, exec_lo, s39
	s_cbranch_execz .LBB79_14
; %bb.13:                               ;   in Loop: Header=BB79_2 Depth=1
	ds_load_u8 v65, v63 offset:1
	s_wait_dscnt 0x1
	v_mov_b32_e32 v64, v60
.LBB79_14:                              ;   in Loop: Header=BB79_2 Depth=1
	s_or_b32 exec_lo, exec_lo, s39
	v_add_nc_u32_e32 v66, 1, v62
	v_add_nc_u32_e32 v67, 1, v63
	s_wait_dscnt 0x0
	v_bfe_i32 v72, v64, 0, 8
	v_bfe_i32 v74, v65, 0, 8
	v_cndmask_b32_e64 v66, v66, v62, s38
	v_cndmask_b32_e64 v67, v63, v67, s38
	s_delay_alu instid0(VALU_DEP_3) | instskip(NEXT) | instid1(VALU_DEP_3)
	v_cmp_lt_i16_e64 s40, v74, v72
                                        ; implicit-def: $vgpr72
	v_cmp_ge_i32_e64 s39, v66, v17
	s_delay_alu instid0(VALU_DEP_3)
	v_cmp_lt_i32_e64 s41, v67, v18
	s_or_b32 s39, s39, s40
	s_wait_alu 0xfffe
	s_and_b32 s39, s41, s39
	s_wait_alu 0xfffe
	s_xor_b32 s40, s39, -1
	s_wait_alu 0xfffe
	s_and_saveexec_b32 s41, s40
	s_wait_alu 0xfffe
	s_xor_b32 s40, exec_lo, s41
; %bb.15:                               ;   in Loop: Header=BB79_2 Depth=1
	ds_load_u8 v72, v66 offset:1
; %bb.16:                               ;   in Loop: Header=BB79_2 Depth=1
	s_wait_alu 0xfffe
	s_or_saveexec_b32 s40, s40
	v_mov_b32_e32 v74, v65
	s_wait_alu 0xfffe
	s_xor_b32 exec_lo, exec_lo, s40
	s_cbranch_execz .LBB79_18
; %bb.17:                               ;   in Loop: Header=BB79_2 Depth=1
	ds_load_u8 v74, v67 offset:1
	s_wait_dscnt 0x1
	v_mov_b32_e32 v72, v64
.LBB79_18:                              ;   in Loop: Header=BB79_2 Depth=1
	s_or_b32 exec_lo, exec_lo, s40
	v_add_nc_u32_e32 v75, 1, v66
	v_add_nc_u32_e32 v76, 1, v67
	s_wait_dscnt 0x0
	v_bfe_i32 v77, v72, 0, 8
	v_bfe_i32 v78, v74, 0, 8
	v_cndmask_b32_e64 v75, v75, v66, s39
	v_cndmask_b32_e64 v76, v67, v76, s39
	s_delay_alu instid0(VALU_DEP_3) | instskip(NEXT) | instid1(VALU_DEP_3)
	v_cmp_lt_i16_e64 s41, v78, v77
                                        ; implicit-def: $vgpr77
	v_cmp_ge_i32_e64 s40, v75, v17
	s_delay_alu instid0(VALU_DEP_3)
	v_cmp_lt_i32_e64 s42, v76, v18
	s_or_b32 s40, s40, s41
	s_wait_alu 0xfffe
	s_and_b32 s40, s42, s40
	s_wait_alu 0xfffe
	s_xor_b32 s41, s40, -1
	s_wait_alu 0xfffe
	s_and_saveexec_b32 s42, s41
	s_wait_alu 0xfffe
	s_xor_b32 s41, exec_lo, s42
; %bb.19:                               ;   in Loop: Header=BB79_2 Depth=1
	ds_load_u8 v77, v75 offset:1
; %bb.20:                               ;   in Loop: Header=BB79_2 Depth=1
	s_wait_alu 0xfffe
	s_or_saveexec_b32 s41, s41
	v_mov_b32_e32 v78, v74
	s_wait_alu 0xfffe
	s_xor_b32 exec_lo, exec_lo, s41
	s_cbranch_execz .LBB79_22
; %bb.21:                               ;   in Loop: Header=BB79_2 Depth=1
	ds_load_u8 v78, v76 offset:1
	s_wait_dscnt 0x1
	v_mov_b32_e32 v77, v72
.LBB79_22:                              ;   in Loop: Header=BB79_2 Depth=1
	s_or_b32 exec_lo, exec_lo, s41
	v_add_nc_u32_e32 v79, 1, v75
	v_add_nc_u32_e32 v80, 1, v76
	s_wait_dscnt 0x0
	v_bfe_i32 v81, v77, 0, 8
	v_bfe_i32 v82, v78, 0, 8
	v_cndmask_b32_e64 v79, v79, v75, s40
	v_cndmask_b32_e64 v80, v76, v80, s40
	s_delay_alu instid0(VALU_DEP_3) | instskip(NEXT) | instid1(VALU_DEP_3)
	v_cmp_lt_i16_e64 s42, v82, v81
                                        ; implicit-def: $vgpr82
	v_cmp_ge_i32_e64 s41, v79, v17
	s_delay_alu instid0(VALU_DEP_3)
	v_cmp_lt_i32_e64 s43, v80, v18
	s_or_b32 s41, s41, s42
	s_wait_alu 0xfffe
	s_and_b32 s41, s43, s41
	s_wait_alu 0xfffe
	s_xor_b32 s42, s41, -1
	s_wait_alu 0xfffe
	s_and_saveexec_b32 s43, s42
	s_wait_alu 0xfffe
	s_xor_b32 s42, exec_lo, s43
; %bb.23:                               ;   in Loop: Header=BB79_2 Depth=1
	ds_load_u8 v82, v79 offset:1
; %bb.24:                               ;   in Loop: Header=BB79_2 Depth=1
	s_wait_alu 0xfffe
	s_or_saveexec_b32 s42, s42
	v_mov_b32_e32 v84, v78
	s_wait_alu 0xfffe
	s_xor_b32 exec_lo, exec_lo, s42
	s_cbranch_execz .LBB79_26
; %bb.25:                               ;   in Loop: Header=BB79_2 Depth=1
	ds_load_u8 v84, v80 offset:1
	s_wait_dscnt 0x1
	v_mov_b32_e32 v82, v77
.LBB79_26:                              ;   in Loop: Header=BB79_2 Depth=1
	s_or_b32 exec_lo, exec_lo, s42
	v_add_nc_u32_e32 v81, 1, v79
	v_add_nc_u32_e32 v83, 1, v80
	s_wait_dscnt 0x0
	v_bfe_i32 v85, v82, 0, 8
                                        ; implicit-def: $vgpr89
	s_delay_alu instid0(VALU_DEP_3) | instskip(SKIP_2) | instid1(VALU_DEP_3)
	v_cndmask_b32_e64 v87, v81, v79, s41
	v_bfe_i32 v81, v84, 0, 8
	v_cndmask_b32_e64 v88, v80, v83, s41
	v_cmp_ge_i32_e64 s42, v87, v17
	s_delay_alu instid0(VALU_DEP_3) | instskip(NEXT) | instid1(VALU_DEP_3)
	v_cmp_lt_i16_e64 s43, v81, v85
	v_cmp_lt_i32_e64 s44, v88, v18
	s_or_b32 s42, s42, s43
	s_wait_alu 0xfffe
	s_and_b32 s43, s44, s42
	s_wait_alu 0xfffe
	s_xor_b32 s42, s43, -1
	s_wait_alu 0xfffe
	s_and_saveexec_b32 s44, s42
	s_delay_alu instid0(SALU_CYCLE_1)
	s_xor_b32 s42, exec_lo, s44
; %bb.27:                               ;   in Loop: Header=BB79_2 Depth=1
	ds_load_u8 v89, v87 offset:1
; %bb.28:                               ;   in Loop: Header=BB79_2 Depth=1
	s_wait_alu 0xfffe
	s_or_saveexec_b32 s42, s42
	v_mov_b32_e32 v90, v84
	s_wait_alu 0xfffe
	s_xor_b32 exec_lo, exec_lo, s42
	s_cbranch_execz .LBB79_30
; %bb.29:                               ;   in Loop: Header=BB79_2 Depth=1
	ds_load_u8 v90, v88 offset:1
	s_wait_dscnt 0x1
	v_mov_b32_e32 v89, v82
.LBB79_30:                              ;   in Loop: Header=BB79_2 Depth=1
	s_or_b32 exec_lo, exec_lo, s42
	v_add_nc_u32_e32 v81, 1, v87
	v_add_nc_u32_e32 v83, 1, v88
	s_wait_dscnt 0x0
	v_bfe_i32 v91, v89, 0, 8
	s_delay_alu instid0(VALU_DEP_3) | instskip(SKIP_2) | instid1(VALU_DEP_3)
	v_cndmask_b32_e64 v85, v81, v87, s43
	v_bfe_i32 v81, v90, 0, 8
	v_cndmask_b32_e64 v86, v88, v83, s43
	v_cmp_ge_i32_e64 s42, v85, v17
	s_delay_alu instid0(VALU_DEP_3) | instskip(NEXT) | instid1(VALU_DEP_3)
	v_cmp_lt_i16_e64 s44, v81, v91
	v_cmp_lt_i32_e64 s45, v86, v18
                                        ; implicit-def: $vgpr81
	s_or_b32 s42, s42, s44
	s_wait_alu 0xfffe
	s_and_b32 s42, s45, s42
	s_wait_alu 0xfffe
	s_xor_b32 s44, s42, -1
	s_delay_alu instid0(SALU_CYCLE_1) | instskip(NEXT) | instid1(SALU_CYCLE_1)
	s_and_saveexec_b32 s45, s44
	s_xor_b32 s44, exec_lo, s45
; %bb.31:                               ;   in Loop: Header=BB79_2 Depth=1
	ds_load_u8 v81, v85 offset:1
; %bb.32:                               ;   in Loop: Header=BB79_2 Depth=1
	s_or_saveexec_b32 s44, s44
	v_mov_b32_e32 v83, v90
	s_xor_b32 exec_lo, exec_lo, s44
	s_cbranch_execz .LBB79_34
; %bb.33:                               ;   in Loop: Header=BB79_2 Depth=1
	ds_load_u8 v83, v86 offset:1
	s_wait_dscnt 0x1
	v_mov_b32_e32 v81, v89
.LBB79_34:                              ;   in Loop: Header=BB79_2 Depth=1
	s_or_b32 exec_lo, exec_lo, s44
	v_perm_b32 v91, v73, v1, 0xc0c0004
	v_perm_b32 v1, v1, v73, 0xc0c0004
	;; [unrolled: 1-line block ×5, first 2 shown]
	v_cndmask_b32_e64 v72, v72, v74, s40
	v_cndmask_b32_e64 v1, v1, v91, s8
	v_perm_b32 v71, 0, v3, 0xc0c0001
	v_cndmask_b32_e64 v58, v58, v59, s37
	v_lshl_or_b32 v2, v68, 16, v2
	v_cndmask_b32_e64 v60, v60, v61, s38
	v_lshl_or_b32 v1, v3, 16, v1
	v_lshlrev_b32_e32 v3, 16, v71
	v_cndmask_b32_e64 v61, v62, v63, s38
	v_perm_b32 v68, v2, v2, 0x7060405
	v_add_nc_u32_e32 v70, 1, v85
	v_add_nc_u32_e32 v69, 1, v86
	v_and_or_b32 v3, 0xffff, v1, v3
	v_cndmask_b32_e64 v64, v64, v65, s39
	v_cndmask_b32_e64 v2, v2, v68, s10
	;; [unrolled: 1-line block ×6, first 2 shown]
	v_perm_b32 v68, v2, v2, 0x6070504
	v_cndmask_b32_e64 v82, v82, v84, s43
	v_cmp_ge_i32_e64 s9, v66, v17
	v_perm_b32 v3, v1, v1, 0x7050604
	v_cmp_lt_i32_e64 s10, v63, v18
	v_cndmask_b32_e64 v2, v2, v68, s13
	v_cndmask_b32_e64 v75, v75, v76, s40
	;; [unrolled: 1-line block ×5, first 2 shown]
	v_lshlrev_b16 v68, 8, v2
	s_wait_loadcnt_dscnt 0x0
	s_barrier_signal -1
	v_lshrrev_b32_e32 v3, 16, v1
	s_barrier_wait -1
	global_inv scope:SCOPE_SE
	v_and_b32_e32 v3, 0xff, v3
	s_delay_alu instid0(VALU_DEP_1) | instskip(NEXT) | instid1(VALU_DEP_1)
	v_or_b32_e32 v3, v3, v68
	v_lshlrev_b32_e32 v3, 16, v3
	s_delay_alu instid0(VALU_DEP_1) | instskip(NEXT) | instid1(VALU_DEP_1)
	v_and_or_b32 v3, 0xffff, v1, v3
	v_cndmask_b32_e64 v3, v1, v3, s11
	v_perm_b32 v1, v1, v2, 0x3020107
	s_delay_alu instid0(VALU_DEP_2) | instskip(NEXT) | instid1(VALU_DEP_2)
	v_perm_b32 v68, 0, v3, 0xc0c0001
	v_cndmask_b32_e64 v1, v2, v1, s11
	s_delay_alu instid0(VALU_DEP_2) | instskip(NEXT) | instid1(VALU_DEP_1)
	v_and_or_b32 v68, 0xffff0000, v3, v68
	v_cndmask_b32_e64 v3, v3, v68, s14
	s_delay_alu instid0(VALU_DEP_1) | instskip(NEXT) | instid1(VALU_DEP_1)
	v_lshrrev_b32_e32 v68, 16, v3
	v_perm_b32 v2, 0, v68, 0xc0c0001
	v_perm_b32 v68, v1, v1, 0x7050604
	s_delay_alu instid0(VALU_DEP_2) | instskip(NEXT) | instid1(VALU_DEP_2)
	v_lshlrev_b32_e32 v2, 16, v2
	v_cndmask_b32_e64 v1, v1, v68, s15
	s_delay_alu instid0(VALU_DEP_2) | instskip(NEXT) | instid1(VALU_DEP_2)
	v_and_or_b32 v2, 0xffff, v3, v2
	v_perm_b32 v68, v1, v1, 0x7060405
	s_delay_alu instid0(VALU_DEP_2) | instskip(NEXT) | instid1(VALU_DEP_2)
	v_cndmask_b32_e64 v2, v3, v2, s16
	v_cndmask_b32_e64 v1, v1, v68, s17
	s_delay_alu instid0(VALU_DEP_2) | instskip(NEXT) | instid1(VALU_DEP_2)
	v_perm_b32 v3, v2, v2, 0x7050604
	v_perm_b32 v68, v1, v1, 0x6070504
	s_delay_alu instid0(VALU_DEP_2) | instskip(NEXT) | instid1(VALU_DEP_2)
	v_cndmask_b32_e64 v2, v2, v3, s19
	v_cndmask_b32_e64 v1, v1, v68, s20
	s_delay_alu instid0(VALU_DEP_2) | instskip(NEXT) | instid1(VALU_DEP_2)
	v_lshrrev_b32_e32 v3, 16, v2
	v_lshlrev_b16 v68, 8, v1
	s_delay_alu instid0(VALU_DEP_2) | instskip(NEXT) | instid1(VALU_DEP_1)
	v_and_b32_e32 v3, 0xff, v3
	v_or_b32_e32 v3, v3, v68
	s_delay_alu instid0(VALU_DEP_1) | instskip(NEXT) | instid1(VALU_DEP_1)
	v_lshlrev_b32_e32 v3, 16, v3
	v_and_or_b32 v3, 0xffff, v2, v3
	s_delay_alu instid0(VALU_DEP_1) | instskip(SKIP_1) | instid1(VALU_DEP_2)
	v_cndmask_b32_e64 v3, v2, v3, s18
	v_perm_b32 v2, v2, v1, 0x3020107
	v_perm_b32 v68, 0, v3, 0xc0c0001
	s_delay_alu instid0(VALU_DEP_2) | instskip(NEXT) | instid1(VALU_DEP_2)
	v_cndmask_b32_e64 v1, v1, v2, s18
	v_and_or_b32 v68, 0xffff0000, v3, v68
	s_delay_alu instid0(VALU_DEP_1) | instskip(NEXT) | instid1(VALU_DEP_1)
	v_cndmask_b32_e64 v3, v3, v68, s21
	v_lshrrev_b32_e32 v68, 16, v3
	s_delay_alu instid0(VALU_DEP_1) | instskip(SKIP_1) | instid1(VALU_DEP_2)
	v_perm_b32 v2, 0, v68, 0xc0c0001
	v_perm_b32 v68, v1, v1, 0x7050604
	v_lshlrev_b32_e32 v2, 16, v2
	s_delay_alu instid0(VALU_DEP_2) | instskip(NEXT) | instid1(VALU_DEP_2)
	v_cndmask_b32_e64 v1, v1, v68, s22
	v_and_or_b32 v2, 0xffff, v3, v2
	s_delay_alu instid0(VALU_DEP_2) | instskip(NEXT) | instid1(VALU_DEP_2)
	v_perm_b32 v68, v1, v1, 0x7060405
	v_cndmask_b32_e64 v2, v3, v2, s24
	s_delay_alu instid0(VALU_DEP_2) | instskip(NEXT) | instid1(VALU_DEP_2)
	v_cndmask_b32_e64 v1, v1, v68, s25
	v_perm_b32 v3, v2, v2, 0x7050604
	s_delay_alu instid0(VALU_DEP_2) | instskip(NEXT) | instid1(VALU_DEP_2)
	v_perm_b32 v68, v1, v1, 0x6070504
	v_cndmask_b32_e64 v2, v2, v3, s28
	s_delay_alu instid0(VALU_DEP_2) | instskip(NEXT) | instid1(VALU_DEP_2)
	v_cndmask_b32_e64 v1, v1, v68, s29
	v_lshrrev_b32_e32 v3, 16, v2
	s_delay_alu instid0(VALU_DEP_2) | instskip(NEXT) | instid1(VALU_DEP_2)
	v_lshlrev_b16 v68, 8, v1
	v_and_b32_e32 v3, 0xff, v3
	s_delay_alu instid0(VALU_DEP_1) | instskip(NEXT) | instid1(VALU_DEP_1)
	v_or_b32_e32 v3, v3, v68
	v_lshlrev_b32_e32 v3, 16, v3
	s_delay_alu instid0(VALU_DEP_1) | instskip(NEXT) | instid1(VALU_DEP_1)
	v_and_or_b32 v3, 0xffff, v2, v3
	v_cndmask_b32_e64 v3, v2, v3, s27
	v_perm_b32 v2, v2, v1, 0x3020107
	s_delay_alu instid0(VALU_DEP_2) | instskip(NEXT) | instid1(VALU_DEP_2)
	v_perm_b32 v68, 0, v3, 0xc0c0001
	v_cndmask_b32_e64 v1, v1, v2, s27
	s_delay_alu instid0(VALU_DEP_2) | instskip(NEXT) | instid1(VALU_DEP_2)
	v_and_or_b32 v68, 0xffff0000, v3, v68
	v_perm_b32 v74, v1, v1, 0x7050604
	s_delay_alu instid0(VALU_DEP_2) | instskip(NEXT) | instid1(VALU_DEP_2)
	v_cndmask_b32_e64 v3, v3, v68, s35
	v_cndmask_b32_e64 v1, v1, v74, s34
	;; [unrolled: 1-line block ×3, first 2 shown]
	s_delay_alu instid0(VALU_DEP_3) | instskip(NEXT) | instid1(VALU_DEP_3)
	v_lshrrev_b32_e32 v71, 16, v3
	v_perm_b32 v59, v1, v1, 0x7060405
	s_delay_alu instid0(VALU_DEP_3) | instskip(NEXT) | instid1(VALU_DEP_3)
	v_and_b32_e32 v68, 0xff, v68
	v_perm_b32 v2, 0, v71, 0xc0c0001
	s_delay_alu instid0(VALU_DEP_3) | instskip(SKIP_2) | instid1(VALU_DEP_4)
	v_cndmask_b32_e64 v1, v1, v59, s30
	v_cndmask_b32_e64 v71, v77, v78, s41
	;; [unrolled: 1-line block ×3, first 2 shown]
	v_lshlrev_b32_e32 v2, 16, v2
	s_delay_alu instid0(VALU_DEP_4) | instskip(NEXT) | instid1(VALU_DEP_2)
	v_perm_b32 v62, v1, v1, 0x6070504
	v_and_or_b32 v2, 0xffff, v3, v2
	s_delay_alu instid0(VALU_DEP_2) | instskip(SKIP_1) | instid1(VALU_DEP_3)
	v_cndmask_b32_e64 v1, v1, v62, s31
	v_and_b32_e32 v62, 0xff, v64
	v_cndmask_b32_e64 v2, v3, v2, s36
	v_cndmask_b32_e64 v3, v4, v57, s37
	v_bfe_i32 v4, v81, 0, 8
	v_bfe_i32 v57, v83, 0, 8
	s_delay_alu instid0(VALU_DEP_4) | instskip(NEXT) | instid1(VALU_DEP_2)
	v_perm_b32 v59, v2, v2, 0x7050604
	v_cmp_lt_i16_e64 s8, v57, v4
	v_and_b32_e32 v57, 0xff, v58
	s_delay_alu instid0(VALU_DEP_3)
	v_cndmask_b32_e64 v59, v2, v59, s33
	v_lshlrev_b16 v58, 8, v1
	v_lshlrev_b16 v4, 8, v60
	s_or_b32 s8, s9, s8
	v_lshlrev_b16 v60, 8, v72
	v_lshrrev_b32_e32 v2, 16, v59
	v_perm_b32 v64, v59, v1, 0x3020107
	s_wait_alu 0xfffe
	s_and_b32 s8, s10, s8
	s_wait_alu 0xfffe
	v_cndmask_b32_e64 v67, v81, v83, s8
	v_and_b32_e32 v2, 0xff, v2
	v_cndmask_b32_e64 v1, v1, v64, s23
	v_and_b32_e32 v64, 0xff, v71
	v_or_b32_e32 v71, v57, v4
	v_lshlrev_b16 v4, 8, v67
	v_or_b32_e32 v2, v2, v58
	v_perm_b32 v69, v1, v1, 0x7050604
	v_lshlrev_b16 v58, 8, v82
	v_cndmask_b32_e64 v57, v66, v63, s8
	v_or_b32_e32 v62, v62, v60
	v_lshlrev_b32_e32 v2, 16, v2
	v_or_b32_e32 v63, v68, v4
	v_or_b32_e32 v64, v64, v58
	s_delay_alu instid0(VALU_DEP_4) | instskip(NEXT) | instid1(VALU_DEP_4)
	v_lshlrev_b32_e32 v62, 16, v62
	v_and_or_b32 v70, 0xffff, v59, v2
	v_cndmask_b32_e64 v2, v1, v69, s26
	s_delay_alu instid0(VALU_DEP_4) | instskip(SKIP_1) | instid1(VALU_DEP_4)
	v_and_b32_e32 v64, 0xffff, v64
	v_lshlrev_b32_e32 v63, 16, v63
	v_cndmask_b32_e64 v1, v59, v70, s23
	ds_store_b64 v5, v[1:2]
	s_wait_loadcnt_dscnt 0x0
	s_barrier_signal -1
	s_barrier_wait -1
	global_inv scope:SCOPE_SE
	ds_load_u8 v1, v3
	ds_load_u8 v57, v57
	;; [unrolled: 1-line block ×8, first 2 shown]
	v_and_b32_e32 v61, 0xffff, v71
	s_wait_loadcnt_dscnt 0x0
	s_barrier_signal -1
	s_barrier_wait -1
	global_inv scope:SCOPE_SE
	v_or_b32_e32 v61, v61, v62
	v_or_b32_e32 v62, v64, v63
	ds_store_b64 v5, v[61:62]
	v_mov_b32_e32 v62, v50
	s_wait_loadcnt_dscnt 0x0
	s_barrier_signal -1
	s_barrier_wait -1
	global_inv scope:SCOPE_SE
	s_and_saveexec_b32 s9, s1
	s_cbranch_execz .LBB79_38
; %bb.35:                               ;   in Loop: Header=BB79_2 Depth=1
	v_dual_mov_b32 v62, v50 :: v_dual_mov_b32 v61, v42
	s_mov_b32 s10, 0
.LBB79_36:                              ;   Parent Loop BB79_2 Depth=1
                                        ; =>  This Inner Loop Header: Depth=2
	s_delay_alu instid0(VALU_DEP_1) | instskip(NEXT) | instid1(VALU_DEP_1)
	v_sub_nc_u32_e32 v63, v61, v62
	v_lshrrev_b32_e32 v63, 1, v63
	s_delay_alu instid0(VALU_DEP_1) | instskip(NEXT) | instid1(VALU_DEP_1)
	v_add_nc_u32_e32 v63, v63, v62
	v_add_nc_u32_e32 v64, v7, v63
	v_xad_u32 v65, v63, -1, v34
	v_add_nc_u32_e32 v66, 1, v63
	ds_load_i8 v64, v64
	ds_load_i8 v65, v65
	s_wait_dscnt 0x0
	v_cmp_lt_i16_e64 s8, v65, v64
	s_wait_alu 0xf1ff
	s_delay_alu instid0(VALU_DEP_1) | instskip(SKIP_1) | instid1(VALU_DEP_1)
	v_cndmask_b32_e64 v61, v61, v63, s8
	v_cndmask_b32_e64 v62, v66, v62, s8
	v_cmp_ge_i32_e64 s8, v62, v61
	s_wait_alu 0xfffe
	s_or_b32 s10, s8, s10
	s_wait_alu 0xfffe
	s_and_not1_b32 exec_lo, exec_lo, s10
	s_cbranch_execnz .LBB79_36
; %bb.37:                               ;   in Loop: Header=BB79_2 Depth=1
	s_or_b32 exec_lo, exec_lo, s10
.LBB79_38:                              ;   in Loop: Header=BB79_2 Depth=1
	s_wait_alu 0xfffe
	s_or_b32 exec_lo, exec_lo, s9
	v_add_nc_u32_e32 v61, v62, v7
	v_sub_nc_u32_e32 v62, v34, v62
                                        ; implicit-def: $vgpr65
	ds_load_u8 v63, v61
	ds_load_u8 v64, v62
	v_cmp_le_i32_e64 s8, v19, v61
	v_cmp_gt_i32_e64 s10, v20, v62
	s_wait_dscnt 0x1
	v_bfe_i32 v63, v63, 0, 8
	s_wait_dscnt 0x0
	v_bfe_i32 v64, v64, 0, 8
	s_delay_alu instid0(VALU_DEP_1)
	v_cmp_lt_i16_e64 s9, v64, v63
	s_or_b32 s8, s8, s9
	s_wait_alu 0xfffe
	s_and_b32 s8, s10, s8
	s_wait_alu 0xfffe
	s_xor_b32 s9, s8, -1
	s_wait_alu 0xfffe
	s_and_saveexec_b32 s10, s9
	s_wait_alu 0xfffe
	s_xor_b32 s9, exec_lo, s10
; %bb.39:                               ;   in Loop: Header=BB79_2 Depth=1
	ds_load_u8 v65, v61 offset:1
; %bb.40:                               ;   in Loop: Header=BB79_2 Depth=1
	s_wait_alu 0xfffe
	s_or_saveexec_b32 s9, s9
	v_mov_b32_e32 v66, v64
	s_wait_alu 0xfffe
	s_xor_b32 exec_lo, exec_lo, s9
	s_cbranch_execz .LBB79_42
; %bb.41:                               ;   in Loop: Header=BB79_2 Depth=1
	ds_load_u8 v66, v62 offset:1
	s_wait_dscnt 0x1
	v_mov_b32_e32 v65, v63
.LBB79_42:                              ;   in Loop: Header=BB79_2 Depth=1
	s_or_b32 exec_lo, exec_lo, s9
	v_add_nc_u32_e32 v67, 1, v61
	v_add_nc_u32_e32 v68, 1, v62
	s_wait_dscnt 0x0
	v_bfe_i32 v69, v65, 0, 8
	v_bfe_i32 v70, v66, 0, 8
	v_cndmask_b32_e64 v67, v67, v61, s8
	v_cndmask_b32_e64 v68, v62, v68, s8
	s_delay_alu instid0(VALU_DEP_3) | instskip(NEXT) | instid1(VALU_DEP_3)
	v_cmp_lt_i16_e64 s10, v70, v69
                                        ; implicit-def: $vgpr69
	v_cmp_ge_i32_e64 s9, v67, v19
	s_delay_alu instid0(VALU_DEP_3)
	v_cmp_lt_i32_e64 s11, v68, v20
	s_or_b32 s9, s9, s10
	s_wait_alu 0xfffe
	s_and_b32 s9, s11, s9
	s_wait_alu 0xfffe
	s_xor_b32 s10, s9, -1
	s_wait_alu 0xfffe
	s_and_saveexec_b32 s11, s10
	s_wait_alu 0xfffe
	s_xor_b32 s10, exec_lo, s11
; %bb.43:                               ;   in Loop: Header=BB79_2 Depth=1
	ds_load_u8 v69, v67 offset:1
; %bb.44:                               ;   in Loop: Header=BB79_2 Depth=1
	s_wait_alu 0xfffe
	s_or_saveexec_b32 s10, s10
	v_mov_b32_e32 v70, v66
	s_wait_alu 0xfffe
	s_xor_b32 exec_lo, exec_lo, s10
	s_cbranch_execz .LBB79_46
; %bb.45:                               ;   in Loop: Header=BB79_2 Depth=1
	ds_load_u8 v70, v68 offset:1
	s_wait_dscnt 0x1
	v_mov_b32_e32 v69, v65
.LBB79_46:                              ;   in Loop: Header=BB79_2 Depth=1
	s_or_b32 exec_lo, exec_lo, s10
	v_add_nc_u32_e32 v71, 1, v67
	v_add_nc_u32_e32 v72, 1, v68
	s_wait_dscnt 0x0
	v_bfe_i32 v73, v69, 0, 8
	v_bfe_i32 v74, v70, 0, 8
	v_cndmask_b32_e64 v71, v71, v67, s9
	v_cndmask_b32_e64 v72, v68, v72, s9
	s_delay_alu instid0(VALU_DEP_3) | instskip(NEXT) | instid1(VALU_DEP_3)
	v_cmp_lt_i16_e64 s11, v74, v73
                                        ; implicit-def: $vgpr73
	v_cmp_ge_i32_e64 s10, v71, v19
	s_delay_alu instid0(VALU_DEP_3)
	v_cmp_lt_i32_e64 s12, v72, v20
	s_or_b32 s10, s10, s11
	s_wait_alu 0xfffe
	s_and_b32 s10, s12, s10
	s_wait_alu 0xfffe
	s_xor_b32 s11, s10, -1
	s_wait_alu 0xfffe
	s_and_saveexec_b32 s12, s11
	s_wait_alu 0xfffe
	s_xor_b32 s11, exec_lo, s12
; %bb.47:                               ;   in Loop: Header=BB79_2 Depth=1
	ds_load_u8 v73, v71 offset:1
; %bb.48:                               ;   in Loop: Header=BB79_2 Depth=1
	s_wait_alu 0xfffe
	s_or_saveexec_b32 s11, s11
	v_mov_b32_e32 v74, v70
	s_wait_alu 0xfffe
	s_xor_b32 exec_lo, exec_lo, s11
	s_cbranch_execz .LBB79_50
; %bb.49:                               ;   in Loop: Header=BB79_2 Depth=1
	ds_load_u8 v74, v72 offset:1
	s_wait_dscnt 0x1
	v_mov_b32_e32 v73, v69
.LBB79_50:                              ;   in Loop: Header=BB79_2 Depth=1
	s_or_b32 exec_lo, exec_lo, s11
	v_add_nc_u32_e32 v75, 1, v71
	v_add_nc_u32_e32 v76, 1, v72
	s_wait_dscnt 0x0
	v_bfe_i32 v77, v73, 0, 8
	v_bfe_i32 v78, v74, 0, 8
	v_cndmask_b32_e64 v75, v75, v71, s10
	v_cndmask_b32_e64 v76, v72, v76, s10
	s_delay_alu instid0(VALU_DEP_3) | instskip(NEXT) | instid1(VALU_DEP_3)
	v_cmp_lt_i16_e64 s12, v78, v77
                                        ; implicit-def: $vgpr77
	v_cmp_ge_i32_e64 s11, v75, v19
	s_delay_alu instid0(VALU_DEP_3)
	v_cmp_lt_i32_e64 s13, v76, v20
	s_or_b32 s11, s11, s12
	s_wait_alu 0xfffe
	s_and_b32 s11, s13, s11
	s_wait_alu 0xfffe
	s_xor_b32 s12, s11, -1
	s_wait_alu 0xfffe
	s_and_saveexec_b32 s13, s12
	s_wait_alu 0xfffe
	s_xor_b32 s12, exec_lo, s13
; %bb.51:                               ;   in Loop: Header=BB79_2 Depth=1
	ds_load_u8 v77, v75 offset:1
; %bb.52:                               ;   in Loop: Header=BB79_2 Depth=1
	s_wait_alu 0xfffe
	s_or_saveexec_b32 s12, s12
	v_mov_b32_e32 v78, v74
	s_wait_alu 0xfffe
	s_xor_b32 exec_lo, exec_lo, s12
	s_cbranch_execz .LBB79_54
; %bb.53:                               ;   in Loop: Header=BB79_2 Depth=1
	ds_load_u8 v78, v76 offset:1
	s_wait_dscnt 0x1
	v_mov_b32_e32 v77, v73
.LBB79_54:                              ;   in Loop: Header=BB79_2 Depth=1
	s_or_b32 exec_lo, exec_lo, s12
	v_add_nc_u32_e32 v79, 1, v75
	v_add_nc_u32_e32 v80, 1, v76
	s_wait_dscnt 0x0
	v_bfe_i32 v81, v77, 0, 8
	v_bfe_i32 v82, v78, 0, 8
	v_cndmask_b32_e64 v79, v79, v75, s11
	v_cndmask_b32_e64 v80, v76, v80, s11
	s_delay_alu instid0(VALU_DEP_3) | instskip(NEXT) | instid1(VALU_DEP_3)
	v_cmp_lt_i16_e64 s13, v82, v81
                                        ; implicit-def: $vgpr81
	v_cmp_ge_i32_e64 s12, v79, v19
	s_delay_alu instid0(VALU_DEP_3)
	v_cmp_lt_i32_e64 s14, v80, v20
	s_or_b32 s12, s12, s13
	s_wait_alu 0xfffe
	s_and_b32 s12, s14, s12
	s_wait_alu 0xfffe
	s_xor_b32 s13, s12, -1
	s_wait_alu 0xfffe
	s_and_saveexec_b32 s14, s13
	s_wait_alu 0xfffe
	s_xor_b32 s13, exec_lo, s14
; %bb.55:                               ;   in Loop: Header=BB79_2 Depth=1
	ds_load_u8 v81, v79 offset:1
; %bb.56:                               ;   in Loop: Header=BB79_2 Depth=1
	s_wait_alu 0xfffe
	s_or_saveexec_b32 s13, s13
	v_mov_b32_e32 v82, v78
	s_wait_alu 0xfffe
	s_xor_b32 exec_lo, exec_lo, s13
	s_cbranch_execz .LBB79_58
; %bb.57:                               ;   in Loop: Header=BB79_2 Depth=1
	ds_load_u8 v82, v80 offset:1
	s_wait_dscnt 0x1
	v_mov_b32_e32 v81, v77
.LBB79_58:                              ;   in Loop: Header=BB79_2 Depth=1
	s_or_b32 exec_lo, exec_lo, s13
	v_add_nc_u32_e32 v83, 1, v79
	v_add_nc_u32_e32 v84, 1, v80
	s_wait_dscnt 0x0
	v_bfe_i32 v85, v81, 0, 8
	v_bfe_i32 v86, v82, 0, 8
	v_cndmask_b32_e64 v83, v83, v79, s12
	v_cndmask_b32_e64 v84, v80, v84, s12
	s_delay_alu instid0(VALU_DEP_3) | instskip(NEXT) | instid1(VALU_DEP_3)
	v_cmp_lt_i16_e64 s14, v86, v85
                                        ; implicit-def: $vgpr86
	v_cmp_ge_i32_e64 s13, v83, v19
	s_delay_alu instid0(VALU_DEP_3)
	v_cmp_lt_i32_e64 s15, v84, v20
	s_or_b32 s13, s13, s14
	s_wait_alu 0xfffe
	s_and_b32 s13, s15, s13
	s_wait_alu 0xfffe
	s_xor_b32 s14, s13, -1
	s_wait_alu 0xfffe
	s_and_saveexec_b32 s15, s14
	s_wait_alu 0xfffe
	s_xor_b32 s14, exec_lo, s15
; %bb.59:                               ;   in Loop: Header=BB79_2 Depth=1
	ds_load_u8 v86, v83 offset:1
; %bb.60:                               ;   in Loop: Header=BB79_2 Depth=1
	s_wait_alu 0xfffe
	s_or_saveexec_b32 s14, s14
	v_mov_b32_e32 v88, v82
	s_wait_alu 0xfffe
	s_xor_b32 exec_lo, exec_lo, s14
	s_cbranch_execz .LBB79_62
; %bb.61:                               ;   in Loop: Header=BB79_2 Depth=1
	ds_load_u8 v88, v84 offset:1
	s_wait_dscnt 0x1
	v_mov_b32_e32 v86, v81
.LBB79_62:                              ;   in Loop: Header=BB79_2 Depth=1
	s_or_b32 exec_lo, exec_lo, s14
	v_add_nc_u32_e32 v85, 1, v83
	v_add_nc_u32_e32 v87, 1, v84
	s_wait_dscnt 0x0
	v_bfe_i32 v91, v86, 0, 8
	s_delay_alu instid0(VALU_DEP_3) | instskip(SKIP_2) | instid1(VALU_DEP_3)
	v_cndmask_b32_e64 v89, v85, v83, s13
	v_bfe_i32 v85, v88, 0, 8
	v_cndmask_b32_e64 v90, v84, v87, s13
	v_cmp_ge_i32_e64 s14, v89, v19
	s_delay_alu instid0(VALU_DEP_3) | instskip(NEXT) | instid1(VALU_DEP_3)
	v_cmp_lt_i16_e64 s15, v85, v91
	v_cmp_lt_i32_e64 s16, v90, v20
                                        ; implicit-def: $vgpr85
	s_or_b32 s14, s14, s15
	s_wait_alu 0xfffe
	s_and_b32 s14, s16, s14
	s_wait_alu 0xfffe
	s_xor_b32 s15, s14, -1
	s_wait_alu 0xfffe
	s_and_saveexec_b32 s16, s15
	s_wait_alu 0xfffe
	s_xor_b32 s15, exec_lo, s16
; %bb.63:                               ;   in Loop: Header=BB79_2 Depth=1
	ds_load_u8 v85, v89 offset:1
; %bb.64:                               ;   in Loop: Header=BB79_2 Depth=1
	s_wait_alu 0xfffe
	s_or_saveexec_b32 s15, s15
	v_mov_b32_e32 v87, v88
	s_wait_alu 0xfffe
	s_xor_b32 exec_lo, exec_lo, s15
	s_cbranch_execz .LBB79_66
; %bb.65:                               ;   in Loop: Header=BB79_2 Depth=1
	ds_load_u8 v87, v90 offset:1
	s_wait_dscnt 0x1
	v_mov_b32_e32 v85, v86
.LBB79_66:                              ;   in Loop: Header=BB79_2 Depth=1
	s_or_b32 exec_lo, exec_lo, s15
	v_add_nc_u32_e32 v92, 1, v89
	v_add_nc_u32_e32 v91, 1, v90
	v_cndmask_b32_e64 v86, v86, v88, s14
	v_cndmask_b32_e64 v88, v89, v90, s14
	;; [unrolled: 1-line block ×5, first 2 shown]
	s_wait_dscnt 0x0
	v_bfe_i32 v75, v85, 0, 8
	v_bfe_i32 v76, v87, 0, 8
	v_cndmask_b32_e64 v90, v90, v91, s14
	v_cndmask_b32_e64 v69, v69, v70, s10
	;; [unrolled: 1-line block ×3, first 2 shown]
	v_cmp_ge_i32_e64 s10, v89, v19
	v_cmp_lt_i16_e64 s11, v76, v75
	v_cndmask_b32_e64 v63, v63, v64, s8
	v_cndmask_b32_e64 v61, v61, v62, s8
	v_cmp_lt_i32_e64 s8, v90, v20
	v_perm_b32 v58, v58, v59, 0xc0c0004
	v_perm_b32 v57, v60, v57, 0xc0c0004
	v_perm_b32 v1, v1, v2, 0xc0c0004
	v_perm_b32 v3, v3, v4, 0xc0c0004
	v_cndmask_b32_e64 v65, v65, v66, s9
	v_cndmask_b32_e64 v66, v67, v68, s9
	s_or_b32 s9, s10, s11
	v_cndmask_b32_e64 v81, v81, v82, s13
	s_wait_alu 0xfffe
	s_and_b32 s8, s8, s9
	v_cndmask_b32_e64 v77, v77, v78, s12
	s_wait_alu 0xfffe
	v_cndmask_b32_e64 v4, v85, v87, s8
	v_lshl_or_b32 v2, v57, 16, v58
	v_lshl_or_b32 v1, v3, 16, v1
	s_wait_loadcnt 0x0
	s_barrier_signal -1
	s_barrier_wait -1
	global_inv scope:SCOPE_SE
	ds_store_b64 v5, v[1:2]
	v_lshlrev_b16 v1, 8, v65
	v_and_b32_e32 v2, 0xff, v63
	v_lshlrev_b16 v3, 8, v73
	v_and_b32_e32 v57, 0xff, v69
	v_lshlrev_b16 v58, 8, v81
	v_and_b32_e32 v60, 0xff, v77
	v_and_b32_e32 v62, 0xff, v86
	v_lshlrev_b16 v4, 8, v4
	v_cndmask_b32_e64 v59, v89, v90, s8
	v_cndmask_b32_e64 v82, v83, v84, s13
	;; [unrolled: 1-line block ×3, first 2 shown]
	s_wait_loadcnt_dscnt 0x0
	s_barrier_signal -1
	s_barrier_wait -1
	global_inv scope:SCOPE_SE
	v_or_b32_e32 v63, v2, v1
	v_or_b32_e32 v64, v57, v3
	;; [unrolled: 1-line block ×4, first 2 shown]
	ds_load_u8 v1, v61
	ds_load_u8 v57, v59
	;; [unrolled: 1-line block ×8, first 2 shown]
	v_and_b32_e32 v61, 0xffff, v63
	v_lshlrev_b32_e32 v63, 16, v64
	v_and_b32_e32 v64, 0xffff, v65
	v_lshlrev_b32_e32 v62, 16, v62
	s_wait_loadcnt_dscnt 0x0
	s_barrier_signal -1
	v_or_b32_e32 v61, v61, v63
	s_barrier_wait -1
	v_or_b32_e32 v62, v64, v62
	global_inv scope:SCOPE_SE
	ds_store_b64 v5, v[61:62]
	v_mov_b32_e32 v62, v51
	s_wait_loadcnt_dscnt 0x0
	s_barrier_signal -1
	s_barrier_wait -1
	global_inv scope:SCOPE_SE
	s_and_saveexec_b32 s9, s2
	s_cbranch_execz .LBB79_70
; %bb.67:                               ;   in Loop: Header=BB79_2 Depth=1
	v_dual_mov_b32 v62, v51 :: v_dual_mov_b32 v61, v43
	s_mov_b32 s10, 0
.LBB79_68:                              ;   Parent Loop BB79_2 Depth=1
                                        ; =>  This Inner Loop Header: Depth=2
	s_delay_alu instid0(VALU_DEP_1) | instskip(NEXT) | instid1(VALU_DEP_1)
	v_sub_nc_u32_e32 v63, v61, v62
	v_lshrrev_b32_e32 v63, 1, v63
	s_delay_alu instid0(VALU_DEP_1) | instskip(NEXT) | instid1(VALU_DEP_1)
	v_add_nc_u32_e32 v63, v63, v62
	v_add_nc_u32_e32 v64, v8, v63
	v_xad_u32 v65, v63, -1, v35
	v_add_nc_u32_e32 v66, 1, v63
	ds_load_i8 v64, v64
	ds_load_i8 v65, v65
	s_wait_dscnt 0x0
	v_cmp_lt_i16_e64 s8, v65, v64
	s_wait_alu 0xf1ff
	s_delay_alu instid0(VALU_DEP_1) | instskip(SKIP_1) | instid1(VALU_DEP_1)
	v_cndmask_b32_e64 v61, v61, v63, s8
	v_cndmask_b32_e64 v62, v66, v62, s8
	v_cmp_ge_i32_e64 s8, v62, v61
	s_wait_alu 0xfffe
	s_or_b32 s10, s8, s10
	s_wait_alu 0xfffe
	s_and_not1_b32 exec_lo, exec_lo, s10
	s_cbranch_execnz .LBB79_68
; %bb.69:                               ;   in Loop: Header=BB79_2 Depth=1
	s_or_b32 exec_lo, exec_lo, s10
.LBB79_70:                              ;   in Loop: Header=BB79_2 Depth=1
	s_wait_alu 0xfffe
	s_or_b32 exec_lo, exec_lo, s9
	v_add_nc_u32_e32 v61, v62, v8
	v_sub_nc_u32_e32 v62, v35, v62
                                        ; implicit-def: $vgpr65
	ds_load_u8 v63, v61
	ds_load_u8 v64, v62
	v_cmp_le_i32_e64 s8, v21, v61
	v_cmp_gt_i32_e64 s10, v22, v62
	s_wait_dscnt 0x1
	v_bfe_i32 v63, v63, 0, 8
	s_wait_dscnt 0x0
	v_bfe_i32 v64, v64, 0, 8
	s_delay_alu instid0(VALU_DEP_1)
	v_cmp_lt_i16_e64 s9, v64, v63
	s_or_b32 s8, s8, s9
	s_wait_alu 0xfffe
	s_and_b32 s8, s10, s8
	s_wait_alu 0xfffe
	s_xor_b32 s9, s8, -1
	s_wait_alu 0xfffe
	s_and_saveexec_b32 s10, s9
	s_wait_alu 0xfffe
	s_xor_b32 s9, exec_lo, s10
; %bb.71:                               ;   in Loop: Header=BB79_2 Depth=1
	ds_load_u8 v65, v61 offset:1
; %bb.72:                               ;   in Loop: Header=BB79_2 Depth=1
	s_wait_alu 0xfffe
	s_or_saveexec_b32 s9, s9
	v_mov_b32_e32 v66, v64
	s_wait_alu 0xfffe
	s_xor_b32 exec_lo, exec_lo, s9
	s_cbranch_execz .LBB79_74
; %bb.73:                               ;   in Loop: Header=BB79_2 Depth=1
	ds_load_u8 v66, v62 offset:1
	s_wait_dscnt 0x1
	v_mov_b32_e32 v65, v63
.LBB79_74:                              ;   in Loop: Header=BB79_2 Depth=1
	s_or_b32 exec_lo, exec_lo, s9
	v_add_nc_u32_e32 v67, 1, v61
	v_add_nc_u32_e32 v68, 1, v62
	s_wait_dscnt 0x0
	v_bfe_i32 v69, v65, 0, 8
	v_bfe_i32 v70, v66, 0, 8
	v_cndmask_b32_e64 v67, v67, v61, s8
	v_cndmask_b32_e64 v68, v62, v68, s8
	s_delay_alu instid0(VALU_DEP_3) | instskip(NEXT) | instid1(VALU_DEP_3)
	v_cmp_lt_i16_e64 s10, v70, v69
                                        ; implicit-def: $vgpr69
	v_cmp_ge_i32_e64 s9, v67, v21
	s_delay_alu instid0(VALU_DEP_3)
	v_cmp_lt_i32_e64 s11, v68, v22
	s_or_b32 s9, s9, s10
	s_wait_alu 0xfffe
	s_and_b32 s9, s11, s9
	s_wait_alu 0xfffe
	s_xor_b32 s10, s9, -1
	s_wait_alu 0xfffe
	s_and_saveexec_b32 s11, s10
	s_wait_alu 0xfffe
	s_xor_b32 s10, exec_lo, s11
; %bb.75:                               ;   in Loop: Header=BB79_2 Depth=1
	ds_load_u8 v69, v67 offset:1
; %bb.76:                               ;   in Loop: Header=BB79_2 Depth=1
	s_wait_alu 0xfffe
	s_or_saveexec_b32 s10, s10
	v_mov_b32_e32 v70, v66
	s_wait_alu 0xfffe
	s_xor_b32 exec_lo, exec_lo, s10
	s_cbranch_execz .LBB79_78
; %bb.77:                               ;   in Loop: Header=BB79_2 Depth=1
	ds_load_u8 v70, v68 offset:1
	s_wait_dscnt 0x1
	v_mov_b32_e32 v69, v65
.LBB79_78:                              ;   in Loop: Header=BB79_2 Depth=1
	s_or_b32 exec_lo, exec_lo, s10
	v_add_nc_u32_e32 v71, 1, v67
	v_add_nc_u32_e32 v72, 1, v68
	s_wait_dscnt 0x0
	v_bfe_i32 v73, v69, 0, 8
	v_bfe_i32 v74, v70, 0, 8
	v_cndmask_b32_e64 v71, v71, v67, s9
	v_cndmask_b32_e64 v72, v68, v72, s9
	s_delay_alu instid0(VALU_DEP_3) | instskip(NEXT) | instid1(VALU_DEP_3)
	v_cmp_lt_i16_e64 s11, v74, v73
                                        ; implicit-def: $vgpr73
	v_cmp_ge_i32_e64 s10, v71, v21
	s_delay_alu instid0(VALU_DEP_3)
	v_cmp_lt_i32_e64 s12, v72, v22
	s_or_b32 s10, s10, s11
	s_wait_alu 0xfffe
	s_and_b32 s10, s12, s10
	s_wait_alu 0xfffe
	s_xor_b32 s11, s10, -1
	s_wait_alu 0xfffe
	s_and_saveexec_b32 s12, s11
	s_wait_alu 0xfffe
	s_xor_b32 s11, exec_lo, s12
; %bb.79:                               ;   in Loop: Header=BB79_2 Depth=1
	ds_load_u8 v73, v71 offset:1
; %bb.80:                               ;   in Loop: Header=BB79_2 Depth=1
	s_wait_alu 0xfffe
	s_or_saveexec_b32 s11, s11
	v_mov_b32_e32 v74, v70
	s_wait_alu 0xfffe
	s_xor_b32 exec_lo, exec_lo, s11
	s_cbranch_execz .LBB79_82
; %bb.81:                               ;   in Loop: Header=BB79_2 Depth=1
	ds_load_u8 v74, v72 offset:1
	s_wait_dscnt 0x1
	v_mov_b32_e32 v73, v69
.LBB79_82:                              ;   in Loop: Header=BB79_2 Depth=1
	s_or_b32 exec_lo, exec_lo, s11
	v_add_nc_u32_e32 v75, 1, v71
	v_add_nc_u32_e32 v76, 1, v72
	s_wait_dscnt 0x0
	v_bfe_i32 v77, v73, 0, 8
	v_bfe_i32 v78, v74, 0, 8
	v_cndmask_b32_e64 v75, v75, v71, s10
	v_cndmask_b32_e64 v76, v72, v76, s10
	s_delay_alu instid0(VALU_DEP_3) | instskip(NEXT) | instid1(VALU_DEP_3)
	v_cmp_lt_i16_e64 s12, v78, v77
                                        ; implicit-def: $vgpr77
	v_cmp_ge_i32_e64 s11, v75, v21
	s_delay_alu instid0(VALU_DEP_3)
	v_cmp_lt_i32_e64 s13, v76, v22
	s_or_b32 s11, s11, s12
	s_wait_alu 0xfffe
	s_and_b32 s11, s13, s11
	s_wait_alu 0xfffe
	s_xor_b32 s12, s11, -1
	s_wait_alu 0xfffe
	s_and_saveexec_b32 s13, s12
	s_wait_alu 0xfffe
	s_xor_b32 s12, exec_lo, s13
; %bb.83:                               ;   in Loop: Header=BB79_2 Depth=1
	ds_load_u8 v77, v75 offset:1
; %bb.84:                               ;   in Loop: Header=BB79_2 Depth=1
	s_wait_alu 0xfffe
	s_or_saveexec_b32 s12, s12
	v_mov_b32_e32 v78, v74
	s_wait_alu 0xfffe
	s_xor_b32 exec_lo, exec_lo, s12
	s_cbranch_execz .LBB79_86
; %bb.85:                               ;   in Loop: Header=BB79_2 Depth=1
	ds_load_u8 v78, v76 offset:1
	s_wait_dscnt 0x1
	v_mov_b32_e32 v77, v73
.LBB79_86:                              ;   in Loop: Header=BB79_2 Depth=1
	s_or_b32 exec_lo, exec_lo, s12
	v_add_nc_u32_e32 v79, 1, v75
	v_add_nc_u32_e32 v80, 1, v76
	s_wait_dscnt 0x0
	v_bfe_i32 v81, v77, 0, 8
	v_bfe_i32 v82, v78, 0, 8
	v_cndmask_b32_e64 v79, v79, v75, s11
	v_cndmask_b32_e64 v80, v76, v80, s11
	s_delay_alu instid0(VALU_DEP_3) | instskip(NEXT) | instid1(VALU_DEP_3)
	v_cmp_lt_i16_e64 s13, v82, v81
                                        ; implicit-def: $vgpr81
	v_cmp_ge_i32_e64 s12, v79, v21
	s_delay_alu instid0(VALU_DEP_3)
	v_cmp_lt_i32_e64 s14, v80, v22
	s_or_b32 s12, s12, s13
	s_wait_alu 0xfffe
	s_and_b32 s12, s14, s12
	s_wait_alu 0xfffe
	s_xor_b32 s13, s12, -1
	s_wait_alu 0xfffe
	s_and_saveexec_b32 s14, s13
	s_wait_alu 0xfffe
	s_xor_b32 s13, exec_lo, s14
; %bb.87:                               ;   in Loop: Header=BB79_2 Depth=1
	ds_load_u8 v81, v79 offset:1
; %bb.88:                               ;   in Loop: Header=BB79_2 Depth=1
	s_wait_alu 0xfffe
	s_or_saveexec_b32 s13, s13
	v_mov_b32_e32 v82, v78
	s_wait_alu 0xfffe
	s_xor_b32 exec_lo, exec_lo, s13
	s_cbranch_execz .LBB79_90
; %bb.89:                               ;   in Loop: Header=BB79_2 Depth=1
	ds_load_u8 v82, v80 offset:1
	s_wait_dscnt 0x1
	v_mov_b32_e32 v81, v77
.LBB79_90:                              ;   in Loop: Header=BB79_2 Depth=1
	s_or_b32 exec_lo, exec_lo, s13
	v_add_nc_u32_e32 v83, 1, v79
	v_add_nc_u32_e32 v84, 1, v80
	s_wait_dscnt 0x0
	v_bfe_i32 v85, v81, 0, 8
	v_bfe_i32 v86, v82, 0, 8
	v_cndmask_b32_e64 v83, v83, v79, s12
	v_cndmask_b32_e64 v84, v80, v84, s12
	s_delay_alu instid0(VALU_DEP_3) | instskip(NEXT) | instid1(VALU_DEP_3)
	v_cmp_lt_i16_e64 s14, v86, v85
                                        ; implicit-def: $vgpr86
	v_cmp_ge_i32_e64 s13, v83, v21
	s_delay_alu instid0(VALU_DEP_3)
	v_cmp_lt_i32_e64 s15, v84, v22
	s_or_b32 s13, s13, s14
	s_wait_alu 0xfffe
	s_and_b32 s13, s15, s13
	s_wait_alu 0xfffe
	s_xor_b32 s14, s13, -1
	s_wait_alu 0xfffe
	s_and_saveexec_b32 s15, s14
	s_wait_alu 0xfffe
	s_xor_b32 s14, exec_lo, s15
; %bb.91:                               ;   in Loop: Header=BB79_2 Depth=1
	ds_load_u8 v86, v83 offset:1
; %bb.92:                               ;   in Loop: Header=BB79_2 Depth=1
	s_wait_alu 0xfffe
	s_or_saveexec_b32 s14, s14
	v_mov_b32_e32 v88, v82
	s_wait_alu 0xfffe
	s_xor_b32 exec_lo, exec_lo, s14
	s_cbranch_execz .LBB79_94
; %bb.93:                               ;   in Loop: Header=BB79_2 Depth=1
	ds_load_u8 v88, v84 offset:1
	s_wait_dscnt 0x1
	v_mov_b32_e32 v86, v81
.LBB79_94:                              ;   in Loop: Header=BB79_2 Depth=1
	s_or_b32 exec_lo, exec_lo, s14
	v_add_nc_u32_e32 v85, 1, v83
	v_add_nc_u32_e32 v87, 1, v84
	s_wait_dscnt 0x0
	v_bfe_i32 v91, v86, 0, 8
	s_delay_alu instid0(VALU_DEP_3) | instskip(SKIP_2) | instid1(VALU_DEP_3)
	v_cndmask_b32_e64 v89, v85, v83, s13
	v_bfe_i32 v85, v88, 0, 8
	v_cndmask_b32_e64 v90, v84, v87, s13
	v_cmp_ge_i32_e64 s14, v89, v21
	s_delay_alu instid0(VALU_DEP_3) | instskip(NEXT) | instid1(VALU_DEP_3)
	v_cmp_lt_i16_e64 s15, v85, v91
	v_cmp_lt_i32_e64 s16, v90, v22
                                        ; implicit-def: $vgpr85
	s_or_b32 s14, s14, s15
	s_wait_alu 0xfffe
	s_and_b32 s14, s16, s14
	s_wait_alu 0xfffe
	s_xor_b32 s15, s14, -1
	s_wait_alu 0xfffe
	s_and_saveexec_b32 s16, s15
	s_wait_alu 0xfffe
	s_xor_b32 s15, exec_lo, s16
; %bb.95:                               ;   in Loop: Header=BB79_2 Depth=1
	ds_load_u8 v85, v89 offset:1
; %bb.96:                               ;   in Loop: Header=BB79_2 Depth=1
	s_wait_alu 0xfffe
	s_or_saveexec_b32 s15, s15
	v_mov_b32_e32 v87, v88
	s_wait_alu 0xfffe
	s_xor_b32 exec_lo, exec_lo, s15
	s_cbranch_execz .LBB79_98
; %bb.97:                               ;   in Loop: Header=BB79_2 Depth=1
	ds_load_u8 v87, v90 offset:1
	s_wait_dscnt 0x1
	v_mov_b32_e32 v85, v86
.LBB79_98:                              ;   in Loop: Header=BB79_2 Depth=1
	s_or_b32 exec_lo, exec_lo, s15
	v_add_nc_u32_e32 v92, 1, v89
	v_add_nc_u32_e32 v91, 1, v90
	v_cndmask_b32_e64 v86, v86, v88, s14
	v_cndmask_b32_e64 v88, v89, v90, s14
	;; [unrolled: 1-line block ×5, first 2 shown]
	s_wait_dscnt 0x0
	v_bfe_i32 v75, v85, 0, 8
	v_bfe_i32 v76, v87, 0, 8
	v_cndmask_b32_e64 v90, v90, v91, s14
	v_cndmask_b32_e64 v69, v69, v70, s10
	;; [unrolled: 1-line block ×3, first 2 shown]
	v_cmp_ge_i32_e64 s10, v89, v21
	v_cmp_lt_i16_e64 s11, v76, v75
	v_cndmask_b32_e64 v63, v63, v64, s8
	v_cndmask_b32_e64 v61, v61, v62, s8
	v_cmp_lt_i32_e64 s8, v90, v22
	v_perm_b32 v58, v58, v59, 0xc0c0004
	v_perm_b32 v57, v60, v57, 0xc0c0004
	;; [unrolled: 1-line block ×4, first 2 shown]
	v_cndmask_b32_e64 v65, v65, v66, s9
	v_cndmask_b32_e64 v66, v67, v68, s9
	s_or_b32 s9, s10, s11
	v_cndmask_b32_e64 v81, v81, v82, s13
	s_wait_alu 0xfffe
	s_and_b32 s8, s8, s9
	v_cndmask_b32_e64 v77, v77, v78, s12
	s_wait_alu 0xfffe
	v_cndmask_b32_e64 v4, v85, v87, s8
	v_lshl_or_b32 v2, v57, 16, v58
	v_lshl_or_b32 v1, v3, 16, v1
	s_wait_loadcnt 0x0
	s_barrier_signal -1
	s_barrier_wait -1
	global_inv scope:SCOPE_SE
	ds_store_b64 v5, v[1:2]
	v_lshlrev_b16 v1, 8, v65
	v_and_b32_e32 v2, 0xff, v63
	v_lshlrev_b16 v3, 8, v73
	v_and_b32_e32 v57, 0xff, v69
	;; [unrolled: 2-line block ×3, first 2 shown]
	v_and_b32_e32 v62, 0xff, v86
	v_lshlrev_b16 v4, 8, v4
	v_cndmask_b32_e64 v59, v89, v90, s8
	v_cndmask_b32_e64 v82, v83, v84, s13
	;; [unrolled: 1-line block ×3, first 2 shown]
	s_wait_loadcnt_dscnt 0x0
	s_barrier_signal -1
	s_barrier_wait -1
	global_inv scope:SCOPE_SE
	v_or_b32_e32 v63, v2, v1
	v_or_b32_e32 v64, v57, v3
	;; [unrolled: 1-line block ×4, first 2 shown]
	ds_load_u8 v1, v61
	ds_load_u8 v57, v59
	;; [unrolled: 1-line block ×8, first 2 shown]
	v_and_b32_e32 v61, 0xffff, v63
	v_lshlrev_b32_e32 v63, 16, v64
	v_and_b32_e32 v64, 0xffff, v65
	v_lshlrev_b32_e32 v62, 16, v62
	s_wait_loadcnt_dscnt 0x0
	s_barrier_signal -1
	v_or_b32_e32 v61, v61, v63
	s_barrier_wait -1
	v_or_b32_e32 v62, v64, v62
	global_inv scope:SCOPE_SE
	ds_store_b64 v5, v[61:62]
	v_mov_b32_e32 v62, v52
	s_wait_loadcnt_dscnt 0x0
	s_barrier_signal -1
	s_barrier_wait -1
	global_inv scope:SCOPE_SE
	s_and_saveexec_b32 s9, s3
	s_cbranch_execz .LBB79_102
; %bb.99:                               ;   in Loop: Header=BB79_2 Depth=1
	v_dual_mov_b32 v62, v52 :: v_dual_mov_b32 v61, v44
	s_mov_b32 s10, 0
.LBB79_100:                             ;   Parent Loop BB79_2 Depth=1
                                        ; =>  This Inner Loop Header: Depth=2
	s_delay_alu instid0(VALU_DEP_1) | instskip(NEXT) | instid1(VALU_DEP_1)
	v_sub_nc_u32_e32 v63, v61, v62
	v_lshrrev_b32_e32 v63, 1, v63
	s_delay_alu instid0(VALU_DEP_1) | instskip(NEXT) | instid1(VALU_DEP_1)
	v_add_nc_u32_e32 v63, v63, v62
	v_add_nc_u32_e32 v64, v9, v63
	v_xad_u32 v65, v63, -1, v36
	v_add_nc_u32_e32 v66, 1, v63
	ds_load_i8 v64, v64
	ds_load_i8 v65, v65
	s_wait_dscnt 0x0
	v_cmp_lt_i16_e64 s8, v65, v64
	s_wait_alu 0xf1ff
	s_delay_alu instid0(VALU_DEP_1) | instskip(SKIP_1) | instid1(VALU_DEP_1)
	v_cndmask_b32_e64 v61, v61, v63, s8
	v_cndmask_b32_e64 v62, v66, v62, s8
	v_cmp_ge_i32_e64 s8, v62, v61
	s_wait_alu 0xfffe
	s_or_b32 s10, s8, s10
	s_wait_alu 0xfffe
	s_and_not1_b32 exec_lo, exec_lo, s10
	s_cbranch_execnz .LBB79_100
; %bb.101:                              ;   in Loop: Header=BB79_2 Depth=1
	s_or_b32 exec_lo, exec_lo, s10
.LBB79_102:                             ;   in Loop: Header=BB79_2 Depth=1
	s_wait_alu 0xfffe
	s_or_b32 exec_lo, exec_lo, s9
	v_add_nc_u32_e32 v61, v62, v9
	v_sub_nc_u32_e32 v62, v36, v62
                                        ; implicit-def: $vgpr65
	ds_load_u8 v63, v61
	ds_load_u8 v64, v62
	v_cmp_le_i32_e64 s8, v23, v61
	v_cmp_gt_i32_e64 s10, v24, v62
	s_wait_dscnt 0x1
	v_bfe_i32 v63, v63, 0, 8
	s_wait_dscnt 0x0
	v_bfe_i32 v64, v64, 0, 8
	s_delay_alu instid0(VALU_DEP_1)
	v_cmp_lt_i16_e64 s9, v64, v63
	s_or_b32 s8, s8, s9
	s_wait_alu 0xfffe
	s_and_b32 s8, s10, s8
	s_wait_alu 0xfffe
	s_xor_b32 s9, s8, -1
	s_wait_alu 0xfffe
	s_and_saveexec_b32 s10, s9
	s_wait_alu 0xfffe
	s_xor_b32 s9, exec_lo, s10
; %bb.103:                              ;   in Loop: Header=BB79_2 Depth=1
	ds_load_u8 v65, v61 offset:1
; %bb.104:                              ;   in Loop: Header=BB79_2 Depth=1
	s_wait_alu 0xfffe
	s_or_saveexec_b32 s9, s9
	v_mov_b32_e32 v66, v64
	s_wait_alu 0xfffe
	s_xor_b32 exec_lo, exec_lo, s9
	s_cbranch_execz .LBB79_106
; %bb.105:                              ;   in Loop: Header=BB79_2 Depth=1
	ds_load_u8 v66, v62 offset:1
	s_wait_dscnt 0x1
	v_mov_b32_e32 v65, v63
.LBB79_106:                             ;   in Loop: Header=BB79_2 Depth=1
	s_or_b32 exec_lo, exec_lo, s9
	v_add_nc_u32_e32 v67, 1, v61
	v_add_nc_u32_e32 v68, 1, v62
	s_wait_dscnt 0x0
	v_bfe_i32 v69, v65, 0, 8
	v_bfe_i32 v70, v66, 0, 8
	v_cndmask_b32_e64 v67, v67, v61, s8
	v_cndmask_b32_e64 v68, v62, v68, s8
	s_delay_alu instid0(VALU_DEP_3) | instskip(NEXT) | instid1(VALU_DEP_3)
	v_cmp_lt_i16_e64 s10, v70, v69
                                        ; implicit-def: $vgpr69
	v_cmp_ge_i32_e64 s9, v67, v23
	s_delay_alu instid0(VALU_DEP_3)
	v_cmp_lt_i32_e64 s11, v68, v24
	s_or_b32 s9, s9, s10
	s_wait_alu 0xfffe
	s_and_b32 s9, s11, s9
	s_wait_alu 0xfffe
	s_xor_b32 s10, s9, -1
	s_wait_alu 0xfffe
	s_and_saveexec_b32 s11, s10
	s_wait_alu 0xfffe
	s_xor_b32 s10, exec_lo, s11
; %bb.107:                              ;   in Loop: Header=BB79_2 Depth=1
	ds_load_u8 v69, v67 offset:1
; %bb.108:                              ;   in Loop: Header=BB79_2 Depth=1
	s_wait_alu 0xfffe
	s_or_saveexec_b32 s10, s10
	v_mov_b32_e32 v70, v66
	s_wait_alu 0xfffe
	s_xor_b32 exec_lo, exec_lo, s10
	s_cbranch_execz .LBB79_110
; %bb.109:                              ;   in Loop: Header=BB79_2 Depth=1
	ds_load_u8 v70, v68 offset:1
	s_wait_dscnt 0x1
	v_mov_b32_e32 v69, v65
.LBB79_110:                             ;   in Loop: Header=BB79_2 Depth=1
	s_or_b32 exec_lo, exec_lo, s10
	v_add_nc_u32_e32 v71, 1, v67
	v_add_nc_u32_e32 v72, 1, v68
	s_wait_dscnt 0x0
	v_bfe_i32 v73, v69, 0, 8
	v_bfe_i32 v74, v70, 0, 8
	v_cndmask_b32_e64 v71, v71, v67, s9
	v_cndmask_b32_e64 v72, v68, v72, s9
	s_delay_alu instid0(VALU_DEP_3) | instskip(NEXT) | instid1(VALU_DEP_3)
	v_cmp_lt_i16_e64 s11, v74, v73
                                        ; implicit-def: $vgpr73
	v_cmp_ge_i32_e64 s10, v71, v23
	s_delay_alu instid0(VALU_DEP_3)
	v_cmp_lt_i32_e64 s12, v72, v24
	s_or_b32 s10, s10, s11
	s_wait_alu 0xfffe
	s_and_b32 s10, s12, s10
	s_wait_alu 0xfffe
	s_xor_b32 s11, s10, -1
	s_wait_alu 0xfffe
	s_and_saveexec_b32 s12, s11
	s_wait_alu 0xfffe
	s_xor_b32 s11, exec_lo, s12
; %bb.111:                              ;   in Loop: Header=BB79_2 Depth=1
	ds_load_u8 v73, v71 offset:1
; %bb.112:                              ;   in Loop: Header=BB79_2 Depth=1
	s_wait_alu 0xfffe
	s_or_saveexec_b32 s11, s11
	v_mov_b32_e32 v74, v70
	s_wait_alu 0xfffe
	s_xor_b32 exec_lo, exec_lo, s11
	s_cbranch_execz .LBB79_114
; %bb.113:                              ;   in Loop: Header=BB79_2 Depth=1
	ds_load_u8 v74, v72 offset:1
	s_wait_dscnt 0x1
	v_mov_b32_e32 v73, v69
.LBB79_114:                             ;   in Loop: Header=BB79_2 Depth=1
	s_or_b32 exec_lo, exec_lo, s11
	v_add_nc_u32_e32 v75, 1, v71
	v_add_nc_u32_e32 v76, 1, v72
	s_wait_dscnt 0x0
	v_bfe_i32 v77, v73, 0, 8
	v_bfe_i32 v78, v74, 0, 8
	v_cndmask_b32_e64 v75, v75, v71, s10
	v_cndmask_b32_e64 v76, v72, v76, s10
	s_delay_alu instid0(VALU_DEP_3) | instskip(NEXT) | instid1(VALU_DEP_3)
	v_cmp_lt_i16_e64 s12, v78, v77
                                        ; implicit-def: $vgpr77
	v_cmp_ge_i32_e64 s11, v75, v23
	s_delay_alu instid0(VALU_DEP_3)
	v_cmp_lt_i32_e64 s13, v76, v24
	s_or_b32 s11, s11, s12
	s_wait_alu 0xfffe
	s_and_b32 s11, s13, s11
	s_wait_alu 0xfffe
	s_xor_b32 s12, s11, -1
	s_wait_alu 0xfffe
	s_and_saveexec_b32 s13, s12
	s_wait_alu 0xfffe
	s_xor_b32 s12, exec_lo, s13
; %bb.115:                              ;   in Loop: Header=BB79_2 Depth=1
	ds_load_u8 v77, v75 offset:1
; %bb.116:                              ;   in Loop: Header=BB79_2 Depth=1
	s_wait_alu 0xfffe
	s_or_saveexec_b32 s12, s12
	v_mov_b32_e32 v78, v74
	s_wait_alu 0xfffe
	s_xor_b32 exec_lo, exec_lo, s12
	s_cbranch_execz .LBB79_118
; %bb.117:                              ;   in Loop: Header=BB79_2 Depth=1
	ds_load_u8 v78, v76 offset:1
	s_wait_dscnt 0x1
	v_mov_b32_e32 v77, v73
.LBB79_118:                             ;   in Loop: Header=BB79_2 Depth=1
	s_or_b32 exec_lo, exec_lo, s12
	v_add_nc_u32_e32 v79, 1, v75
	v_add_nc_u32_e32 v80, 1, v76
	s_wait_dscnt 0x0
	v_bfe_i32 v81, v77, 0, 8
	v_bfe_i32 v82, v78, 0, 8
	v_cndmask_b32_e64 v79, v79, v75, s11
	v_cndmask_b32_e64 v80, v76, v80, s11
	s_delay_alu instid0(VALU_DEP_3) | instskip(NEXT) | instid1(VALU_DEP_3)
	v_cmp_lt_i16_e64 s13, v82, v81
                                        ; implicit-def: $vgpr81
	v_cmp_ge_i32_e64 s12, v79, v23
	s_delay_alu instid0(VALU_DEP_3)
	v_cmp_lt_i32_e64 s14, v80, v24
	s_or_b32 s12, s12, s13
	s_wait_alu 0xfffe
	s_and_b32 s12, s14, s12
	s_wait_alu 0xfffe
	s_xor_b32 s13, s12, -1
	s_wait_alu 0xfffe
	s_and_saveexec_b32 s14, s13
	s_wait_alu 0xfffe
	s_xor_b32 s13, exec_lo, s14
; %bb.119:                              ;   in Loop: Header=BB79_2 Depth=1
	ds_load_u8 v81, v79 offset:1
; %bb.120:                              ;   in Loop: Header=BB79_2 Depth=1
	s_wait_alu 0xfffe
	s_or_saveexec_b32 s13, s13
	v_mov_b32_e32 v82, v78
	s_wait_alu 0xfffe
	s_xor_b32 exec_lo, exec_lo, s13
	s_cbranch_execz .LBB79_122
; %bb.121:                              ;   in Loop: Header=BB79_2 Depth=1
	ds_load_u8 v82, v80 offset:1
	s_wait_dscnt 0x1
	v_mov_b32_e32 v81, v77
.LBB79_122:                             ;   in Loop: Header=BB79_2 Depth=1
	s_or_b32 exec_lo, exec_lo, s13
	v_add_nc_u32_e32 v83, 1, v79
	v_add_nc_u32_e32 v84, 1, v80
	s_wait_dscnt 0x0
	v_bfe_i32 v85, v81, 0, 8
	v_bfe_i32 v86, v82, 0, 8
	v_cndmask_b32_e64 v83, v83, v79, s12
	v_cndmask_b32_e64 v84, v80, v84, s12
	s_delay_alu instid0(VALU_DEP_3) | instskip(NEXT) | instid1(VALU_DEP_3)
	v_cmp_lt_i16_e64 s14, v86, v85
                                        ; implicit-def: $vgpr86
	v_cmp_ge_i32_e64 s13, v83, v23
	s_delay_alu instid0(VALU_DEP_3)
	v_cmp_lt_i32_e64 s15, v84, v24
	s_or_b32 s13, s13, s14
	s_wait_alu 0xfffe
	s_and_b32 s13, s15, s13
	s_wait_alu 0xfffe
	s_xor_b32 s14, s13, -1
	s_wait_alu 0xfffe
	s_and_saveexec_b32 s15, s14
	s_wait_alu 0xfffe
	s_xor_b32 s14, exec_lo, s15
; %bb.123:                              ;   in Loop: Header=BB79_2 Depth=1
	ds_load_u8 v86, v83 offset:1
; %bb.124:                              ;   in Loop: Header=BB79_2 Depth=1
	s_wait_alu 0xfffe
	s_or_saveexec_b32 s14, s14
	v_mov_b32_e32 v88, v82
	s_wait_alu 0xfffe
	s_xor_b32 exec_lo, exec_lo, s14
	s_cbranch_execz .LBB79_126
; %bb.125:                              ;   in Loop: Header=BB79_2 Depth=1
	ds_load_u8 v88, v84 offset:1
	s_wait_dscnt 0x1
	v_mov_b32_e32 v86, v81
.LBB79_126:                             ;   in Loop: Header=BB79_2 Depth=1
	s_or_b32 exec_lo, exec_lo, s14
	v_add_nc_u32_e32 v85, 1, v83
	v_add_nc_u32_e32 v87, 1, v84
	s_wait_dscnt 0x0
	v_bfe_i32 v91, v86, 0, 8
	s_delay_alu instid0(VALU_DEP_3) | instskip(SKIP_2) | instid1(VALU_DEP_3)
	v_cndmask_b32_e64 v89, v85, v83, s13
	v_bfe_i32 v85, v88, 0, 8
	v_cndmask_b32_e64 v90, v84, v87, s13
	v_cmp_ge_i32_e64 s14, v89, v23
	s_delay_alu instid0(VALU_DEP_3) | instskip(NEXT) | instid1(VALU_DEP_3)
	v_cmp_lt_i16_e64 s15, v85, v91
	v_cmp_lt_i32_e64 s16, v90, v24
                                        ; implicit-def: $vgpr85
	s_or_b32 s14, s14, s15
	s_wait_alu 0xfffe
	s_and_b32 s14, s16, s14
	s_wait_alu 0xfffe
	s_xor_b32 s15, s14, -1
	s_wait_alu 0xfffe
	s_and_saveexec_b32 s16, s15
	s_wait_alu 0xfffe
	s_xor_b32 s15, exec_lo, s16
; %bb.127:                              ;   in Loop: Header=BB79_2 Depth=1
	ds_load_u8 v85, v89 offset:1
; %bb.128:                              ;   in Loop: Header=BB79_2 Depth=1
	s_wait_alu 0xfffe
	s_or_saveexec_b32 s15, s15
	v_mov_b32_e32 v87, v88
	s_wait_alu 0xfffe
	s_xor_b32 exec_lo, exec_lo, s15
	s_cbranch_execz .LBB79_130
; %bb.129:                              ;   in Loop: Header=BB79_2 Depth=1
	ds_load_u8 v87, v90 offset:1
	s_wait_dscnt 0x1
	v_mov_b32_e32 v85, v86
.LBB79_130:                             ;   in Loop: Header=BB79_2 Depth=1
	s_or_b32 exec_lo, exec_lo, s15
	v_add_nc_u32_e32 v92, 1, v89
	v_add_nc_u32_e32 v91, 1, v90
	v_cndmask_b32_e64 v86, v86, v88, s14
	v_cndmask_b32_e64 v88, v89, v90, s14
	;; [unrolled: 1-line block ×5, first 2 shown]
	s_wait_dscnt 0x0
	v_bfe_i32 v75, v85, 0, 8
	v_bfe_i32 v76, v87, 0, 8
	v_cndmask_b32_e64 v90, v90, v91, s14
	v_cndmask_b32_e64 v69, v69, v70, s10
	;; [unrolled: 1-line block ×3, first 2 shown]
	v_cmp_ge_i32_e64 s10, v89, v23
	v_cmp_lt_i16_e64 s11, v76, v75
	v_cndmask_b32_e64 v63, v63, v64, s8
	v_cndmask_b32_e64 v61, v61, v62, s8
	v_cmp_lt_i32_e64 s8, v90, v24
	v_perm_b32 v58, v58, v59, 0xc0c0004
	v_perm_b32 v57, v60, v57, 0xc0c0004
	;; [unrolled: 1-line block ×4, first 2 shown]
	v_cndmask_b32_e64 v65, v65, v66, s9
	v_cndmask_b32_e64 v66, v67, v68, s9
	s_or_b32 s9, s10, s11
	v_cndmask_b32_e64 v81, v81, v82, s13
	s_wait_alu 0xfffe
	s_and_b32 s8, s8, s9
	v_cndmask_b32_e64 v77, v77, v78, s12
	s_wait_alu 0xfffe
	v_cndmask_b32_e64 v4, v85, v87, s8
	v_lshl_or_b32 v2, v57, 16, v58
	v_lshl_or_b32 v1, v3, 16, v1
	s_wait_loadcnt 0x0
	s_barrier_signal -1
	s_barrier_wait -1
	global_inv scope:SCOPE_SE
	ds_store_b64 v5, v[1:2]
	v_lshlrev_b16 v1, 8, v65
	v_and_b32_e32 v2, 0xff, v63
	v_lshlrev_b16 v3, 8, v73
	v_and_b32_e32 v57, 0xff, v69
	v_lshlrev_b16 v58, 8, v81
	v_and_b32_e32 v60, 0xff, v77
	v_and_b32_e32 v62, 0xff, v86
	v_lshlrev_b16 v4, 8, v4
	v_cndmask_b32_e64 v59, v89, v90, s8
	v_cndmask_b32_e64 v82, v83, v84, s13
	;; [unrolled: 1-line block ×3, first 2 shown]
	s_wait_loadcnt_dscnt 0x0
	s_barrier_signal -1
	s_barrier_wait -1
	global_inv scope:SCOPE_SE
	v_or_b32_e32 v63, v2, v1
	v_or_b32_e32 v64, v57, v3
	;; [unrolled: 1-line block ×4, first 2 shown]
	ds_load_u8 v1, v61
	ds_load_u8 v57, v59
	ds_load_u8 v2, v66
	ds_load_u8 v3, v70
	ds_load_u8 v4, v74
	ds_load_u8 v58, v78
	ds_load_u8 v59, v82
	ds_load_u8 v60, v88
	v_and_b32_e32 v61, 0xffff, v63
	v_lshlrev_b32_e32 v63, 16, v64
	v_and_b32_e32 v64, 0xffff, v65
	v_lshlrev_b32_e32 v62, 16, v62
	s_wait_loadcnt_dscnt 0x0
	s_barrier_signal -1
	v_or_b32_e32 v61, v61, v63
	s_barrier_wait -1
	v_or_b32_e32 v62, v64, v62
	global_inv scope:SCOPE_SE
	ds_store_b64 v5, v[61:62]
	v_mov_b32_e32 v62, v53
	s_wait_loadcnt_dscnt 0x0
	s_barrier_signal -1
	s_barrier_wait -1
	global_inv scope:SCOPE_SE
	s_and_saveexec_b32 s9, s4
	s_cbranch_execz .LBB79_134
; %bb.131:                              ;   in Loop: Header=BB79_2 Depth=1
	v_dual_mov_b32 v62, v53 :: v_dual_mov_b32 v61, v45
	s_mov_b32 s10, 0
.LBB79_132:                             ;   Parent Loop BB79_2 Depth=1
                                        ; =>  This Inner Loop Header: Depth=2
	s_delay_alu instid0(VALU_DEP_1) | instskip(NEXT) | instid1(VALU_DEP_1)
	v_sub_nc_u32_e32 v63, v61, v62
	v_lshrrev_b32_e32 v63, 1, v63
	s_delay_alu instid0(VALU_DEP_1) | instskip(NEXT) | instid1(VALU_DEP_1)
	v_add_nc_u32_e32 v63, v63, v62
	v_add_nc_u32_e32 v64, v10, v63
	v_xad_u32 v65, v63, -1, v37
	v_add_nc_u32_e32 v66, 1, v63
	ds_load_i8 v64, v64
	ds_load_i8 v65, v65
	s_wait_dscnt 0x0
	v_cmp_lt_i16_e64 s8, v65, v64
	s_wait_alu 0xf1ff
	s_delay_alu instid0(VALU_DEP_1) | instskip(SKIP_1) | instid1(VALU_DEP_1)
	v_cndmask_b32_e64 v61, v61, v63, s8
	v_cndmask_b32_e64 v62, v66, v62, s8
	v_cmp_ge_i32_e64 s8, v62, v61
	s_wait_alu 0xfffe
	s_or_b32 s10, s8, s10
	s_wait_alu 0xfffe
	s_and_not1_b32 exec_lo, exec_lo, s10
	s_cbranch_execnz .LBB79_132
; %bb.133:                              ;   in Loop: Header=BB79_2 Depth=1
	s_or_b32 exec_lo, exec_lo, s10
.LBB79_134:                             ;   in Loop: Header=BB79_2 Depth=1
	s_wait_alu 0xfffe
	s_or_b32 exec_lo, exec_lo, s9
	v_add_nc_u32_e32 v61, v62, v10
	v_sub_nc_u32_e32 v62, v37, v62
                                        ; implicit-def: $vgpr65
	ds_load_u8 v63, v61
	ds_load_u8 v64, v62
	v_cmp_le_i32_e64 s8, v25, v61
	v_cmp_gt_i32_e64 s10, v26, v62
	s_wait_dscnt 0x1
	v_bfe_i32 v63, v63, 0, 8
	s_wait_dscnt 0x0
	v_bfe_i32 v64, v64, 0, 8
	s_delay_alu instid0(VALU_DEP_1)
	v_cmp_lt_i16_e64 s9, v64, v63
	s_or_b32 s8, s8, s9
	s_wait_alu 0xfffe
	s_and_b32 s8, s10, s8
	s_wait_alu 0xfffe
	s_xor_b32 s9, s8, -1
	s_wait_alu 0xfffe
	s_and_saveexec_b32 s10, s9
	s_wait_alu 0xfffe
	s_xor_b32 s9, exec_lo, s10
; %bb.135:                              ;   in Loop: Header=BB79_2 Depth=1
	ds_load_u8 v65, v61 offset:1
; %bb.136:                              ;   in Loop: Header=BB79_2 Depth=1
	s_wait_alu 0xfffe
	s_or_saveexec_b32 s9, s9
	v_mov_b32_e32 v66, v64
	s_wait_alu 0xfffe
	s_xor_b32 exec_lo, exec_lo, s9
	s_cbranch_execz .LBB79_138
; %bb.137:                              ;   in Loop: Header=BB79_2 Depth=1
	ds_load_u8 v66, v62 offset:1
	s_wait_dscnt 0x1
	v_mov_b32_e32 v65, v63
.LBB79_138:                             ;   in Loop: Header=BB79_2 Depth=1
	s_or_b32 exec_lo, exec_lo, s9
	v_add_nc_u32_e32 v67, 1, v61
	v_add_nc_u32_e32 v68, 1, v62
	s_wait_dscnt 0x0
	v_bfe_i32 v69, v65, 0, 8
	v_bfe_i32 v70, v66, 0, 8
	v_cndmask_b32_e64 v67, v67, v61, s8
	v_cndmask_b32_e64 v68, v62, v68, s8
	s_delay_alu instid0(VALU_DEP_3) | instskip(NEXT) | instid1(VALU_DEP_3)
	v_cmp_lt_i16_e64 s10, v70, v69
                                        ; implicit-def: $vgpr69
	v_cmp_ge_i32_e64 s9, v67, v25
	s_delay_alu instid0(VALU_DEP_3)
	v_cmp_lt_i32_e64 s11, v68, v26
	s_or_b32 s9, s9, s10
	s_wait_alu 0xfffe
	s_and_b32 s9, s11, s9
	s_wait_alu 0xfffe
	s_xor_b32 s10, s9, -1
	s_wait_alu 0xfffe
	s_and_saveexec_b32 s11, s10
	s_wait_alu 0xfffe
	s_xor_b32 s10, exec_lo, s11
; %bb.139:                              ;   in Loop: Header=BB79_2 Depth=1
	ds_load_u8 v69, v67 offset:1
; %bb.140:                              ;   in Loop: Header=BB79_2 Depth=1
	s_wait_alu 0xfffe
	s_or_saveexec_b32 s10, s10
	v_mov_b32_e32 v70, v66
	s_wait_alu 0xfffe
	s_xor_b32 exec_lo, exec_lo, s10
	s_cbranch_execz .LBB79_142
; %bb.141:                              ;   in Loop: Header=BB79_2 Depth=1
	ds_load_u8 v70, v68 offset:1
	s_wait_dscnt 0x1
	v_mov_b32_e32 v69, v65
.LBB79_142:                             ;   in Loop: Header=BB79_2 Depth=1
	s_or_b32 exec_lo, exec_lo, s10
	v_add_nc_u32_e32 v71, 1, v67
	v_add_nc_u32_e32 v72, 1, v68
	s_wait_dscnt 0x0
	v_bfe_i32 v73, v69, 0, 8
	v_bfe_i32 v74, v70, 0, 8
	v_cndmask_b32_e64 v71, v71, v67, s9
	v_cndmask_b32_e64 v72, v68, v72, s9
	s_delay_alu instid0(VALU_DEP_3) | instskip(NEXT) | instid1(VALU_DEP_3)
	v_cmp_lt_i16_e64 s11, v74, v73
                                        ; implicit-def: $vgpr73
	v_cmp_ge_i32_e64 s10, v71, v25
	s_delay_alu instid0(VALU_DEP_3)
	v_cmp_lt_i32_e64 s12, v72, v26
	s_or_b32 s10, s10, s11
	s_wait_alu 0xfffe
	s_and_b32 s10, s12, s10
	s_wait_alu 0xfffe
	s_xor_b32 s11, s10, -1
	s_wait_alu 0xfffe
	s_and_saveexec_b32 s12, s11
	s_wait_alu 0xfffe
	s_xor_b32 s11, exec_lo, s12
; %bb.143:                              ;   in Loop: Header=BB79_2 Depth=1
	ds_load_u8 v73, v71 offset:1
; %bb.144:                              ;   in Loop: Header=BB79_2 Depth=1
	s_wait_alu 0xfffe
	s_or_saveexec_b32 s11, s11
	v_mov_b32_e32 v74, v70
	s_wait_alu 0xfffe
	s_xor_b32 exec_lo, exec_lo, s11
	s_cbranch_execz .LBB79_146
; %bb.145:                              ;   in Loop: Header=BB79_2 Depth=1
	ds_load_u8 v74, v72 offset:1
	s_wait_dscnt 0x1
	v_mov_b32_e32 v73, v69
.LBB79_146:                             ;   in Loop: Header=BB79_2 Depth=1
	s_or_b32 exec_lo, exec_lo, s11
	v_add_nc_u32_e32 v75, 1, v71
	v_add_nc_u32_e32 v76, 1, v72
	s_wait_dscnt 0x0
	v_bfe_i32 v77, v73, 0, 8
	v_bfe_i32 v78, v74, 0, 8
	v_cndmask_b32_e64 v75, v75, v71, s10
	v_cndmask_b32_e64 v76, v72, v76, s10
	s_delay_alu instid0(VALU_DEP_3) | instskip(NEXT) | instid1(VALU_DEP_3)
	v_cmp_lt_i16_e64 s12, v78, v77
                                        ; implicit-def: $vgpr77
	v_cmp_ge_i32_e64 s11, v75, v25
	s_delay_alu instid0(VALU_DEP_3)
	v_cmp_lt_i32_e64 s13, v76, v26
	s_or_b32 s11, s11, s12
	s_wait_alu 0xfffe
	s_and_b32 s11, s13, s11
	s_wait_alu 0xfffe
	s_xor_b32 s12, s11, -1
	s_wait_alu 0xfffe
	s_and_saveexec_b32 s13, s12
	s_wait_alu 0xfffe
	s_xor_b32 s12, exec_lo, s13
; %bb.147:                              ;   in Loop: Header=BB79_2 Depth=1
	ds_load_u8 v77, v75 offset:1
; %bb.148:                              ;   in Loop: Header=BB79_2 Depth=1
	s_wait_alu 0xfffe
	s_or_saveexec_b32 s12, s12
	v_mov_b32_e32 v78, v74
	s_wait_alu 0xfffe
	s_xor_b32 exec_lo, exec_lo, s12
	s_cbranch_execz .LBB79_150
; %bb.149:                              ;   in Loop: Header=BB79_2 Depth=1
	ds_load_u8 v78, v76 offset:1
	s_wait_dscnt 0x1
	v_mov_b32_e32 v77, v73
.LBB79_150:                             ;   in Loop: Header=BB79_2 Depth=1
	s_or_b32 exec_lo, exec_lo, s12
	v_add_nc_u32_e32 v79, 1, v75
	v_add_nc_u32_e32 v80, 1, v76
	s_wait_dscnt 0x0
	v_bfe_i32 v81, v77, 0, 8
	v_bfe_i32 v82, v78, 0, 8
	v_cndmask_b32_e64 v79, v79, v75, s11
	v_cndmask_b32_e64 v80, v76, v80, s11
	s_delay_alu instid0(VALU_DEP_3) | instskip(NEXT) | instid1(VALU_DEP_3)
	v_cmp_lt_i16_e64 s13, v82, v81
                                        ; implicit-def: $vgpr81
	v_cmp_ge_i32_e64 s12, v79, v25
	s_delay_alu instid0(VALU_DEP_3)
	v_cmp_lt_i32_e64 s14, v80, v26
	s_or_b32 s12, s12, s13
	s_wait_alu 0xfffe
	s_and_b32 s12, s14, s12
	s_wait_alu 0xfffe
	s_xor_b32 s13, s12, -1
	s_wait_alu 0xfffe
	s_and_saveexec_b32 s14, s13
	s_wait_alu 0xfffe
	s_xor_b32 s13, exec_lo, s14
; %bb.151:                              ;   in Loop: Header=BB79_2 Depth=1
	ds_load_u8 v81, v79 offset:1
; %bb.152:                              ;   in Loop: Header=BB79_2 Depth=1
	s_wait_alu 0xfffe
	s_or_saveexec_b32 s13, s13
	v_mov_b32_e32 v82, v78
	s_wait_alu 0xfffe
	s_xor_b32 exec_lo, exec_lo, s13
	s_cbranch_execz .LBB79_154
; %bb.153:                              ;   in Loop: Header=BB79_2 Depth=1
	ds_load_u8 v82, v80 offset:1
	s_wait_dscnt 0x1
	v_mov_b32_e32 v81, v77
.LBB79_154:                             ;   in Loop: Header=BB79_2 Depth=1
	s_or_b32 exec_lo, exec_lo, s13
	v_add_nc_u32_e32 v83, 1, v79
	v_add_nc_u32_e32 v84, 1, v80
	s_wait_dscnt 0x0
	v_bfe_i32 v85, v81, 0, 8
	v_bfe_i32 v86, v82, 0, 8
	v_cndmask_b32_e64 v83, v83, v79, s12
	v_cndmask_b32_e64 v84, v80, v84, s12
	s_delay_alu instid0(VALU_DEP_3) | instskip(NEXT) | instid1(VALU_DEP_3)
	v_cmp_lt_i16_e64 s14, v86, v85
                                        ; implicit-def: $vgpr86
	v_cmp_ge_i32_e64 s13, v83, v25
	s_delay_alu instid0(VALU_DEP_3)
	v_cmp_lt_i32_e64 s15, v84, v26
	s_or_b32 s13, s13, s14
	s_wait_alu 0xfffe
	s_and_b32 s13, s15, s13
	s_wait_alu 0xfffe
	s_xor_b32 s14, s13, -1
	s_wait_alu 0xfffe
	s_and_saveexec_b32 s15, s14
	s_wait_alu 0xfffe
	s_xor_b32 s14, exec_lo, s15
; %bb.155:                              ;   in Loop: Header=BB79_2 Depth=1
	ds_load_u8 v86, v83 offset:1
; %bb.156:                              ;   in Loop: Header=BB79_2 Depth=1
	s_wait_alu 0xfffe
	s_or_saveexec_b32 s14, s14
	v_mov_b32_e32 v88, v82
	s_wait_alu 0xfffe
	s_xor_b32 exec_lo, exec_lo, s14
	s_cbranch_execz .LBB79_158
; %bb.157:                              ;   in Loop: Header=BB79_2 Depth=1
	ds_load_u8 v88, v84 offset:1
	s_wait_dscnt 0x1
	v_mov_b32_e32 v86, v81
.LBB79_158:                             ;   in Loop: Header=BB79_2 Depth=1
	s_or_b32 exec_lo, exec_lo, s14
	v_add_nc_u32_e32 v85, 1, v83
	v_add_nc_u32_e32 v87, 1, v84
	s_wait_dscnt 0x0
	v_bfe_i32 v91, v86, 0, 8
	s_delay_alu instid0(VALU_DEP_3) | instskip(SKIP_2) | instid1(VALU_DEP_3)
	v_cndmask_b32_e64 v89, v85, v83, s13
	v_bfe_i32 v85, v88, 0, 8
	v_cndmask_b32_e64 v90, v84, v87, s13
	v_cmp_ge_i32_e64 s14, v89, v25
	s_delay_alu instid0(VALU_DEP_3) | instskip(NEXT) | instid1(VALU_DEP_3)
	v_cmp_lt_i16_e64 s15, v85, v91
	v_cmp_lt_i32_e64 s16, v90, v26
                                        ; implicit-def: $vgpr85
	s_or_b32 s14, s14, s15
	s_wait_alu 0xfffe
	s_and_b32 s14, s16, s14
	s_wait_alu 0xfffe
	s_xor_b32 s15, s14, -1
	s_wait_alu 0xfffe
	s_and_saveexec_b32 s16, s15
	s_wait_alu 0xfffe
	s_xor_b32 s15, exec_lo, s16
; %bb.159:                              ;   in Loop: Header=BB79_2 Depth=1
	ds_load_u8 v85, v89 offset:1
; %bb.160:                              ;   in Loop: Header=BB79_2 Depth=1
	s_wait_alu 0xfffe
	s_or_saveexec_b32 s15, s15
	v_mov_b32_e32 v87, v88
	s_wait_alu 0xfffe
	s_xor_b32 exec_lo, exec_lo, s15
	s_cbranch_execz .LBB79_162
; %bb.161:                              ;   in Loop: Header=BB79_2 Depth=1
	ds_load_u8 v87, v90 offset:1
	s_wait_dscnt 0x1
	v_mov_b32_e32 v85, v86
.LBB79_162:                             ;   in Loop: Header=BB79_2 Depth=1
	s_or_b32 exec_lo, exec_lo, s15
	v_add_nc_u32_e32 v92, 1, v89
	v_add_nc_u32_e32 v91, 1, v90
	v_cndmask_b32_e64 v86, v86, v88, s14
	v_cndmask_b32_e64 v88, v89, v90, s14
	;; [unrolled: 1-line block ×5, first 2 shown]
	s_wait_dscnt 0x0
	v_bfe_i32 v75, v85, 0, 8
	v_bfe_i32 v76, v87, 0, 8
	v_cndmask_b32_e64 v90, v90, v91, s14
	v_cndmask_b32_e64 v69, v69, v70, s10
	;; [unrolled: 1-line block ×3, first 2 shown]
	v_cmp_ge_i32_e64 s10, v89, v25
	v_cmp_lt_i16_e64 s11, v76, v75
	v_cndmask_b32_e64 v63, v63, v64, s8
	v_cndmask_b32_e64 v61, v61, v62, s8
	v_cmp_lt_i32_e64 s8, v90, v26
	v_perm_b32 v58, v58, v59, 0xc0c0004
	v_perm_b32 v57, v60, v57, 0xc0c0004
	;; [unrolled: 1-line block ×4, first 2 shown]
	v_cndmask_b32_e64 v65, v65, v66, s9
	v_cndmask_b32_e64 v66, v67, v68, s9
	s_or_b32 s9, s10, s11
	v_cndmask_b32_e64 v81, v81, v82, s13
	s_wait_alu 0xfffe
	s_and_b32 s8, s8, s9
	v_cndmask_b32_e64 v77, v77, v78, s12
	s_wait_alu 0xfffe
	v_cndmask_b32_e64 v4, v85, v87, s8
	v_lshl_or_b32 v2, v57, 16, v58
	v_lshl_or_b32 v1, v3, 16, v1
	s_wait_loadcnt 0x0
	s_barrier_signal -1
	s_barrier_wait -1
	global_inv scope:SCOPE_SE
	ds_store_b64 v5, v[1:2]
	v_lshlrev_b16 v1, 8, v65
	v_and_b32_e32 v2, 0xff, v63
	v_lshlrev_b16 v3, 8, v73
	v_and_b32_e32 v57, 0xff, v69
	;; [unrolled: 2-line block ×3, first 2 shown]
	v_and_b32_e32 v62, 0xff, v86
	v_lshlrev_b16 v4, 8, v4
	v_cndmask_b32_e64 v59, v89, v90, s8
	v_cndmask_b32_e64 v82, v83, v84, s13
	;; [unrolled: 1-line block ×3, first 2 shown]
	s_wait_loadcnt_dscnt 0x0
	s_barrier_signal -1
	s_barrier_wait -1
	global_inv scope:SCOPE_SE
	v_or_b32_e32 v63, v2, v1
	v_or_b32_e32 v64, v57, v3
	;; [unrolled: 1-line block ×4, first 2 shown]
	ds_load_u8 v1, v61
	ds_load_u8 v57, v59
	;; [unrolled: 1-line block ×8, first 2 shown]
	v_and_b32_e32 v61, 0xffff, v63
	v_lshlrev_b32_e32 v63, 16, v64
	v_and_b32_e32 v64, 0xffff, v65
	v_lshlrev_b32_e32 v62, 16, v62
	s_wait_loadcnt_dscnt 0x0
	s_barrier_signal -1
	v_or_b32_e32 v61, v61, v63
	s_barrier_wait -1
	v_or_b32_e32 v62, v64, v62
	global_inv scope:SCOPE_SE
	ds_store_b64 v5, v[61:62]
	v_mov_b32_e32 v62, v54
	s_wait_loadcnt_dscnt 0x0
	s_barrier_signal -1
	s_barrier_wait -1
	global_inv scope:SCOPE_SE
	s_and_saveexec_b32 s9, s5
	s_cbranch_execz .LBB79_166
; %bb.163:                              ;   in Loop: Header=BB79_2 Depth=1
	v_dual_mov_b32 v62, v54 :: v_dual_mov_b32 v61, v46
	s_mov_b32 s10, 0
.LBB79_164:                             ;   Parent Loop BB79_2 Depth=1
                                        ; =>  This Inner Loop Header: Depth=2
	s_delay_alu instid0(VALU_DEP_1) | instskip(NEXT) | instid1(VALU_DEP_1)
	v_sub_nc_u32_e32 v63, v61, v62
	v_lshrrev_b32_e32 v63, 1, v63
	s_delay_alu instid0(VALU_DEP_1) | instskip(NEXT) | instid1(VALU_DEP_1)
	v_add_nc_u32_e32 v63, v63, v62
	v_add_nc_u32_e32 v64, v11, v63
	v_xad_u32 v65, v63, -1, v38
	v_add_nc_u32_e32 v66, 1, v63
	ds_load_i8 v64, v64
	ds_load_i8 v65, v65
	s_wait_dscnt 0x0
	v_cmp_lt_i16_e64 s8, v65, v64
	s_wait_alu 0xf1ff
	s_delay_alu instid0(VALU_DEP_1) | instskip(SKIP_1) | instid1(VALU_DEP_1)
	v_cndmask_b32_e64 v61, v61, v63, s8
	v_cndmask_b32_e64 v62, v66, v62, s8
	v_cmp_ge_i32_e64 s8, v62, v61
	s_wait_alu 0xfffe
	s_or_b32 s10, s8, s10
	s_wait_alu 0xfffe
	s_and_not1_b32 exec_lo, exec_lo, s10
	s_cbranch_execnz .LBB79_164
; %bb.165:                              ;   in Loop: Header=BB79_2 Depth=1
	s_or_b32 exec_lo, exec_lo, s10
.LBB79_166:                             ;   in Loop: Header=BB79_2 Depth=1
	s_wait_alu 0xfffe
	s_or_b32 exec_lo, exec_lo, s9
	v_add_nc_u32_e32 v61, v62, v11
	v_sub_nc_u32_e32 v62, v38, v62
                                        ; implicit-def: $vgpr65
	ds_load_u8 v63, v61
	ds_load_u8 v64, v62
	v_cmp_le_i32_e64 s8, v27, v61
	v_cmp_gt_i32_e64 s10, v28, v62
	s_wait_dscnt 0x1
	v_bfe_i32 v63, v63, 0, 8
	s_wait_dscnt 0x0
	v_bfe_i32 v64, v64, 0, 8
	s_delay_alu instid0(VALU_DEP_1)
	v_cmp_lt_i16_e64 s9, v64, v63
	s_or_b32 s8, s8, s9
	s_wait_alu 0xfffe
	s_and_b32 s8, s10, s8
	s_wait_alu 0xfffe
	s_xor_b32 s9, s8, -1
	s_wait_alu 0xfffe
	s_and_saveexec_b32 s10, s9
	s_wait_alu 0xfffe
	s_xor_b32 s9, exec_lo, s10
; %bb.167:                              ;   in Loop: Header=BB79_2 Depth=1
	ds_load_u8 v65, v61 offset:1
; %bb.168:                              ;   in Loop: Header=BB79_2 Depth=1
	s_wait_alu 0xfffe
	s_or_saveexec_b32 s9, s9
	v_mov_b32_e32 v66, v64
	s_wait_alu 0xfffe
	s_xor_b32 exec_lo, exec_lo, s9
	s_cbranch_execz .LBB79_170
; %bb.169:                              ;   in Loop: Header=BB79_2 Depth=1
	ds_load_u8 v66, v62 offset:1
	s_wait_dscnt 0x1
	v_mov_b32_e32 v65, v63
.LBB79_170:                             ;   in Loop: Header=BB79_2 Depth=1
	s_or_b32 exec_lo, exec_lo, s9
	v_add_nc_u32_e32 v67, 1, v61
	v_add_nc_u32_e32 v68, 1, v62
	s_wait_dscnt 0x0
	v_bfe_i32 v69, v65, 0, 8
	v_bfe_i32 v70, v66, 0, 8
	v_cndmask_b32_e64 v67, v67, v61, s8
	v_cndmask_b32_e64 v68, v62, v68, s8
	s_delay_alu instid0(VALU_DEP_3) | instskip(NEXT) | instid1(VALU_DEP_3)
	v_cmp_lt_i16_e64 s10, v70, v69
                                        ; implicit-def: $vgpr69
	v_cmp_ge_i32_e64 s9, v67, v27
	s_delay_alu instid0(VALU_DEP_3)
	v_cmp_lt_i32_e64 s11, v68, v28
	s_or_b32 s9, s9, s10
	s_wait_alu 0xfffe
	s_and_b32 s9, s11, s9
	s_wait_alu 0xfffe
	s_xor_b32 s10, s9, -1
	s_wait_alu 0xfffe
	s_and_saveexec_b32 s11, s10
	s_wait_alu 0xfffe
	s_xor_b32 s10, exec_lo, s11
; %bb.171:                              ;   in Loop: Header=BB79_2 Depth=1
	ds_load_u8 v69, v67 offset:1
; %bb.172:                              ;   in Loop: Header=BB79_2 Depth=1
	s_wait_alu 0xfffe
	s_or_saveexec_b32 s10, s10
	v_mov_b32_e32 v70, v66
	s_wait_alu 0xfffe
	s_xor_b32 exec_lo, exec_lo, s10
	s_cbranch_execz .LBB79_174
; %bb.173:                              ;   in Loop: Header=BB79_2 Depth=1
	ds_load_u8 v70, v68 offset:1
	s_wait_dscnt 0x1
	v_mov_b32_e32 v69, v65
.LBB79_174:                             ;   in Loop: Header=BB79_2 Depth=1
	s_or_b32 exec_lo, exec_lo, s10
	v_add_nc_u32_e32 v71, 1, v67
	v_add_nc_u32_e32 v72, 1, v68
	s_wait_dscnt 0x0
	v_bfe_i32 v73, v69, 0, 8
	v_bfe_i32 v74, v70, 0, 8
	v_cndmask_b32_e64 v71, v71, v67, s9
	v_cndmask_b32_e64 v72, v68, v72, s9
	s_delay_alu instid0(VALU_DEP_3) | instskip(NEXT) | instid1(VALU_DEP_3)
	v_cmp_lt_i16_e64 s11, v74, v73
                                        ; implicit-def: $vgpr73
	v_cmp_ge_i32_e64 s10, v71, v27
	s_delay_alu instid0(VALU_DEP_3)
	v_cmp_lt_i32_e64 s12, v72, v28
	s_or_b32 s10, s10, s11
	s_wait_alu 0xfffe
	s_and_b32 s10, s12, s10
	s_wait_alu 0xfffe
	s_xor_b32 s11, s10, -1
	s_wait_alu 0xfffe
	s_and_saveexec_b32 s12, s11
	s_wait_alu 0xfffe
	s_xor_b32 s11, exec_lo, s12
; %bb.175:                              ;   in Loop: Header=BB79_2 Depth=1
	ds_load_u8 v73, v71 offset:1
; %bb.176:                              ;   in Loop: Header=BB79_2 Depth=1
	s_wait_alu 0xfffe
	s_or_saveexec_b32 s11, s11
	v_mov_b32_e32 v74, v70
	s_wait_alu 0xfffe
	s_xor_b32 exec_lo, exec_lo, s11
	s_cbranch_execz .LBB79_178
; %bb.177:                              ;   in Loop: Header=BB79_2 Depth=1
	ds_load_u8 v74, v72 offset:1
	s_wait_dscnt 0x1
	v_mov_b32_e32 v73, v69
.LBB79_178:                             ;   in Loop: Header=BB79_2 Depth=1
	s_or_b32 exec_lo, exec_lo, s11
	v_add_nc_u32_e32 v75, 1, v71
	v_add_nc_u32_e32 v76, 1, v72
	s_wait_dscnt 0x0
	v_bfe_i32 v77, v73, 0, 8
	v_bfe_i32 v78, v74, 0, 8
	v_cndmask_b32_e64 v75, v75, v71, s10
	v_cndmask_b32_e64 v76, v72, v76, s10
	s_delay_alu instid0(VALU_DEP_3) | instskip(NEXT) | instid1(VALU_DEP_3)
	v_cmp_lt_i16_e64 s12, v78, v77
                                        ; implicit-def: $vgpr77
	v_cmp_ge_i32_e64 s11, v75, v27
	s_delay_alu instid0(VALU_DEP_3)
	v_cmp_lt_i32_e64 s13, v76, v28
	s_or_b32 s11, s11, s12
	s_wait_alu 0xfffe
	s_and_b32 s11, s13, s11
	s_wait_alu 0xfffe
	s_xor_b32 s12, s11, -1
	s_wait_alu 0xfffe
	s_and_saveexec_b32 s13, s12
	s_wait_alu 0xfffe
	s_xor_b32 s12, exec_lo, s13
; %bb.179:                              ;   in Loop: Header=BB79_2 Depth=1
	ds_load_u8 v77, v75 offset:1
; %bb.180:                              ;   in Loop: Header=BB79_2 Depth=1
	s_wait_alu 0xfffe
	s_or_saveexec_b32 s12, s12
	v_mov_b32_e32 v78, v74
	s_wait_alu 0xfffe
	s_xor_b32 exec_lo, exec_lo, s12
	s_cbranch_execz .LBB79_182
; %bb.181:                              ;   in Loop: Header=BB79_2 Depth=1
	ds_load_u8 v78, v76 offset:1
	s_wait_dscnt 0x1
	v_mov_b32_e32 v77, v73
.LBB79_182:                             ;   in Loop: Header=BB79_2 Depth=1
	s_or_b32 exec_lo, exec_lo, s12
	v_add_nc_u32_e32 v79, 1, v75
	v_add_nc_u32_e32 v80, 1, v76
	s_wait_dscnt 0x0
	v_bfe_i32 v81, v77, 0, 8
	v_bfe_i32 v82, v78, 0, 8
	v_cndmask_b32_e64 v79, v79, v75, s11
	v_cndmask_b32_e64 v80, v76, v80, s11
	s_delay_alu instid0(VALU_DEP_3) | instskip(NEXT) | instid1(VALU_DEP_3)
	v_cmp_lt_i16_e64 s13, v82, v81
                                        ; implicit-def: $vgpr81
	v_cmp_ge_i32_e64 s12, v79, v27
	s_delay_alu instid0(VALU_DEP_3)
	v_cmp_lt_i32_e64 s14, v80, v28
	s_or_b32 s12, s12, s13
	s_wait_alu 0xfffe
	s_and_b32 s12, s14, s12
	s_wait_alu 0xfffe
	s_xor_b32 s13, s12, -1
	s_wait_alu 0xfffe
	s_and_saveexec_b32 s14, s13
	s_wait_alu 0xfffe
	s_xor_b32 s13, exec_lo, s14
; %bb.183:                              ;   in Loop: Header=BB79_2 Depth=1
	ds_load_u8 v81, v79 offset:1
; %bb.184:                              ;   in Loop: Header=BB79_2 Depth=1
	s_wait_alu 0xfffe
	s_or_saveexec_b32 s13, s13
	v_mov_b32_e32 v82, v78
	s_wait_alu 0xfffe
	s_xor_b32 exec_lo, exec_lo, s13
	s_cbranch_execz .LBB79_186
; %bb.185:                              ;   in Loop: Header=BB79_2 Depth=1
	ds_load_u8 v82, v80 offset:1
	s_wait_dscnt 0x1
	v_mov_b32_e32 v81, v77
.LBB79_186:                             ;   in Loop: Header=BB79_2 Depth=1
	s_or_b32 exec_lo, exec_lo, s13
	v_add_nc_u32_e32 v83, 1, v79
	v_add_nc_u32_e32 v84, 1, v80
	s_wait_dscnt 0x0
	v_bfe_i32 v85, v81, 0, 8
	v_bfe_i32 v86, v82, 0, 8
	v_cndmask_b32_e64 v83, v83, v79, s12
	v_cndmask_b32_e64 v84, v80, v84, s12
	s_delay_alu instid0(VALU_DEP_3) | instskip(NEXT) | instid1(VALU_DEP_3)
	v_cmp_lt_i16_e64 s14, v86, v85
                                        ; implicit-def: $vgpr86
	v_cmp_ge_i32_e64 s13, v83, v27
	s_delay_alu instid0(VALU_DEP_3)
	v_cmp_lt_i32_e64 s15, v84, v28
	s_or_b32 s13, s13, s14
	s_wait_alu 0xfffe
	s_and_b32 s13, s15, s13
	s_wait_alu 0xfffe
	s_xor_b32 s14, s13, -1
	s_wait_alu 0xfffe
	s_and_saveexec_b32 s15, s14
	s_wait_alu 0xfffe
	s_xor_b32 s14, exec_lo, s15
; %bb.187:                              ;   in Loop: Header=BB79_2 Depth=1
	ds_load_u8 v86, v83 offset:1
; %bb.188:                              ;   in Loop: Header=BB79_2 Depth=1
	s_wait_alu 0xfffe
	s_or_saveexec_b32 s14, s14
	v_mov_b32_e32 v88, v82
	s_wait_alu 0xfffe
	s_xor_b32 exec_lo, exec_lo, s14
	s_cbranch_execz .LBB79_190
; %bb.189:                              ;   in Loop: Header=BB79_2 Depth=1
	ds_load_u8 v88, v84 offset:1
	s_wait_dscnt 0x1
	v_mov_b32_e32 v86, v81
.LBB79_190:                             ;   in Loop: Header=BB79_2 Depth=1
	s_or_b32 exec_lo, exec_lo, s14
	v_add_nc_u32_e32 v85, 1, v83
	v_add_nc_u32_e32 v87, 1, v84
	s_wait_dscnt 0x0
	v_bfe_i32 v91, v86, 0, 8
	s_delay_alu instid0(VALU_DEP_3) | instskip(SKIP_2) | instid1(VALU_DEP_3)
	v_cndmask_b32_e64 v89, v85, v83, s13
	v_bfe_i32 v85, v88, 0, 8
	v_cndmask_b32_e64 v90, v84, v87, s13
	v_cmp_ge_i32_e64 s14, v89, v27
	s_delay_alu instid0(VALU_DEP_3) | instskip(NEXT) | instid1(VALU_DEP_3)
	v_cmp_lt_i16_e64 s15, v85, v91
	v_cmp_lt_i32_e64 s16, v90, v28
                                        ; implicit-def: $vgpr85
	s_or_b32 s14, s14, s15
	s_wait_alu 0xfffe
	s_and_b32 s14, s16, s14
	s_wait_alu 0xfffe
	s_xor_b32 s15, s14, -1
	s_wait_alu 0xfffe
	s_and_saveexec_b32 s16, s15
	s_wait_alu 0xfffe
	s_xor_b32 s15, exec_lo, s16
; %bb.191:                              ;   in Loop: Header=BB79_2 Depth=1
	ds_load_u8 v85, v89 offset:1
; %bb.192:                              ;   in Loop: Header=BB79_2 Depth=1
	s_wait_alu 0xfffe
	s_or_saveexec_b32 s15, s15
	v_mov_b32_e32 v87, v88
	s_wait_alu 0xfffe
	s_xor_b32 exec_lo, exec_lo, s15
	s_cbranch_execz .LBB79_194
; %bb.193:                              ;   in Loop: Header=BB79_2 Depth=1
	ds_load_u8 v87, v90 offset:1
	s_wait_dscnt 0x1
	v_mov_b32_e32 v85, v86
.LBB79_194:                             ;   in Loop: Header=BB79_2 Depth=1
	s_or_b32 exec_lo, exec_lo, s15
	v_add_nc_u32_e32 v92, 1, v89
	v_add_nc_u32_e32 v91, 1, v90
	v_cndmask_b32_e64 v86, v86, v88, s14
	v_cndmask_b32_e64 v88, v89, v90, s14
	;; [unrolled: 1-line block ×5, first 2 shown]
	s_wait_dscnt 0x0
	v_bfe_i32 v75, v85, 0, 8
	v_bfe_i32 v76, v87, 0, 8
	v_cndmask_b32_e64 v90, v90, v91, s14
	v_cndmask_b32_e64 v69, v69, v70, s10
	;; [unrolled: 1-line block ×3, first 2 shown]
	v_cmp_ge_i32_e64 s10, v89, v27
	v_cmp_lt_i16_e64 s11, v76, v75
	v_cndmask_b32_e64 v63, v63, v64, s8
	v_cndmask_b32_e64 v61, v61, v62, s8
	v_cmp_lt_i32_e64 s8, v90, v28
	v_perm_b32 v58, v58, v59, 0xc0c0004
	v_perm_b32 v57, v60, v57, 0xc0c0004
	;; [unrolled: 1-line block ×4, first 2 shown]
	v_cndmask_b32_e64 v65, v65, v66, s9
	v_cndmask_b32_e64 v66, v67, v68, s9
	s_or_b32 s9, s10, s11
	v_cndmask_b32_e64 v81, v81, v82, s13
	s_wait_alu 0xfffe
	s_and_b32 s8, s8, s9
	v_cndmask_b32_e64 v77, v77, v78, s12
	s_wait_alu 0xfffe
	v_cndmask_b32_e64 v4, v85, v87, s8
	v_lshl_or_b32 v2, v57, 16, v58
	v_lshl_or_b32 v1, v3, 16, v1
	s_wait_loadcnt 0x0
	s_barrier_signal -1
	s_barrier_wait -1
	global_inv scope:SCOPE_SE
	ds_store_b64 v5, v[1:2]
	v_lshlrev_b16 v1, 8, v65
	v_and_b32_e32 v2, 0xff, v63
	v_lshlrev_b16 v3, 8, v73
	v_and_b32_e32 v57, 0xff, v69
	v_lshlrev_b16 v58, 8, v81
	v_and_b32_e32 v60, 0xff, v77
	v_and_b32_e32 v62, 0xff, v86
	v_lshlrev_b16 v4, 8, v4
	v_cndmask_b32_e64 v59, v89, v90, s8
	v_cndmask_b32_e64 v82, v83, v84, s13
	;; [unrolled: 1-line block ×3, first 2 shown]
	s_wait_loadcnt_dscnt 0x0
	s_barrier_signal -1
	s_barrier_wait -1
	global_inv scope:SCOPE_SE
	v_or_b32_e32 v63, v2, v1
	v_or_b32_e32 v64, v57, v3
	;; [unrolled: 1-line block ×4, first 2 shown]
	ds_load_u8 v1, v61
	ds_load_u8 v57, v59
	;; [unrolled: 1-line block ×8, first 2 shown]
	v_and_b32_e32 v61, 0xffff, v63
	v_lshlrev_b32_e32 v63, 16, v64
	v_and_b32_e32 v64, 0xffff, v65
	v_lshlrev_b32_e32 v62, 16, v62
	s_wait_loadcnt_dscnt 0x0
	s_barrier_signal -1
	v_or_b32_e32 v61, v61, v63
	s_barrier_wait -1
	v_or_b32_e32 v62, v64, v62
	global_inv scope:SCOPE_SE
	ds_store_b64 v5, v[61:62]
	v_mov_b32_e32 v62, v55
	s_wait_loadcnt_dscnt 0x0
	s_barrier_signal -1
	s_barrier_wait -1
	global_inv scope:SCOPE_SE
	s_and_saveexec_b32 s9, s6
	s_cbranch_execz .LBB79_198
; %bb.195:                              ;   in Loop: Header=BB79_2 Depth=1
	v_dual_mov_b32 v62, v55 :: v_dual_mov_b32 v61, v47
	s_mov_b32 s10, 0
.LBB79_196:                             ;   Parent Loop BB79_2 Depth=1
                                        ; =>  This Inner Loop Header: Depth=2
	s_delay_alu instid0(VALU_DEP_1) | instskip(NEXT) | instid1(VALU_DEP_1)
	v_sub_nc_u32_e32 v63, v61, v62
	v_lshrrev_b32_e32 v63, 1, v63
	s_delay_alu instid0(VALU_DEP_1) | instskip(NEXT) | instid1(VALU_DEP_1)
	v_add_nc_u32_e32 v63, v63, v62
	v_add_nc_u32_e32 v64, v12, v63
	v_xad_u32 v65, v63, -1, v39
	v_add_nc_u32_e32 v66, 1, v63
	ds_load_i8 v64, v64
	ds_load_i8 v65, v65
	s_wait_dscnt 0x0
	v_cmp_lt_i16_e64 s8, v65, v64
	s_wait_alu 0xf1ff
	s_delay_alu instid0(VALU_DEP_1) | instskip(SKIP_1) | instid1(VALU_DEP_1)
	v_cndmask_b32_e64 v61, v61, v63, s8
	v_cndmask_b32_e64 v62, v66, v62, s8
	v_cmp_ge_i32_e64 s8, v62, v61
	s_wait_alu 0xfffe
	s_or_b32 s10, s8, s10
	s_wait_alu 0xfffe
	s_and_not1_b32 exec_lo, exec_lo, s10
	s_cbranch_execnz .LBB79_196
; %bb.197:                              ;   in Loop: Header=BB79_2 Depth=1
	s_or_b32 exec_lo, exec_lo, s10
.LBB79_198:                             ;   in Loop: Header=BB79_2 Depth=1
	s_wait_alu 0xfffe
	s_or_b32 exec_lo, exec_lo, s9
	v_add_nc_u32_e32 v61, v62, v12
	v_sub_nc_u32_e32 v62, v39, v62
                                        ; implicit-def: $vgpr65
	ds_load_u8 v63, v61
	ds_load_u8 v64, v62
	v_cmp_le_i32_e64 s8, v29, v61
	v_cmp_gt_i32_e64 s10, v30, v62
	s_wait_dscnt 0x1
	v_bfe_i32 v63, v63, 0, 8
	s_wait_dscnt 0x0
	v_bfe_i32 v64, v64, 0, 8
	s_delay_alu instid0(VALU_DEP_1)
	v_cmp_lt_i16_e64 s9, v64, v63
	s_or_b32 s8, s8, s9
	s_wait_alu 0xfffe
	s_and_b32 s8, s10, s8
	s_wait_alu 0xfffe
	s_xor_b32 s9, s8, -1
	s_wait_alu 0xfffe
	s_and_saveexec_b32 s10, s9
	s_wait_alu 0xfffe
	s_xor_b32 s9, exec_lo, s10
; %bb.199:                              ;   in Loop: Header=BB79_2 Depth=1
	ds_load_u8 v65, v61 offset:1
; %bb.200:                              ;   in Loop: Header=BB79_2 Depth=1
	s_wait_alu 0xfffe
	s_or_saveexec_b32 s9, s9
	v_mov_b32_e32 v66, v64
	s_wait_alu 0xfffe
	s_xor_b32 exec_lo, exec_lo, s9
	s_cbranch_execz .LBB79_202
; %bb.201:                              ;   in Loop: Header=BB79_2 Depth=1
	ds_load_u8 v66, v62 offset:1
	s_wait_dscnt 0x1
	v_mov_b32_e32 v65, v63
.LBB79_202:                             ;   in Loop: Header=BB79_2 Depth=1
	s_or_b32 exec_lo, exec_lo, s9
	v_add_nc_u32_e32 v67, 1, v61
	v_add_nc_u32_e32 v68, 1, v62
	s_wait_dscnt 0x0
	v_bfe_i32 v69, v65, 0, 8
	v_bfe_i32 v70, v66, 0, 8
	v_cndmask_b32_e64 v67, v67, v61, s8
	v_cndmask_b32_e64 v68, v62, v68, s8
	s_delay_alu instid0(VALU_DEP_3) | instskip(NEXT) | instid1(VALU_DEP_3)
	v_cmp_lt_i16_e64 s10, v70, v69
                                        ; implicit-def: $vgpr69
	v_cmp_ge_i32_e64 s9, v67, v29
	s_delay_alu instid0(VALU_DEP_3)
	v_cmp_lt_i32_e64 s11, v68, v30
	s_or_b32 s9, s9, s10
	s_wait_alu 0xfffe
	s_and_b32 s9, s11, s9
	s_wait_alu 0xfffe
	s_xor_b32 s10, s9, -1
	s_wait_alu 0xfffe
	s_and_saveexec_b32 s11, s10
	s_wait_alu 0xfffe
	s_xor_b32 s10, exec_lo, s11
; %bb.203:                              ;   in Loop: Header=BB79_2 Depth=1
	ds_load_u8 v69, v67 offset:1
; %bb.204:                              ;   in Loop: Header=BB79_2 Depth=1
	s_wait_alu 0xfffe
	s_or_saveexec_b32 s10, s10
	v_mov_b32_e32 v70, v66
	s_wait_alu 0xfffe
	s_xor_b32 exec_lo, exec_lo, s10
	s_cbranch_execz .LBB79_206
; %bb.205:                              ;   in Loop: Header=BB79_2 Depth=1
	ds_load_u8 v70, v68 offset:1
	s_wait_dscnt 0x1
	v_mov_b32_e32 v69, v65
.LBB79_206:                             ;   in Loop: Header=BB79_2 Depth=1
	s_or_b32 exec_lo, exec_lo, s10
	v_add_nc_u32_e32 v71, 1, v67
	v_add_nc_u32_e32 v72, 1, v68
	s_wait_dscnt 0x0
	v_bfe_i32 v73, v69, 0, 8
	v_bfe_i32 v74, v70, 0, 8
	v_cndmask_b32_e64 v71, v71, v67, s9
	v_cndmask_b32_e64 v72, v68, v72, s9
	s_delay_alu instid0(VALU_DEP_3) | instskip(NEXT) | instid1(VALU_DEP_3)
	v_cmp_lt_i16_e64 s11, v74, v73
                                        ; implicit-def: $vgpr73
	v_cmp_ge_i32_e64 s10, v71, v29
	s_delay_alu instid0(VALU_DEP_3)
	v_cmp_lt_i32_e64 s12, v72, v30
	s_or_b32 s10, s10, s11
	s_wait_alu 0xfffe
	s_and_b32 s10, s12, s10
	s_wait_alu 0xfffe
	s_xor_b32 s11, s10, -1
	s_wait_alu 0xfffe
	s_and_saveexec_b32 s12, s11
	s_wait_alu 0xfffe
	s_xor_b32 s11, exec_lo, s12
; %bb.207:                              ;   in Loop: Header=BB79_2 Depth=1
	ds_load_u8 v73, v71 offset:1
; %bb.208:                              ;   in Loop: Header=BB79_2 Depth=1
	s_wait_alu 0xfffe
	s_or_saveexec_b32 s11, s11
	v_mov_b32_e32 v74, v70
	s_wait_alu 0xfffe
	s_xor_b32 exec_lo, exec_lo, s11
	s_cbranch_execz .LBB79_210
; %bb.209:                              ;   in Loop: Header=BB79_2 Depth=1
	ds_load_u8 v74, v72 offset:1
	s_wait_dscnt 0x1
	v_mov_b32_e32 v73, v69
.LBB79_210:                             ;   in Loop: Header=BB79_2 Depth=1
	s_or_b32 exec_lo, exec_lo, s11
	v_add_nc_u32_e32 v75, 1, v71
	v_add_nc_u32_e32 v76, 1, v72
	s_wait_dscnt 0x0
	v_bfe_i32 v77, v73, 0, 8
	v_bfe_i32 v78, v74, 0, 8
	v_cndmask_b32_e64 v75, v75, v71, s10
	v_cndmask_b32_e64 v76, v72, v76, s10
	s_delay_alu instid0(VALU_DEP_3) | instskip(NEXT) | instid1(VALU_DEP_3)
	v_cmp_lt_i16_e64 s12, v78, v77
                                        ; implicit-def: $vgpr77
	v_cmp_ge_i32_e64 s11, v75, v29
	s_delay_alu instid0(VALU_DEP_3)
	v_cmp_lt_i32_e64 s13, v76, v30
	s_or_b32 s11, s11, s12
	s_wait_alu 0xfffe
	s_and_b32 s11, s13, s11
	s_wait_alu 0xfffe
	s_xor_b32 s12, s11, -1
	s_wait_alu 0xfffe
	s_and_saveexec_b32 s13, s12
	s_wait_alu 0xfffe
	s_xor_b32 s12, exec_lo, s13
; %bb.211:                              ;   in Loop: Header=BB79_2 Depth=1
	ds_load_u8 v77, v75 offset:1
; %bb.212:                              ;   in Loop: Header=BB79_2 Depth=1
	s_wait_alu 0xfffe
	s_or_saveexec_b32 s12, s12
	v_mov_b32_e32 v78, v74
	s_wait_alu 0xfffe
	s_xor_b32 exec_lo, exec_lo, s12
	s_cbranch_execz .LBB79_214
; %bb.213:                              ;   in Loop: Header=BB79_2 Depth=1
	ds_load_u8 v78, v76 offset:1
	s_wait_dscnt 0x1
	v_mov_b32_e32 v77, v73
.LBB79_214:                             ;   in Loop: Header=BB79_2 Depth=1
	s_or_b32 exec_lo, exec_lo, s12
	v_add_nc_u32_e32 v79, 1, v75
	v_add_nc_u32_e32 v80, 1, v76
	s_wait_dscnt 0x0
	v_bfe_i32 v81, v77, 0, 8
	v_bfe_i32 v82, v78, 0, 8
	v_cndmask_b32_e64 v79, v79, v75, s11
	v_cndmask_b32_e64 v80, v76, v80, s11
	s_delay_alu instid0(VALU_DEP_3) | instskip(NEXT) | instid1(VALU_DEP_3)
	v_cmp_lt_i16_e64 s13, v82, v81
                                        ; implicit-def: $vgpr81
	v_cmp_ge_i32_e64 s12, v79, v29
	s_delay_alu instid0(VALU_DEP_3)
	v_cmp_lt_i32_e64 s14, v80, v30
	s_or_b32 s12, s12, s13
	s_wait_alu 0xfffe
	s_and_b32 s12, s14, s12
	s_wait_alu 0xfffe
	s_xor_b32 s13, s12, -1
	s_wait_alu 0xfffe
	s_and_saveexec_b32 s14, s13
	s_wait_alu 0xfffe
	s_xor_b32 s13, exec_lo, s14
; %bb.215:                              ;   in Loop: Header=BB79_2 Depth=1
	ds_load_u8 v81, v79 offset:1
; %bb.216:                              ;   in Loop: Header=BB79_2 Depth=1
	s_wait_alu 0xfffe
	s_or_saveexec_b32 s13, s13
	v_mov_b32_e32 v82, v78
	s_wait_alu 0xfffe
	s_xor_b32 exec_lo, exec_lo, s13
	s_cbranch_execz .LBB79_218
; %bb.217:                              ;   in Loop: Header=BB79_2 Depth=1
	ds_load_u8 v82, v80 offset:1
	s_wait_dscnt 0x1
	v_mov_b32_e32 v81, v77
.LBB79_218:                             ;   in Loop: Header=BB79_2 Depth=1
	s_or_b32 exec_lo, exec_lo, s13
	v_add_nc_u32_e32 v83, 1, v79
	v_add_nc_u32_e32 v84, 1, v80
	s_wait_dscnt 0x0
	v_bfe_i32 v85, v81, 0, 8
	v_bfe_i32 v86, v82, 0, 8
	v_cndmask_b32_e64 v83, v83, v79, s12
	v_cndmask_b32_e64 v84, v80, v84, s12
	s_delay_alu instid0(VALU_DEP_3) | instskip(NEXT) | instid1(VALU_DEP_3)
	v_cmp_lt_i16_e64 s14, v86, v85
                                        ; implicit-def: $vgpr86
	v_cmp_ge_i32_e64 s13, v83, v29
	s_delay_alu instid0(VALU_DEP_3)
	v_cmp_lt_i32_e64 s15, v84, v30
	s_or_b32 s13, s13, s14
	s_wait_alu 0xfffe
	s_and_b32 s13, s15, s13
	s_wait_alu 0xfffe
	s_xor_b32 s14, s13, -1
	s_wait_alu 0xfffe
	s_and_saveexec_b32 s15, s14
	s_wait_alu 0xfffe
	s_xor_b32 s14, exec_lo, s15
; %bb.219:                              ;   in Loop: Header=BB79_2 Depth=1
	ds_load_u8 v86, v83 offset:1
; %bb.220:                              ;   in Loop: Header=BB79_2 Depth=1
	s_wait_alu 0xfffe
	s_or_saveexec_b32 s14, s14
	v_mov_b32_e32 v88, v82
	s_wait_alu 0xfffe
	s_xor_b32 exec_lo, exec_lo, s14
	s_cbranch_execz .LBB79_222
; %bb.221:                              ;   in Loop: Header=BB79_2 Depth=1
	ds_load_u8 v88, v84 offset:1
	s_wait_dscnt 0x1
	v_mov_b32_e32 v86, v81
.LBB79_222:                             ;   in Loop: Header=BB79_2 Depth=1
	s_or_b32 exec_lo, exec_lo, s14
	v_add_nc_u32_e32 v85, 1, v83
	v_add_nc_u32_e32 v87, 1, v84
	s_wait_dscnt 0x0
	v_bfe_i32 v91, v86, 0, 8
	s_delay_alu instid0(VALU_DEP_3) | instskip(SKIP_2) | instid1(VALU_DEP_3)
	v_cndmask_b32_e64 v89, v85, v83, s13
	v_bfe_i32 v85, v88, 0, 8
	v_cndmask_b32_e64 v90, v84, v87, s13
	v_cmp_ge_i32_e64 s14, v89, v29
	s_delay_alu instid0(VALU_DEP_3) | instskip(NEXT) | instid1(VALU_DEP_3)
	v_cmp_lt_i16_e64 s15, v85, v91
	v_cmp_lt_i32_e64 s16, v90, v30
                                        ; implicit-def: $vgpr85
	s_or_b32 s14, s14, s15
	s_wait_alu 0xfffe
	s_and_b32 s14, s16, s14
	s_wait_alu 0xfffe
	s_xor_b32 s15, s14, -1
	s_wait_alu 0xfffe
	s_and_saveexec_b32 s16, s15
	s_wait_alu 0xfffe
	s_xor_b32 s15, exec_lo, s16
; %bb.223:                              ;   in Loop: Header=BB79_2 Depth=1
	ds_load_u8 v85, v89 offset:1
; %bb.224:                              ;   in Loop: Header=BB79_2 Depth=1
	s_wait_alu 0xfffe
	s_or_saveexec_b32 s15, s15
	v_mov_b32_e32 v87, v88
	s_wait_alu 0xfffe
	s_xor_b32 exec_lo, exec_lo, s15
	s_cbranch_execz .LBB79_226
; %bb.225:                              ;   in Loop: Header=BB79_2 Depth=1
	ds_load_u8 v87, v90 offset:1
	s_wait_dscnt 0x1
	v_mov_b32_e32 v85, v86
.LBB79_226:                             ;   in Loop: Header=BB79_2 Depth=1
	s_or_b32 exec_lo, exec_lo, s15
	v_add_nc_u32_e32 v92, 1, v89
	v_add_nc_u32_e32 v91, 1, v90
	v_cndmask_b32_e64 v86, v86, v88, s14
	v_cndmask_b32_e64 v88, v89, v90, s14
	;; [unrolled: 1-line block ×5, first 2 shown]
	s_wait_dscnt 0x0
	v_bfe_i32 v75, v85, 0, 8
	v_bfe_i32 v76, v87, 0, 8
	v_cndmask_b32_e64 v90, v90, v91, s14
	v_cndmask_b32_e64 v69, v69, v70, s10
	;; [unrolled: 1-line block ×3, first 2 shown]
	v_cmp_ge_i32_e64 s10, v89, v29
	v_cmp_lt_i16_e64 s11, v76, v75
	v_cndmask_b32_e64 v63, v63, v64, s8
	v_cndmask_b32_e64 v61, v61, v62, s8
	v_cmp_lt_i32_e64 s8, v90, v30
	v_perm_b32 v58, v58, v59, 0xc0c0004
	v_perm_b32 v57, v60, v57, 0xc0c0004
	;; [unrolled: 1-line block ×4, first 2 shown]
	v_cndmask_b32_e64 v65, v65, v66, s9
	v_cndmask_b32_e64 v66, v67, v68, s9
	s_or_b32 s9, s10, s11
	v_cndmask_b32_e64 v81, v81, v82, s13
	s_wait_alu 0xfffe
	s_and_b32 s8, s8, s9
	v_cndmask_b32_e64 v77, v77, v78, s12
	s_wait_alu 0xfffe
	v_cndmask_b32_e64 v4, v85, v87, s8
	v_lshl_or_b32 v2, v57, 16, v58
	v_lshl_or_b32 v1, v3, 16, v1
	s_wait_loadcnt 0x0
	s_barrier_signal -1
	s_barrier_wait -1
	global_inv scope:SCOPE_SE
	ds_store_b64 v5, v[1:2]
	v_lshlrev_b16 v1, 8, v65
	v_and_b32_e32 v2, 0xff, v63
	v_lshlrev_b16 v3, 8, v73
	v_and_b32_e32 v57, 0xff, v69
	;; [unrolled: 2-line block ×3, first 2 shown]
	v_and_b32_e32 v62, 0xff, v86
	v_lshlrev_b16 v4, 8, v4
	v_cndmask_b32_e64 v59, v89, v90, s8
	v_cndmask_b32_e64 v82, v83, v84, s13
	;; [unrolled: 1-line block ×3, first 2 shown]
	s_wait_loadcnt_dscnt 0x0
	s_barrier_signal -1
	s_barrier_wait -1
	global_inv scope:SCOPE_SE
	v_or_b32_e32 v63, v2, v1
	v_or_b32_e32 v64, v57, v3
	;; [unrolled: 1-line block ×4, first 2 shown]
	ds_load_u8 v1, v61
	ds_load_u8 v57, v59
	;; [unrolled: 1-line block ×8, first 2 shown]
	v_and_b32_e32 v61, 0xffff, v63
	v_lshlrev_b32_e32 v63, 16, v64
	v_and_b32_e32 v64, 0xffff, v65
	v_lshlrev_b32_e32 v62, 16, v62
	s_wait_loadcnt_dscnt 0x0
	s_barrier_signal -1
	v_or_b32_e32 v61, v61, v63
	s_barrier_wait -1
	v_or_b32_e32 v62, v64, v62
	global_inv scope:SCOPE_SE
	ds_store_b64 v5, v[61:62]
	v_mov_b32_e32 v62, v56
	s_wait_loadcnt_dscnt 0x0
	s_barrier_signal -1
	s_barrier_wait -1
	global_inv scope:SCOPE_SE
	s_and_saveexec_b32 s9, s7
	s_cbranch_execz .LBB79_230
; %bb.227:                              ;   in Loop: Header=BB79_2 Depth=1
	v_dual_mov_b32 v62, v56 :: v_dual_mov_b32 v61, v48
	s_mov_b32 s10, 0
.LBB79_228:                             ;   Parent Loop BB79_2 Depth=1
                                        ; =>  This Inner Loop Header: Depth=2
	s_delay_alu instid0(VALU_DEP_1) | instskip(NEXT) | instid1(VALU_DEP_1)
	v_sub_nc_u32_e32 v63, v61, v62
	v_lshrrev_b32_e32 v63, 1, v63
	s_delay_alu instid0(VALU_DEP_1) | instskip(NEXT) | instid1(VALU_DEP_1)
	v_add_nc_u32_e32 v63, v63, v62
	v_add_nc_u32_e32 v64, v13, v63
	v_xad_u32 v65, v63, -1, v40
	v_add_nc_u32_e32 v66, 1, v63
	ds_load_i8 v64, v64
	ds_load_i8 v65, v65
	s_wait_dscnt 0x0
	v_cmp_lt_i16_e64 s8, v65, v64
	s_wait_alu 0xf1ff
	s_delay_alu instid0(VALU_DEP_1) | instskip(SKIP_1) | instid1(VALU_DEP_1)
	v_cndmask_b32_e64 v61, v61, v63, s8
	v_cndmask_b32_e64 v62, v66, v62, s8
	v_cmp_ge_i32_e64 s8, v62, v61
	s_wait_alu 0xfffe
	s_or_b32 s10, s8, s10
	s_wait_alu 0xfffe
	s_and_not1_b32 exec_lo, exec_lo, s10
	s_cbranch_execnz .LBB79_228
; %bb.229:                              ;   in Loop: Header=BB79_2 Depth=1
	s_or_b32 exec_lo, exec_lo, s10
.LBB79_230:                             ;   in Loop: Header=BB79_2 Depth=1
	s_wait_alu 0xfffe
	s_or_b32 exec_lo, exec_lo, s9
	v_add_nc_u32_e32 v61, v62, v13
	v_sub_nc_u32_e32 v62, v40, v62
                                        ; implicit-def: $vgpr65
	ds_load_u8 v63, v61
	ds_load_u8 v64, v62
	v_cmp_le_i32_e64 s8, v31, v61
	v_cmp_gt_i32_e64 s10, v32, v62
	s_wait_dscnt 0x1
	v_bfe_i32 v63, v63, 0, 8
	s_wait_dscnt 0x0
	v_bfe_i32 v64, v64, 0, 8
	s_delay_alu instid0(VALU_DEP_1)
	v_cmp_lt_i16_e64 s9, v64, v63
	s_or_b32 s8, s8, s9
	s_wait_alu 0xfffe
	s_and_b32 s8, s10, s8
	s_wait_alu 0xfffe
	s_xor_b32 s9, s8, -1
	s_wait_alu 0xfffe
	s_and_saveexec_b32 s10, s9
	s_wait_alu 0xfffe
	s_xor_b32 s9, exec_lo, s10
; %bb.231:                              ;   in Loop: Header=BB79_2 Depth=1
	ds_load_u8 v65, v61 offset:1
; %bb.232:                              ;   in Loop: Header=BB79_2 Depth=1
	s_wait_alu 0xfffe
	s_or_saveexec_b32 s9, s9
	v_mov_b32_e32 v66, v64
	s_wait_alu 0xfffe
	s_xor_b32 exec_lo, exec_lo, s9
	s_cbranch_execz .LBB79_234
; %bb.233:                              ;   in Loop: Header=BB79_2 Depth=1
	ds_load_u8 v66, v62 offset:1
	s_wait_dscnt 0x1
	v_mov_b32_e32 v65, v63
.LBB79_234:                             ;   in Loop: Header=BB79_2 Depth=1
	s_or_b32 exec_lo, exec_lo, s9
	v_add_nc_u32_e32 v67, 1, v61
	v_add_nc_u32_e32 v68, 1, v62
	s_wait_dscnt 0x0
	v_bfe_i32 v69, v65, 0, 8
	v_bfe_i32 v70, v66, 0, 8
	v_cndmask_b32_e64 v67, v67, v61, s8
	v_cndmask_b32_e64 v68, v62, v68, s8
	s_delay_alu instid0(VALU_DEP_3) | instskip(NEXT) | instid1(VALU_DEP_3)
	v_cmp_lt_i16_e64 s10, v70, v69
                                        ; implicit-def: $vgpr69
	v_cmp_ge_i32_e64 s9, v67, v31
	s_delay_alu instid0(VALU_DEP_3)
	v_cmp_lt_i32_e64 s11, v68, v32
	s_or_b32 s9, s9, s10
	s_wait_alu 0xfffe
	s_and_b32 s9, s11, s9
	s_wait_alu 0xfffe
	s_xor_b32 s10, s9, -1
	s_wait_alu 0xfffe
	s_and_saveexec_b32 s11, s10
	s_wait_alu 0xfffe
	s_xor_b32 s10, exec_lo, s11
; %bb.235:                              ;   in Loop: Header=BB79_2 Depth=1
	ds_load_u8 v69, v67 offset:1
; %bb.236:                              ;   in Loop: Header=BB79_2 Depth=1
	s_wait_alu 0xfffe
	s_or_saveexec_b32 s10, s10
	v_mov_b32_e32 v70, v66
	s_wait_alu 0xfffe
	s_xor_b32 exec_lo, exec_lo, s10
	s_cbranch_execz .LBB79_238
; %bb.237:                              ;   in Loop: Header=BB79_2 Depth=1
	ds_load_u8 v70, v68 offset:1
	s_wait_dscnt 0x1
	v_mov_b32_e32 v69, v65
.LBB79_238:                             ;   in Loop: Header=BB79_2 Depth=1
	s_or_b32 exec_lo, exec_lo, s10
	v_add_nc_u32_e32 v71, 1, v67
	v_add_nc_u32_e32 v72, 1, v68
	s_wait_dscnt 0x0
	v_bfe_i32 v73, v69, 0, 8
	v_bfe_i32 v74, v70, 0, 8
	v_cndmask_b32_e64 v71, v71, v67, s9
	v_cndmask_b32_e64 v72, v68, v72, s9
	s_delay_alu instid0(VALU_DEP_3) | instskip(NEXT) | instid1(VALU_DEP_3)
	v_cmp_lt_i16_e64 s11, v74, v73
                                        ; implicit-def: $vgpr73
	v_cmp_ge_i32_e64 s10, v71, v31
	s_delay_alu instid0(VALU_DEP_3)
	v_cmp_lt_i32_e64 s12, v72, v32
	s_or_b32 s10, s10, s11
	s_wait_alu 0xfffe
	s_and_b32 s10, s12, s10
	s_wait_alu 0xfffe
	s_xor_b32 s11, s10, -1
	s_wait_alu 0xfffe
	s_and_saveexec_b32 s12, s11
	s_wait_alu 0xfffe
	s_xor_b32 s11, exec_lo, s12
; %bb.239:                              ;   in Loop: Header=BB79_2 Depth=1
	ds_load_u8 v73, v71 offset:1
; %bb.240:                              ;   in Loop: Header=BB79_2 Depth=1
	s_wait_alu 0xfffe
	s_or_saveexec_b32 s11, s11
	v_mov_b32_e32 v74, v70
	s_wait_alu 0xfffe
	s_xor_b32 exec_lo, exec_lo, s11
	s_cbranch_execz .LBB79_242
; %bb.241:                              ;   in Loop: Header=BB79_2 Depth=1
	ds_load_u8 v74, v72 offset:1
	s_wait_dscnt 0x1
	v_mov_b32_e32 v73, v69
.LBB79_242:                             ;   in Loop: Header=BB79_2 Depth=1
	s_or_b32 exec_lo, exec_lo, s11
	v_add_nc_u32_e32 v75, 1, v71
	v_add_nc_u32_e32 v76, 1, v72
	s_wait_dscnt 0x0
	v_bfe_i32 v77, v73, 0, 8
	v_bfe_i32 v78, v74, 0, 8
	v_cndmask_b32_e64 v75, v75, v71, s10
	v_cndmask_b32_e64 v76, v72, v76, s10
	s_delay_alu instid0(VALU_DEP_3) | instskip(NEXT) | instid1(VALU_DEP_3)
	v_cmp_lt_i16_e64 s12, v78, v77
                                        ; implicit-def: $vgpr77
	v_cmp_ge_i32_e64 s11, v75, v31
	s_delay_alu instid0(VALU_DEP_3)
	v_cmp_lt_i32_e64 s13, v76, v32
	s_or_b32 s11, s11, s12
	s_wait_alu 0xfffe
	s_and_b32 s11, s13, s11
	s_wait_alu 0xfffe
	s_xor_b32 s12, s11, -1
	s_wait_alu 0xfffe
	s_and_saveexec_b32 s13, s12
	s_wait_alu 0xfffe
	s_xor_b32 s12, exec_lo, s13
; %bb.243:                              ;   in Loop: Header=BB79_2 Depth=1
	ds_load_u8 v77, v75 offset:1
; %bb.244:                              ;   in Loop: Header=BB79_2 Depth=1
	s_wait_alu 0xfffe
	s_or_saveexec_b32 s12, s12
	v_mov_b32_e32 v78, v74
	s_wait_alu 0xfffe
	s_xor_b32 exec_lo, exec_lo, s12
	s_cbranch_execz .LBB79_246
; %bb.245:                              ;   in Loop: Header=BB79_2 Depth=1
	ds_load_u8 v78, v76 offset:1
	s_wait_dscnt 0x1
	v_mov_b32_e32 v77, v73
.LBB79_246:                             ;   in Loop: Header=BB79_2 Depth=1
	s_or_b32 exec_lo, exec_lo, s12
	v_add_nc_u32_e32 v79, 1, v75
	v_add_nc_u32_e32 v80, 1, v76
	s_wait_dscnt 0x0
	v_bfe_i32 v81, v77, 0, 8
	v_bfe_i32 v82, v78, 0, 8
	v_cndmask_b32_e64 v79, v79, v75, s11
	v_cndmask_b32_e64 v80, v76, v80, s11
	s_delay_alu instid0(VALU_DEP_3) | instskip(NEXT) | instid1(VALU_DEP_3)
	v_cmp_lt_i16_e64 s13, v82, v81
                                        ; implicit-def: $vgpr81
	v_cmp_ge_i32_e64 s12, v79, v31
	s_delay_alu instid0(VALU_DEP_3)
	v_cmp_lt_i32_e64 s14, v80, v32
	s_or_b32 s12, s12, s13
	s_wait_alu 0xfffe
	s_and_b32 s12, s14, s12
	s_wait_alu 0xfffe
	s_xor_b32 s13, s12, -1
	s_wait_alu 0xfffe
	s_and_saveexec_b32 s14, s13
	s_wait_alu 0xfffe
	s_xor_b32 s13, exec_lo, s14
; %bb.247:                              ;   in Loop: Header=BB79_2 Depth=1
	ds_load_u8 v81, v79 offset:1
; %bb.248:                              ;   in Loop: Header=BB79_2 Depth=1
	s_wait_alu 0xfffe
	s_or_saveexec_b32 s13, s13
	v_mov_b32_e32 v82, v78
	s_wait_alu 0xfffe
	s_xor_b32 exec_lo, exec_lo, s13
	s_cbranch_execz .LBB79_250
; %bb.249:                              ;   in Loop: Header=BB79_2 Depth=1
	ds_load_u8 v82, v80 offset:1
	s_wait_dscnt 0x1
	v_mov_b32_e32 v81, v77
.LBB79_250:                             ;   in Loop: Header=BB79_2 Depth=1
	s_or_b32 exec_lo, exec_lo, s13
	v_add_nc_u32_e32 v83, 1, v79
	v_add_nc_u32_e32 v84, 1, v80
	s_wait_dscnt 0x0
	v_bfe_i32 v85, v81, 0, 8
	v_bfe_i32 v86, v82, 0, 8
	v_cndmask_b32_e64 v83, v83, v79, s12
	v_cndmask_b32_e64 v84, v80, v84, s12
	s_delay_alu instid0(VALU_DEP_3) | instskip(NEXT) | instid1(VALU_DEP_3)
	v_cmp_lt_i16_e64 s14, v86, v85
                                        ; implicit-def: $vgpr86
	v_cmp_ge_i32_e64 s13, v83, v31
	s_delay_alu instid0(VALU_DEP_3)
	v_cmp_lt_i32_e64 s15, v84, v32
	s_or_b32 s13, s13, s14
	s_wait_alu 0xfffe
	s_and_b32 s13, s15, s13
	s_wait_alu 0xfffe
	s_xor_b32 s14, s13, -1
	s_wait_alu 0xfffe
	s_and_saveexec_b32 s15, s14
	s_wait_alu 0xfffe
	s_xor_b32 s14, exec_lo, s15
; %bb.251:                              ;   in Loop: Header=BB79_2 Depth=1
	ds_load_u8 v86, v83 offset:1
; %bb.252:                              ;   in Loop: Header=BB79_2 Depth=1
	s_wait_alu 0xfffe
	s_or_saveexec_b32 s14, s14
	v_mov_b32_e32 v88, v82
	s_wait_alu 0xfffe
	s_xor_b32 exec_lo, exec_lo, s14
	s_cbranch_execz .LBB79_254
; %bb.253:                              ;   in Loop: Header=BB79_2 Depth=1
	ds_load_u8 v88, v84 offset:1
	s_wait_dscnt 0x1
	v_mov_b32_e32 v86, v81
.LBB79_254:                             ;   in Loop: Header=BB79_2 Depth=1
	s_or_b32 exec_lo, exec_lo, s14
	v_add_nc_u32_e32 v85, 1, v83
	v_add_nc_u32_e32 v87, 1, v84
	s_wait_dscnt 0x0
	v_bfe_i32 v91, v86, 0, 8
	s_delay_alu instid0(VALU_DEP_3) | instskip(SKIP_2) | instid1(VALU_DEP_3)
	v_cndmask_b32_e64 v89, v85, v83, s13
	v_bfe_i32 v85, v88, 0, 8
	v_cndmask_b32_e64 v90, v84, v87, s13
	v_cmp_ge_i32_e64 s14, v89, v31
	s_delay_alu instid0(VALU_DEP_3) | instskip(NEXT) | instid1(VALU_DEP_3)
	v_cmp_lt_i16_e64 s15, v85, v91
	v_cmp_lt_i32_e64 s16, v90, v32
                                        ; implicit-def: $vgpr85
	s_or_b32 s14, s14, s15
	s_wait_alu 0xfffe
	s_and_b32 s14, s16, s14
	s_wait_alu 0xfffe
	s_xor_b32 s15, s14, -1
	s_wait_alu 0xfffe
	s_and_saveexec_b32 s16, s15
	s_wait_alu 0xfffe
	s_xor_b32 s15, exec_lo, s16
; %bb.255:                              ;   in Loop: Header=BB79_2 Depth=1
	ds_load_u8 v85, v89 offset:1
; %bb.256:                              ;   in Loop: Header=BB79_2 Depth=1
	s_wait_alu 0xfffe
	s_or_saveexec_b32 s15, s15
	v_mov_b32_e32 v87, v88
	s_wait_alu 0xfffe
	s_xor_b32 exec_lo, exec_lo, s15
	s_cbranch_execz .LBB79_258
; %bb.257:                              ;   in Loop: Header=BB79_2 Depth=1
	ds_load_u8 v87, v90 offset:1
	s_wait_dscnt 0x1
	v_mov_b32_e32 v85, v86
.LBB79_258:                             ;   in Loop: Header=BB79_2 Depth=1
	s_or_b32 exec_lo, exec_lo, s15
	v_add_nc_u32_e32 v92, 1, v89
	v_add_nc_u32_e32 v91, 1, v90
	v_cndmask_b32_e64 v86, v86, v88, s14
	v_cndmask_b32_e64 v88, v89, v90, s14
	;; [unrolled: 1-line block ×5, first 2 shown]
	s_wait_dscnt 0x0
	v_bfe_i32 v75, v85, 0, 8
	v_bfe_i32 v76, v87, 0, 8
	v_cndmask_b32_e64 v90, v90, v91, s14
	v_cndmask_b32_e64 v69, v69, v70, s10
	v_cndmask_b32_e64 v70, v71, v72, s10
	v_cmp_ge_i32_e64 s10, v89, v31
	v_cmp_lt_i16_e64 s11, v76, v75
	v_cndmask_b32_e64 v63, v63, v64, s8
	v_cndmask_b32_e64 v61, v61, v62, s8
	v_cmp_lt_i32_e64 s8, v90, v32
	v_perm_b32 v58, v58, v59, 0xc0c0004
	v_perm_b32 v57, v60, v57, 0xc0c0004
	;; [unrolled: 1-line block ×4, first 2 shown]
	v_cndmask_b32_e64 v65, v65, v66, s9
	v_cndmask_b32_e64 v66, v67, v68, s9
	s_or_b32 s9, s10, s11
	v_cndmask_b32_e64 v81, v81, v82, s13
	s_wait_alu 0xfffe
	s_and_b32 s8, s8, s9
	v_cndmask_b32_e64 v77, v77, v78, s12
	s_wait_alu 0xfffe
	v_cndmask_b32_e64 v4, v85, v87, s8
	v_lshl_or_b32 v2, v57, 16, v58
	v_lshl_or_b32 v1, v3, 16, v1
	s_wait_loadcnt 0x0
	s_barrier_signal -1
	s_barrier_wait -1
	global_inv scope:SCOPE_SE
	ds_store_b64 v5, v[1:2]
	v_lshlrev_b16 v1, 8, v65
	v_and_b32_e32 v2, 0xff, v63
	v_lshlrev_b16 v3, 8, v73
	v_and_b32_e32 v57, 0xff, v69
	;; [unrolled: 2-line block ×3, first 2 shown]
	v_and_b32_e32 v62, 0xff, v86
	v_lshlrev_b16 v4, 8, v4
	v_cndmask_b32_e64 v59, v89, v90, s8
	v_cndmask_b32_e64 v82, v83, v84, s13
	;; [unrolled: 1-line block ×3, first 2 shown]
	s_wait_loadcnt_dscnt 0x0
	s_barrier_signal -1
	s_barrier_wait -1
	global_inv scope:SCOPE_SE
	v_or_b32_e32 v63, v2, v1
	v_or_b32_e32 v64, v57, v3
	;; [unrolled: 1-line block ×4, first 2 shown]
	ds_load_u8 v1, v61
	ds_load_u8 v57, v59
	;; [unrolled: 1-line block ×8, first 2 shown]
	v_and_b32_e32 v61, 0xffff, v63
	v_lshlrev_b32_e32 v63, 16, v64
	v_and_b32_e32 v64, 0xffff, v65
	v_lshlrev_b32_e32 v62, 16, v62
	s_wait_loadcnt_dscnt 0x0
	s_barrier_signal -1
	v_or_b32_e32 v61, v61, v63
	s_barrier_wait -1
	v_or_b32_e32 v62, v64, v62
	global_inv scope:SCOPE_SE
	ds_store_b64 v5, v[61:62]
	v_mov_b32_e32 v61, v14
	s_wait_loadcnt_dscnt 0x0
	s_barrier_signal -1
	s_barrier_wait -1
	global_inv scope:SCOPE_SE
	s_and_saveexec_b32 s9, vcc_lo
	s_cbranch_execz .LBB79_262
; %bb.259:                              ;   in Loop: Header=BB79_2 Depth=1
	v_dual_mov_b32 v61, v14 :: v_dual_mov_b32 v62, v15
	s_mov_b32 s10, 0
.LBB79_260:                             ;   Parent Loop BB79_2 Depth=1
                                        ; =>  This Inner Loop Header: Depth=2
	s_delay_alu instid0(VALU_DEP_1) | instskip(NEXT) | instid1(VALU_DEP_1)
	v_sub_nc_u32_e32 v63, v62, v61
	v_lshrrev_b32_e32 v63, 1, v63
	s_delay_alu instid0(VALU_DEP_1) | instskip(NEXT) | instid1(VALU_DEP_1)
	v_add_nc_u32_e32 v63, v63, v61
	v_xad_u32 v64, v63, -1, v16
	v_add_nc_u32_e32 v66, 1, v63
	ds_load_i8 v65, v63
	ds_load_i8 v64, v64
	s_wait_dscnt 0x0
	v_cmp_lt_i16_e64 s8, v64, v65
	s_wait_alu 0xf1ff
	s_delay_alu instid0(VALU_DEP_1) | instskip(SKIP_1) | instid1(VALU_DEP_1)
	v_cndmask_b32_e64 v62, v62, v63, s8
	v_cndmask_b32_e64 v61, v66, v61, s8
	v_cmp_ge_i32_e64 s8, v61, v62
	s_wait_alu 0xfffe
	s_or_b32 s10, s8, s10
	s_wait_alu 0xfffe
	s_and_not1_b32 exec_lo, exec_lo, s10
	s_cbranch_execnz .LBB79_260
; %bb.261:                              ;   in Loop: Header=BB79_2 Depth=1
	s_or_b32 exec_lo, exec_lo, s10
.LBB79_262:                             ;   in Loop: Header=BB79_2 Depth=1
	s_wait_alu 0xfffe
	s_or_b32 exec_lo, exec_lo, s9
	v_sub_nc_u32_e32 v62, v16, v61
	v_cmp_le_i32_e64 s8, 0x800, v61
                                        ; implicit-def: $vgpr65
	ds_load_u8 v63, v61
	ds_load_u8 v64, v62
	v_cmp_gt_i32_e64 s10, 0x1000, v62
	s_wait_dscnt 0x1
	v_bfe_i32 v63, v63, 0, 8
	s_wait_dscnt 0x0
	v_bfe_i32 v64, v64, 0, 8
	s_delay_alu instid0(VALU_DEP_1)
	v_cmp_lt_i16_e64 s9, v64, v63
	s_or_b32 s8, s8, s9
	s_wait_alu 0xfffe
	s_and_b32 s8, s10, s8
	s_wait_alu 0xfffe
	s_xor_b32 s9, s8, -1
	s_wait_alu 0xfffe
	s_and_saveexec_b32 s10, s9
	s_wait_alu 0xfffe
	s_xor_b32 s9, exec_lo, s10
; %bb.263:                              ;   in Loop: Header=BB79_2 Depth=1
	ds_load_u8 v65, v61 offset:1
; %bb.264:                              ;   in Loop: Header=BB79_2 Depth=1
	s_wait_alu 0xfffe
	s_or_saveexec_b32 s9, s9
	v_mov_b32_e32 v68, v64
	s_wait_alu 0xfffe
	s_xor_b32 exec_lo, exec_lo, s9
	s_cbranch_execz .LBB79_266
; %bb.265:                              ;   in Loop: Header=BB79_2 Depth=1
	ds_load_u8 v68, v62 offset:1
	s_wait_dscnt 0x1
	v_mov_b32_e32 v65, v63
.LBB79_266:                             ;   in Loop: Header=BB79_2 Depth=1
	s_or_b32 exec_lo, exec_lo, s9
	v_add_nc_u32_e32 v66, 1, v61
	v_add_nc_u32_e32 v67, 1, v62
	s_wait_dscnt 0x0
	v_bfe_i32 v69, v65, 0, 8
	v_bfe_i32 v70, v68, 0, 8
	v_cndmask_b32_e64 v66, v66, v61, s8
	v_cndmask_b32_e64 v67, v62, v67, s8
	s_delay_alu instid0(VALU_DEP_3) | instskip(NEXT) | instid1(VALU_DEP_3)
	v_cmp_lt_i16_e64 s10, v70, v69
                                        ; implicit-def: $vgpr69
	v_cmp_le_i32_e64 s9, 0x800, v66
	s_delay_alu instid0(VALU_DEP_3)
	v_cmp_gt_i32_e64 s11, 0x1000, v67
	s_or_b32 s9, s9, s10
	s_wait_alu 0xfffe
	s_and_b32 s9, s11, s9
	s_wait_alu 0xfffe
	s_xor_b32 s10, s9, -1
	s_wait_alu 0xfffe
	s_and_saveexec_b32 s11, s10
	s_wait_alu 0xfffe
	s_xor_b32 s10, exec_lo, s11
; %bb.267:                              ;   in Loop: Header=BB79_2 Depth=1
	ds_load_u8 v69, v66 offset:1
; %bb.268:                              ;   in Loop: Header=BB79_2 Depth=1
	s_wait_alu 0xfffe
	s_or_saveexec_b32 s10, s10
	v_mov_b32_e32 v71, v68
	s_wait_alu 0xfffe
	s_xor_b32 exec_lo, exec_lo, s10
	s_cbranch_execz .LBB79_270
; %bb.269:                              ;   in Loop: Header=BB79_2 Depth=1
	ds_load_u8 v71, v67 offset:1
	s_wait_dscnt 0x1
	v_mov_b32_e32 v69, v65
.LBB79_270:                             ;   in Loop: Header=BB79_2 Depth=1
	s_or_b32 exec_lo, exec_lo, s10
	v_add_nc_u32_e32 v70, 1, v66
	v_add_nc_u32_e32 v72, 1, v67
	s_wait_dscnt 0x0
	v_bfe_i32 v73, v69, 0, 8
	v_bfe_i32 v74, v71, 0, 8
	v_cndmask_b32_e64 v70, v70, v66, s9
	v_cndmask_b32_e64 v72, v67, v72, s9
	s_delay_alu instid0(VALU_DEP_3) | instskip(NEXT) | instid1(VALU_DEP_3)
	v_cmp_lt_i16_e64 s11, v74, v73
                                        ; implicit-def: $vgpr73
	v_cmp_le_i32_e64 s10, 0x800, v70
	s_delay_alu instid0(VALU_DEP_3)
	v_cmp_gt_i32_e64 s12, 0x1000, v72
	s_or_b32 s10, s10, s11
	s_wait_alu 0xfffe
	s_and_b32 s10, s12, s10
	s_wait_alu 0xfffe
	s_xor_b32 s11, s10, -1
	s_wait_alu 0xfffe
	s_and_saveexec_b32 s12, s11
	s_wait_alu 0xfffe
	s_xor_b32 s11, exec_lo, s12
; %bb.271:                              ;   in Loop: Header=BB79_2 Depth=1
	ds_load_u8 v73, v70 offset:1
; %bb.272:                              ;   in Loop: Header=BB79_2 Depth=1
	s_wait_alu 0xfffe
	s_or_saveexec_b32 s11, s11
	v_mov_b32_e32 v74, v71
	s_wait_alu 0xfffe
	s_xor_b32 exec_lo, exec_lo, s11
	s_cbranch_execz .LBB79_274
; %bb.273:                              ;   in Loop: Header=BB79_2 Depth=1
	ds_load_u8 v74, v72 offset:1
	s_wait_dscnt 0x1
	v_mov_b32_e32 v73, v69
.LBB79_274:                             ;   in Loop: Header=BB79_2 Depth=1
	s_or_b32 exec_lo, exec_lo, s11
	v_add_nc_u32_e32 v75, 1, v70
	v_add_nc_u32_e32 v76, 1, v72
	s_wait_dscnt 0x0
	v_bfe_i32 v77, v73, 0, 8
	v_bfe_i32 v78, v74, 0, 8
	v_cndmask_b32_e64 v75, v75, v70, s10
	v_cndmask_b32_e64 v76, v72, v76, s10
	s_delay_alu instid0(VALU_DEP_3) | instskip(NEXT) | instid1(VALU_DEP_3)
	v_cmp_lt_i16_e64 s12, v78, v77
                                        ; implicit-def: $vgpr77
	v_cmp_le_i32_e64 s11, 0x800, v75
	s_delay_alu instid0(VALU_DEP_3)
	v_cmp_gt_i32_e64 s13, 0x1000, v76
	s_or_b32 s11, s11, s12
	s_wait_alu 0xfffe
	s_and_b32 s11, s13, s11
	s_wait_alu 0xfffe
	s_xor_b32 s12, s11, -1
	s_wait_alu 0xfffe
	s_and_saveexec_b32 s13, s12
	s_wait_alu 0xfffe
	s_xor_b32 s12, exec_lo, s13
; %bb.275:                              ;   in Loop: Header=BB79_2 Depth=1
	ds_load_u8 v77, v75 offset:1
; %bb.276:                              ;   in Loop: Header=BB79_2 Depth=1
	s_wait_alu 0xfffe
	s_or_saveexec_b32 s12, s12
	v_mov_b32_e32 v78, v74
	s_wait_alu 0xfffe
	s_xor_b32 exec_lo, exec_lo, s12
	s_cbranch_execz .LBB79_278
; %bb.277:                              ;   in Loop: Header=BB79_2 Depth=1
	ds_load_u8 v78, v76 offset:1
	s_wait_dscnt 0x1
	v_mov_b32_e32 v77, v73
.LBB79_278:                             ;   in Loop: Header=BB79_2 Depth=1
	s_or_b32 exec_lo, exec_lo, s12
	v_add_nc_u32_e32 v79, 1, v75
	v_add_nc_u32_e32 v80, 1, v76
	s_wait_dscnt 0x0
	v_bfe_i32 v81, v77, 0, 8
	v_bfe_i32 v82, v78, 0, 8
	v_cndmask_b32_e64 v79, v79, v75, s11
	v_cndmask_b32_e64 v80, v76, v80, s11
	s_delay_alu instid0(VALU_DEP_3) | instskip(NEXT) | instid1(VALU_DEP_3)
	v_cmp_lt_i16_e64 s13, v82, v81
                                        ; implicit-def: $vgpr81
	v_cmp_le_i32_e64 s12, 0x800, v79
	s_delay_alu instid0(VALU_DEP_3)
	v_cmp_gt_i32_e64 s14, 0x1000, v80
	s_or_b32 s12, s12, s13
	s_wait_alu 0xfffe
	s_and_b32 s12, s14, s12
	s_wait_alu 0xfffe
	s_xor_b32 s13, s12, -1
	s_wait_alu 0xfffe
	s_and_saveexec_b32 s14, s13
	s_wait_alu 0xfffe
	s_xor_b32 s13, exec_lo, s14
; %bb.279:                              ;   in Loop: Header=BB79_2 Depth=1
	ds_load_u8 v81, v79 offset:1
; %bb.280:                              ;   in Loop: Header=BB79_2 Depth=1
	s_wait_alu 0xfffe
	s_or_saveexec_b32 s13, s13
	v_mov_b32_e32 v82, v78
	s_wait_alu 0xfffe
	s_xor_b32 exec_lo, exec_lo, s13
	s_cbranch_execz .LBB79_282
; %bb.281:                              ;   in Loop: Header=BB79_2 Depth=1
	ds_load_u8 v82, v80 offset:1
	s_wait_dscnt 0x1
	v_mov_b32_e32 v81, v77
.LBB79_282:                             ;   in Loop: Header=BB79_2 Depth=1
	s_or_b32 exec_lo, exec_lo, s13
	v_add_nc_u32_e32 v83, 1, v79
	v_add_nc_u32_e32 v85, 1, v80
	s_wait_dscnt 0x0
	v_bfe_i32 v86, v81, 0, 8
	s_delay_alu instid0(VALU_DEP_3) | instskip(SKIP_2) | instid1(VALU_DEP_3)
	v_cndmask_b32_e64 v84, v83, v79, s12
	v_bfe_i32 v83, v82, 0, 8
	v_cndmask_b32_e64 v85, v80, v85, s12
	v_cmp_le_i32_e64 s13, 0x800, v84
	s_delay_alu instid0(VALU_DEP_3) | instskip(NEXT) | instid1(VALU_DEP_3)
	v_cmp_lt_i16_e64 s14, v83, v86
	v_cmp_gt_i32_e64 s15, 0x1000, v85
                                        ; implicit-def: $vgpr86
	s_or_b32 s13, s13, s14
	s_wait_alu 0xfffe
	s_and_b32 s13, s15, s13
	s_wait_alu 0xfffe
	s_xor_b32 s14, s13, -1
	s_wait_alu 0xfffe
	s_and_saveexec_b32 s15, s14
	s_wait_alu 0xfffe
	s_xor_b32 s14, exec_lo, s15
; %bb.283:                              ;   in Loop: Header=BB79_2 Depth=1
	ds_load_u8 v86, v84 offset:1
; %bb.284:                              ;   in Loop: Header=BB79_2 Depth=1
	s_wait_alu 0xfffe
	s_or_saveexec_b32 s14, s14
	v_mov_b32_e32 v89, v82
	s_wait_alu 0xfffe
	s_xor_b32 exec_lo, exec_lo, s14
	s_cbranch_execz .LBB79_286
; %bb.285:                              ;   in Loop: Header=BB79_2 Depth=1
	ds_load_u8 v89, v85 offset:1
	s_wait_dscnt 0x1
	v_mov_b32_e32 v86, v81
.LBB79_286:                             ;   in Loop: Header=BB79_2 Depth=1
	s_or_b32 exec_lo, exec_lo, s14
	v_add_nc_u32_e32 v83, 1, v84
	v_add_nc_u32_e32 v87, 1, v85
	s_wait_dscnt 0x0
	v_bfe_i32 v88, v86, 0, 8
	v_bfe_i32 v90, v89, 0, 8
                                        ; implicit-def: $vgpr91
	v_cndmask_b32_e64 v83, v83, v84, s13
	v_cndmask_b32_e64 v87, v85, v87, s13
	s_delay_alu instid0(VALU_DEP_3) | instskip(NEXT) | instid1(VALU_DEP_3)
	v_cmp_lt_i16_e64 s15, v90, v88
                                        ; implicit-def: $vgpr90
	v_cmp_le_i32_e64 s14, 0x800, v83
	s_delay_alu instid0(VALU_DEP_3)
	v_cmp_gt_i32_e64 s16, 0x1000, v87
	s_or_b32 s14, s14, s15
	s_wait_alu 0xfffe
	s_and_b32 s14, s16, s14
	s_wait_alu 0xfffe
	s_xor_b32 s15, s14, -1
	s_wait_alu 0xfffe
	s_and_saveexec_b32 s16, s15
	s_wait_alu 0xfffe
	s_xor_b32 s15, exec_lo, s16
; %bb.287:                              ;   in Loop: Header=BB79_2 Depth=1
	ds_load_u8 v91, v83 offset:1
	v_add_nc_u32_e32 v90, 1, v83
; %bb.288:                              ;   in Loop: Header=BB79_2 Depth=1
	s_wait_alu 0xfffe
	s_or_saveexec_b32 s15, s15
	v_mov_b32_e32 v88, v83
	v_mov_b32_e32 v92, v89
	s_wait_alu 0xfffe
	s_xor_b32 exec_lo, exec_lo, s15
	s_cbranch_execz .LBB79_1
; %bb.289:                              ;   in Loop: Header=BB79_2 Depth=1
	ds_load_u8 v92, v87 offset:1
	s_wait_dscnt 0x1
	v_dual_mov_b32 v88, v87 :: v_dual_add_nc_u32 v91, 1, v87
	s_delay_alu instid0(VALU_DEP_1)
	v_dual_mov_b32 v90, v83 :: v_dual_mov_b32 v87, v91
	v_mov_b32_e32 v91, v86
	s_branch .LBB79_1
.LBB79_290:
	s_add_nc_u64 s[0:1], s[46:47], s[48:49]
	v_add_nc_u16 v2, v83, v58
	s_wait_alu 0xfffe
	v_add_co_u32 v0, s0, s0, v0
	s_wait_alu 0xf1ff
	v_add_co_ci_u32_e64 v1, null, s1, 0, s0
	v_add_nc_u16 v5, v68, v62
	v_add_nc_u16 v6, v69, v66
	;; [unrolled: 1-line block ×7, first 2 shown]
	s_clause 0x7
	global_store_b8 v[0:1], v2, off
	global_store_b8 v[0:1], v5, off offset:512
	global_store_b8 v[0:1], v6, off offset:1024
	global_store_b8 v[0:1], v7, off offset:1536
	global_store_b8 v[0:1], v8, off offset:2048
	global_store_b8 v[0:1], v9, off offset:2560
	global_store_b8 v[0:1], v4, off offset:3072
	global_store_b8 v[0:1], v3, off offset:3584
	s_endpgm
	.section	.rodata,"a",@progbits
	.p2align	6, 0x0
	.amdhsa_kernel _Z17sort_pairs_kernelIaLj512ELj8EN10test_utils4lessELj10EEvPKT_PS2_T2_
		.amdhsa_group_segment_fixed_size 4097
		.amdhsa_private_segment_fixed_size 0
		.amdhsa_kernarg_size 20
		.amdhsa_user_sgpr_count 2
		.amdhsa_user_sgpr_dispatch_ptr 0
		.amdhsa_user_sgpr_queue_ptr 0
		.amdhsa_user_sgpr_kernarg_segment_ptr 1
		.amdhsa_user_sgpr_dispatch_id 0
		.amdhsa_user_sgpr_private_segment_size 0
		.amdhsa_wavefront_size32 1
		.amdhsa_uses_dynamic_stack 0
		.amdhsa_enable_private_segment 0
		.amdhsa_system_sgpr_workgroup_id_x 1
		.amdhsa_system_sgpr_workgroup_id_y 0
		.amdhsa_system_sgpr_workgroup_id_z 0
		.amdhsa_system_sgpr_workgroup_info 0
		.amdhsa_system_vgpr_workitem_id 0
		.amdhsa_next_free_vgpr 93
		.amdhsa_next_free_sgpr 51
		.amdhsa_reserve_vcc 1
		.amdhsa_float_round_mode_32 0
		.amdhsa_float_round_mode_16_64 0
		.amdhsa_float_denorm_mode_32 3
		.amdhsa_float_denorm_mode_16_64 3
		.amdhsa_fp16_overflow 0
		.amdhsa_workgroup_processor_mode 1
		.amdhsa_memory_ordered 1
		.amdhsa_forward_progress 1
		.amdhsa_inst_pref_size 167
		.amdhsa_round_robin_scheduling 0
		.amdhsa_exception_fp_ieee_invalid_op 0
		.amdhsa_exception_fp_denorm_src 0
		.amdhsa_exception_fp_ieee_div_zero 0
		.amdhsa_exception_fp_ieee_overflow 0
		.amdhsa_exception_fp_ieee_underflow 0
		.amdhsa_exception_fp_ieee_inexact 0
		.amdhsa_exception_int_div_zero 0
	.end_amdhsa_kernel
	.section	.text._Z17sort_pairs_kernelIaLj512ELj8EN10test_utils4lessELj10EEvPKT_PS2_T2_,"axG",@progbits,_Z17sort_pairs_kernelIaLj512ELj8EN10test_utils4lessELj10EEvPKT_PS2_T2_,comdat
.Lfunc_end79:
	.size	_Z17sort_pairs_kernelIaLj512ELj8EN10test_utils4lessELj10EEvPKT_PS2_T2_, .Lfunc_end79-_Z17sort_pairs_kernelIaLj512ELj8EN10test_utils4lessELj10EEvPKT_PS2_T2_
                                        ; -- End function
	.set _Z17sort_pairs_kernelIaLj512ELj8EN10test_utils4lessELj10EEvPKT_PS2_T2_.num_vgpr, 93
	.set _Z17sort_pairs_kernelIaLj512ELj8EN10test_utils4lessELj10EEvPKT_PS2_T2_.num_agpr, 0
	.set _Z17sort_pairs_kernelIaLj512ELj8EN10test_utils4lessELj10EEvPKT_PS2_T2_.numbered_sgpr, 51
	.set _Z17sort_pairs_kernelIaLj512ELj8EN10test_utils4lessELj10EEvPKT_PS2_T2_.num_named_barrier, 0
	.set _Z17sort_pairs_kernelIaLj512ELj8EN10test_utils4lessELj10EEvPKT_PS2_T2_.private_seg_size, 0
	.set _Z17sort_pairs_kernelIaLj512ELj8EN10test_utils4lessELj10EEvPKT_PS2_T2_.uses_vcc, 1
	.set _Z17sort_pairs_kernelIaLj512ELj8EN10test_utils4lessELj10EEvPKT_PS2_T2_.uses_flat_scratch, 0
	.set _Z17sort_pairs_kernelIaLj512ELj8EN10test_utils4lessELj10EEvPKT_PS2_T2_.has_dyn_sized_stack, 0
	.set _Z17sort_pairs_kernelIaLj512ELj8EN10test_utils4lessELj10EEvPKT_PS2_T2_.has_recursion, 0
	.set _Z17sort_pairs_kernelIaLj512ELj8EN10test_utils4lessELj10EEvPKT_PS2_T2_.has_indirect_call, 0
	.section	.AMDGPU.csdata,"",@progbits
; Kernel info:
; codeLenInByte = 21288
; TotalNumSgprs: 53
; NumVgprs: 93
; ScratchSize: 0
; MemoryBound: 0
; FloatMode: 240
; IeeeMode: 1
; LDSByteSize: 4097 bytes/workgroup (compile time only)
; SGPRBlocks: 0
; VGPRBlocks: 11
; NumSGPRsForWavesPerEU: 53
; NumVGPRsForWavesPerEU: 93
; Occupancy: 16
; WaveLimiterHint : 1
; COMPUTE_PGM_RSRC2:SCRATCH_EN: 0
; COMPUTE_PGM_RSRC2:USER_SGPR: 2
; COMPUTE_PGM_RSRC2:TRAP_HANDLER: 0
; COMPUTE_PGM_RSRC2:TGID_X_EN: 1
; COMPUTE_PGM_RSRC2:TGID_Y_EN: 0
; COMPUTE_PGM_RSRC2:TGID_Z_EN: 0
; COMPUTE_PGM_RSRC2:TIDIG_COMP_CNT: 0
	.section	.text._Z16sort_keys_kernelIhLj64ELj1EN10test_utils4lessELj10EEvPKT_PS2_T2_,"axG",@progbits,_Z16sort_keys_kernelIhLj64ELj1EN10test_utils4lessELj10EEvPKT_PS2_T2_,comdat
	.protected	_Z16sort_keys_kernelIhLj64ELj1EN10test_utils4lessELj10EEvPKT_PS2_T2_ ; -- Begin function _Z16sort_keys_kernelIhLj64ELj1EN10test_utils4lessELj10EEvPKT_PS2_T2_
	.globl	_Z16sort_keys_kernelIhLj64ELj1EN10test_utils4lessELj10EEvPKT_PS2_T2_
	.p2align	8
	.type	_Z16sort_keys_kernelIhLj64ELj1EN10test_utils4lessELj10EEvPKT_PS2_T2_,@function
_Z16sort_keys_kernelIhLj64ELj1EN10test_utils4lessELj10EEvPKT_PS2_T2_: ; @_Z16sort_keys_kernelIhLj64ELj1EN10test_utils4lessELj10EEvPKT_PS2_T2_
; %bb.0:
	s_load_b128 s[8:11], s[0:1], 0x0
	s_lshl_b32 s12, ttmp9, 6
	s_mov_b32 s13, 0
	v_and_b32_e32 v13, 1, v0
	v_and_b32_e32 v6, 56, v0
	;; [unrolled: 1-line block ×5, first 2 shown]
	v_add_nc_u32_e32 v7, -1, v13
	v_cmp_lt_i32_e32 vcc_lo, 0, v13
	v_and_b32_e32 v2, 60, v0
	v_or_b32_e32 v22, 4, v6
	v_add_nc_u32_e32 v10, 8, v6
	v_or_b32_e32 v32, 16, v17
	v_cndmask_b32_e32 v7, 0, v7, vcc_lo
	v_or_b32_e32 v14, 2, v2
	v_add_nc_u32_e32 v4, 4, v2
	v_sub_nc_u32_e32 v18, v10, v22
	v_add_nc_u32_e32 v21, 32, v17
	v_and_b32_e32 v33, 15, v0
	s_wait_kmcnt 0x0
	s_add_nc_u64 s[0:1], s[8:9], s[12:13]
	v_sub_nc_u32_e32 v11, v4, v14
	global_load_u8 v34, v0, s[0:1]
	v_sub_nc_u32_e32 v9, v14, v2
	v_add_nc_u32_e32 v14, v14, v15
	v_sub_nc_u32_e32 v19, v23, v18
	v_sub_nc_u32_e32 v12, v15, v11
	v_cmp_ge_i32_e32 vcc_lo, v15, v11
	v_cmp_ge_i32_e64 s1, v23, v18
	v_and_b32_e32 v1, 62, v0
	v_sub_nc_u32_e32 v16, v22, v6
	v_and_b32_e32 v35, 31, v0
	s_wait_alu 0xfffd
	v_cndmask_b32_e32 v11, 0, v12, vcc_lo
	v_min_i32_e32 v12, v15, v9
	v_and_b32_e32 v15, 48, v0
	v_cndmask_b32_e64 v18, 0, v19, s1
	v_sub_nc_u32_e32 v27, v21, v32
	v_or_b32_e32 v3, 1, v1
	v_min_i32_e32 v20, v23, v16
	v_or_b32_e32 v31, 8, v15
	v_add_nc_u32_e32 v19, 16, v15
	v_add_nc_u32_e32 v22, v22, v23
	v_sub_nc_u32_e32 v24, v32, v17
	v_sub_nc_u32_e32 v28, v35, v27
	;; [unrolled: 1-line block ×5, first 2 shown]
	v_sub_nc_u32_e64 v29, v0, 32 clamp
	v_min_i32_e32 v30, 32, v0
	v_cmp_lt_i32_e64 s0, v11, v12
	v_sub_nc_u32_e32 v26, v33, v25
	v_cmp_ge_i32_e64 s2, v33, v25
	v_min_i32_e32 v8, v13, v5
	v_add_nc_u32_e32 v13, v3, v13
	v_cmp_lt_i32_e64 s1, v18, v20
	v_add_nc_u32_e32 v31, v31, v33
	v_cndmask_b32_e64 v25, 0, v26, s2
	v_cmp_ge_i32_e64 s2, v35, v27
	v_min_i32_e32 v26, v33, v23
	v_add_nc_u32_e32 v32, v32, v35
	v_cmp_lt_i32_e64 s4, v29, v30
	v_add_nc_u32_e32 v33, 32, v0
	s_wait_alu 0xf1ff
	v_cndmask_b32_e64 v27, 0, v28, s2
	v_min_i32_e32 v28, v35, v24
	v_cmp_lt_i32_e64 s2, v25, v26
	s_mov_b32 s8, s13
	v_cmp_lt_i32_e32 vcc_lo, v7, v8
	v_cmp_lt_i32_e64 s3, v27, v28
	s_branch .LBB80_2
.LBB80_1:                               ;   in Loop: Header=BB80_2 Depth=1
	s_or_b32 exec_lo, exec_lo, s6
	v_sub_nc_u32_e32 v35, v33, v34
	v_cmp_le_i32_e64 s5, 32, v34
	s_add_co_i32 s8, s8, 1
	ds_load_u8 v36, v34
	ds_load_u8 v37, v35
	v_cmp_gt_i32_e64 s7, 64, v35
	s_wait_dscnt 0x1
	v_and_b32_e32 v38, 0xff, v36
	s_wait_dscnt 0x0
	v_and_b32_e32 v39, 0xff, v37
	s_delay_alu instid0(VALU_DEP_1)
	v_cmp_lt_u16_e64 s6, v39, v38
	s_or_b32 s5, s5, s6
	s_wait_alu 0xfffe
	s_and_b32 s5, s7, s5
	s_cmp_eq_u32 s8, 10
	s_wait_alu 0xfffe
	v_cndmask_b32_e64 v34, v36, v37, s5
	s_cbranch_scc1 .LBB80_26
.LBB80_2:                               ; =>This Loop Header: Depth=1
                                        ;     Child Loop BB80_4 Depth 2
                                        ;     Child Loop BB80_8 Depth 2
	;; [unrolled: 1-line block ×6, first 2 shown]
	s_wait_loadcnt 0x0
	s_barrier_signal -1
	s_barrier_wait -1
	global_inv scope:SCOPE_SE
	ds_store_b8 v0, v34
	v_mov_b32_e32 v34, v7
	s_wait_loadcnt_dscnt 0x0
	s_barrier_signal -1
	s_barrier_wait -1
	global_inv scope:SCOPE_SE
	s_and_saveexec_b32 s6, vcc_lo
	s_cbranch_execz .LBB80_6
; %bb.3:                                ;   in Loop: Header=BB80_2 Depth=1
	v_dual_mov_b32 v34, v7 :: v_dual_mov_b32 v35, v8
	s_mov_b32 s7, 0
.LBB80_4:                               ;   Parent Loop BB80_2 Depth=1
                                        ; =>  This Inner Loop Header: Depth=2
	s_delay_alu instid0(VALU_DEP_1) | instskip(NEXT) | instid1(VALU_DEP_1)
	v_sub_nc_u32_e32 v36, v35, v34
	v_lshrrev_b32_e32 v36, 1, v36
	s_delay_alu instid0(VALU_DEP_1) | instskip(NEXT) | instid1(VALU_DEP_1)
	v_add_nc_u32_e32 v36, v36, v34
	v_add_nc_u32_e32 v37, v1, v36
	v_xad_u32 v38, v36, -1, v13
	v_add_nc_u32_e32 v39, 1, v36
	ds_load_u8 v37, v37
	ds_load_u8 v38, v38
	s_wait_dscnt 0x0
	v_cmp_lt_u16_e64 s5, v38, v37
	s_wait_alu 0xf1ff
	s_delay_alu instid0(VALU_DEP_1) | instskip(SKIP_1) | instid1(VALU_DEP_1)
	v_cndmask_b32_e64 v35, v35, v36, s5
	v_cndmask_b32_e64 v34, v39, v34, s5
	v_cmp_ge_i32_e64 s5, v34, v35
	s_or_b32 s7, s5, s7
	s_delay_alu instid0(SALU_CYCLE_1)
	s_and_not1_b32 exec_lo, exec_lo, s7
	s_cbranch_execnz .LBB80_4
; %bb.5:                                ;   in Loop: Header=BB80_2 Depth=1
	s_or_b32 exec_lo, exec_lo, s7
.LBB80_6:                               ;   in Loop: Header=BB80_2 Depth=1
	s_delay_alu instid0(SALU_CYCLE_1)
	s_or_b32 exec_lo, exec_lo, s6
	v_add_nc_u32_e32 v35, v1, v34
	v_sub_nc_u32_e32 v36, v13, v34
	v_cmp_ge_i32_e64 s5, v34, v5
	v_mov_b32_e32 v34, v11
	ds_load_u8 v35, v35
	ds_load_u8 v37, v36
	v_cmp_ge_i32_e64 s7, v3, v36
	s_wait_loadcnt_dscnt 0x0
	s_barrier_signal -1
	s_barrier_wait -1
	global_inv scope:SCOPE_SE
	v_and_b32_e32 v38, 0xff, v35
	v_and_b32_e32 v39, 0xff, v37
	s_delay_alu instid0(VALU_DEP_1)
	v_cmp_lt_u16_e64 s6, v39, v38
	s_or_b32 s5, s5, s6
	s_wait_alu 0xfffe
	s_and_b32 s5, s7, s5
	s_wait_alu 0xfffe
	v_cndmask_b32_e64 v35, v35, v37, s5
	ds_store_b8 v0, v35
	s_wait_loadcnt_dscnt 0x0
	s_barrier_signal -1
	s_barrier_wait -1
	global_inv scope:SCOPE_SE
	s_and_saveexec_b32 s6, s0
	s_cbranch_execz .LBB80_10
; %bb.7:                                ;   in Loop: Header=BB80_2 Depth=1
	v_dual_mov_b32 v34, v11 :: v_dual_mov_b32 v35, v12
	s_mov_b32 s7, 0
.LBB80_8:                               ;   Parent Loop BB80_2 Depth=1
                                        ; =>  This Inner Loop Header: Depth=2
	s_delay_alu instid0(VALU_DEP_1) | instskip(NEXT) | instid1(VALU_DEP_1)
	v_sub_nc_u32_e32 v36, v35, v34
	v_lshrrev_b32_e32 v36, 1, v36
	s_delay_alu instid0(VALU_DEP_1) | instskip(NEXT) | instid1(VALU_DEP_1)
	v_add_nc_u32_e32 v36, v36, v34
	v_add_nc_u32_e32 v37, v2, v36
	v_xad_u32 v38, v36, -1, v14
	v_add_nc_u32_e32 v39, 1, v36
	ds_load_u8 v37, v37
	ds_load_u8 v38, v38
	s_wait_dscnt 0x0
	v_cmp_lt_u16_e64 s5, v38, v37
	s_wait_alu 0xf1ff
	s_delay_alu instid0(VALU_DEP_1) | instskip(SKIP_1) | instid1(VALU_DEP_1)
	v_cndmask_b32_e64 v35, v35, v36, s5
	v_cndmask_b32_e64 v34, v39, v34, s5
	v_cmp_ge_i32_e64 s5, v34, v35
	s_or_b32 s7, s5, s7
	s_delay_alu instid0(SALU_CYCLE_1)
	s_and_not1_b32 exec_lo, exec_lo, s7
	s_cbranch_execnz .LBB80_8
; %bb.9:                                ;   in Loop: Header=BB80_2 Depth=1
	s_or_b32 exec_lo, exec_lo, s7
.LBB80_10:                              ;   in Loop: Header=BB80_2 Depth=1
	s_delay_alu instid0(SALU_CYCLE_1)
	s_or_b32 exec_lo, exec_lo, s6
	v_add_nc_u32_e32 v35, v2, v34
	v_sub_nc_u32_e32 v36, v14, v34
	v_cmp_ge_i32_e64 s5, v34, v9
	ds_load_u8 v35, v35
	ds_load_u8 v37, v36
	v_cmp_gt_i32_e64 s7, v4, v36
	s_wait_loadcnt_dscnt 0x0
	s_barrier_signal -1
	s_barrier_wait -1
	global_inv scope:SCOPE_SE
	v_mov_b32_e32 v34, v18
	v_and_b32_e32 v38, 0xff, v35
	v_and_b32_e32 v39, 0xff, v37
	s_delay_alu instid0(VALU_DEP_1)
	v_cmp_lt_u16_e64 s6, v39, v38
	s_or_b32 s5, s5, s6
	s_wait_alu 0xfffe
	s_and_b32 s5, s7, s5
	s_wait_alu 0xfffe
	v_cndmask_b32_e64 v35, v35, v37, s5
	ds_store_b8 v0, v35
	s_wait_loadcnt_dscnt 0x0
	s_barrier_signal -1
	s_barrier_wait -1
	global_inv scope:SCOPE_SE
	s_and_saveexec_b32 s6, s1
	s_cbranch_execz .LBB80_14
; %bb.11:                               ;   in Loop: Header=BB80_2 Depth=1
	v_dual_mov_b32 v34, v18 :: v_dual_mov_b32 v35, v20
	s_mov_b32 s7, 0
.LBB80_12:                              ;   Parent Loop BB80_2 Depth=1
                                        ; =>  This Inner Loop Header: Depth=2
	s_delay_alu instid0(VALU_DEP_1) | instskip(NEXT) | instid1(VALU_DEP_1)
	v_sub_nc_u32_e32 v36, v35, v34
	v_lshrrev_b32_e32 v36, 1, v36
	s_delay_alu instid0(VALU_DEP_1) | instskip(NEXT) | instid1(VALU_DEP_1)
	v_add_nc_u32_e32 v36, v36, v34
	v_add_nc_u32_e32 v37, v6, v36
	v_xad_u32 v38, v36, -1, v22
	v_add_nc_u32_e32 v39, 1, v36
	ds_load_u8 v37, v37
	ds_load_u8 v38, v38
	s_wait_dscnt 0x0
	v_cmp_lt_u16_e64 s5, v38, v37
	s_wait_alu 0xf1ff
	s_delay_alu instid0(VALU_DEP_1) | instskip(SKIP_1) | instid1(VALU_DEP_1)
	v_cndmask_b32_e64 v35, v35, v36, s5
	v_cndmask_b32_e64 v34, v39, v34, s5
	v_cmp_ge_i32_e64 s5, v34, v35
	s_or_b32 s7, s5, s7
	s_delay_alu instid0(SALU_CYCLE_1)
	s_and_not1_b32 exec_lo, exec_lo, s7
	s_cbranch_execnz .LBB80_12
; %bb.13:                               ;   in Loop: Header=BB80_2 Depth=1
	s_or_b32 exec_lo, exec_lo, s7
.LBB80_14:                              ;   in Loop: Header=BB80_2 Depth=1
	s_delay_alu instid0(SALU_CYCLE_1)
	s_or_b32 exec_lo, exec_lo, s6
	v_add_nc_u32_e32 v35, v6, v34
	v_sub_nc_u32_e32 v36, v22, v34
	v_cmp_ge_i32_e64 s5, v34, v16
	v_mov_b32_e32 v34, v25
	ds_load_u8 v35, v35
	ds_load_u8 v37, v36
	v_cmp_gt_i32_e64 s7, v10, v36
	s_wait_loadcnt_dscnt 0x0
	s_barrier_signal -1
	s_barrier_wait -1
	global_inv scope:SCOPE_SE
	v_and_b32_e32 v38, 0xff, v35
	v_and_b32_e32 v39, 0xff, v37
	s_delay_alu instid0(VALU_DEP_1)
	v_cmp_lt_u16_e64 s6, v39, v38
	s_or_b32 s5, s5, s6
	s_wait_alu 0xfffe
	s_and_b32 s5, s7, s5
	s_wait_alu 0xfffe
	v_cndmask_b32_e64 v35, v35, v37, s5
	ds_store_b8 v0, v35
	s_wait_loadcnt_dscnt 0x0
	s_barrier_signal -1
	s_barrier_wait -1
	global_inv scope:SCOPE_SE
	s_and_saveexec_b32 s6, s2
	s_cbranch_execz .LBB80_18
; %bb.15:                               ;   in Loop: Header=BB80_2 Depth=1
	v_dual_mov_b32 v34, v25 :: v_dual_mov_b32 v35, v26
	s_mov_b32 s7, 0
.LBB80_16:                              ;   Parent Loop BB80_2 Depth=1
                                        ; =>  This Inner Loop Header: Depth=2
	s_delay_alu instid0(VALU_DEP_1) | instskip(NEXT) | instid1(VALU_DEP_1)
	v_sub_nc_u32_e32 v36, v35, v34
	v_lshrrev_b32_e32 v36, 1, v36
	s_delay_alu instid0(VALU_DEP_1) | instskip(NEXT) | instid1(VALU_DEP_1)
	v_add_nc_u32_e32 v36, v36, v34
	v_add_nc_u32_e32 v37, v15, v36
	v_xad_u32 v38, v36, -1, v31
	v_add_nc_u32_e32 v39, 1, v36
	ds_load_u8 v37, v37
	ds_load_u8 v38, v38
	s_wait_dscnt 0x0
	v_cmp_lt_u16_e64 s5, v38, v37
	s_wait_alu 0xf1ff
	s_delay_alu instid0(VALU_DEP_1) | instskip(SKIP_1) | instid1(VALU_DEP_1)
	v_cndmask_b32_e64 v35, v35, v36, s5
	v_cndmask_b32_e64 v34, v39, v34, s5
	v_cmp_ge_i32_e64 s5, v34, v35
	s_or_b32 s7, s5, s7
	s_delay_alu instid0(SALU_CYCLE_1)
	s_and_not1_b32 exec_lo, exec_lo, s7
	s_cbranch_execnz .LBB80_16
; %bb.17:                               ;   in Loop: Header=BB80_2 Depth=1
	s_or_b32 exec_lo, exec_lo, s7
.LBB80_18:                              ;   in Loop: Header=BB80_2 Depth=1
	s_delay_alu instid0(SALU_CYCLE_1)
	s_or_b32 exec_lo, exec_lo, s6
	v_add_nc_u32_e32 v35, v15, v34
	v_sub_nc_u32_e32 v36, v31, v34
	v_cmp_ge_i32_e64 s5, v34, v23
	ds_load_u8 v35, v35
	ds_load_u8 v37, v36
	v_cmp_gt_i32_e64 s7, v19, v36
	s_wait_loadcnt_dscnt 0x0
	s_barrier_signal -1
	s_barrier_wait -1
	global_inv scope:SCOPE_SE
	v_mov_b32_e32 v34, v27
	v_and_b32_e32 v38, 0xff, v35
	v_and_b32_e32 v39, 0xff, v37
	s_delay_alu instid0(VALU_DEP_1)
	v_cmp_lt_u16_e64 s6, v39, v38
	s_or_b32 s5, s5, s6
	s_wait_alu 0xfffe
	s_and_b32 s5, s7, s5
	s_wait_alu 0xfffe
	v_cndmask_b32_e64 v35, v35, v37, s5
	ds_store_b8 v0, v35
	s_wait_loadcnt_dscnt 0x0
	s_barrier_signal -1
	s_barrier_wait -1
	global_inv scope:SCOPE_SE
	s_and_saveexec_b32 s6, s3
	s_cbranch_execz .LBB80_22
; %bb.19:                               ;   in Loop: Header=BB80_2 Depth=1
	v_dual_mov_b32 v34, v27 :: v_dual_mov_b32 v35, v28
	s_mov_b32 s7, 0
.LBB80_20:                              ;   Parent Loop BB80_2 Depth=1
                                        ; =>  This Inner Loop Header: Depth=2
	s_delay_alu instid0(VALU_DEP_1) | instskip(NEXT) | instid1(VALU_DEP_1)
	v_sub_nc_u32_e32 v36, v35, v34
	v_lshrrev_b32_e32 v36, 1, v36
	s_delay_alu instid0(VALU_DEP_1) | instskip(NEXT) | instid1(VALU_DEP_1)
	v_add_nc_u32_e32 v36, v36, v34
	v_add_nc_u32_e32 v37, v17, v36
	v_xad_u32 v38, v36, -1, v32
	v_add_nc_u32_e32 v39, 1, v36
	ds_load_u8 v37, v37
	ds_load_u8 v38, v38
	s_wait_dscnt 0x0
	v_cmp_lt_u16_e64 s5, v38, v37
	s_wait_alu 0xf1ff
	s_delay_alu instid0(VALU_DEP_1) | instskip(SKIP_1) | instid1(VALU_DEP_1)
	v_cndmask_b32_e64 v35, v35, v36, s5
	v_cndmask_b32_e64 v34, v39, v34, s5
	v_cmp_ge_i32_e64 s5, v34, v35
	s_or_b32 s7, s5, s7
	s_delay_alu instid0(SALU_CYCLE_1)
	s_and_not1_b32 exec_lo, exec_lo, s7
	s_cbranch_execnz .LBB80_20
; %bb.21:                               ;   in Loop: Header=BB80_2 Depth=1
	s_or_b32 exec_lo, exec_lo, s7
.LBB80_22:                              ;   in Loop: Header=BB80_2 Depth=1
	s_delay_alu instid0(SALU_CYCLE_1)
	s_or_b32 exec_lo, exec_lo, s6
	v_add_nc_u32_e32 v35, v17, v34
	v_sub_nc_u32_e32 v36, v32, v34
	v_cmp_ge_i32_e64 s5, v34, v24
	ds_load_u8 v35, v35
	ds_load_u8 v37, v36
	v_cmp_gt_i32_e64 s7, v21, v36
	s_wait_loadcnt_dscnt 0x0
	s_barrier_signal -1
	s_barrier_wait -1
	global_inv scope:SCOPE_SE
	v_mov_b32_e32 v34, v29
	v_and_b32_e32 v38, 0xff, v35
	v_and_b32_e32 v39, 0xff, v37
	s_delay_alu instid0(VALU_DEP_1)
	v_cmp_lt_u16_e64 s6, v39, v38
	s_or_b32 s5, s5, s6
	s_wait_alu 0xfffe
	s_and_b32 s5, s7, s5
	s_wait_alu 0xfffe
	v_cndmask_b32_e64 v35, v35, v37, s5
	ds_store_b8 v0, v35
	s_wait_loadcnt_dscnt 0x0
	s_barrier_signal -1
	s_barrier_wait -1
	global_inv scope:SCOPE_SE
	s_and_saveexec_b32 s6, s4
	s_cbranch_execz .LBB80_1
; %bb.23:                               ;   in Loop: Header=BB80_2 Depth=1
	v_dual_mov_b32 v34, v29 :: v_dual_mov_b32 v35, v30
	s_mov_b32 s7, 0
.LBB80_24:                              ;   Parent Loop BB80_2 Depth=1
                                        ; =>  This Inner Loop Header: Depth=2
	s_delay_alu instid0(VALU_DEP_1) | instskip(NEXT) | instid1(VALU_DEP_1)
	v_sub_nc_u32_e32 v36, v35, v34
	v_lshrrev_b32_e32 v36, 1, v36
	s_delay_alu instid0(VALU_DEP_1) | instskip(NEXT) | instid1(VALU_DEP_1)
	v_add_nc_u32_e32 v36, v36, v34
	v_xad_u32 v37, v36, -1, v33
	v_add_nc_u32_e32 v39, 1, v36
	ds_load_u8 v38, v36
	ds_load_u8 v37, v37
	s_wait_dscnt 0x0
	v_cmp_lt_u16_e64 s5, v37, v38
	s_wait_alu 0xf1ff
	s_delay_alu instid0(VALU_DEP_1) | instskip(SKIP_1) | instid1(VALU_DEP_1)
	v_cndmask_b32_e64 v35, v35, v36, s5
	v_cndmask_b32_e64 v34, v39, v34, s5
	v_cmp_ge_i32_e64 s5, v34, v35
	s_or_b32 s7, s5, s7
	s_delay_alu instid0(SALU_CYCLE_1)
	s_and_not1_b32 exec_lo, exec_lo, s7
	s_cbranch_execnz .LBB80_24
; %bb.25:                               ;   in Loop: Header=BB80_2 Depth=1
	s_or_b32 exec_lo, exec_lo, s7
	s_branch .LBB80_1
.LBB80_26:
	s_add_nc_u64 s[0:1], s[10:11], s[12:13]
	s_wait_alu 0xfffe
	v_add_co_u32 v0, s0, s0, v0
	s_wait_alu 0xf1ff
	v_add_co_ci_u32_e64 v1, null, s1, 0, s0
	global_store_b8 v[0:1], v34, off
	s_endpgm
	.section	.rodata,"a",@progbits
	.p2align	6, 0x0
	.amdhsa_kernel _Z16sort_keys_kernelIhLj64ELj1EN10test_utils4lessELj10EEvPKT_PS2_T2_
		.amdhsa_group_segment_fixed_size 65
		.amdhsa_private_segment_fixed_size 0
		.amdhsa_kernarg_size 20
		.amdhsa_user_sgpr_count 2
		.amdhsa_user_sgpr_dispatch_ptr 0
		.amdhsa_user_sgpr_queue_ptr 0
		.amdhsa_user_sgpr_kernarg_segment_ptr 1
		.amdhsa_user_sgpr_dispatch_id 0
		.amdhsa_user_sgpr_private_segment_size 0
		.amdhsa_wavefront_size32 1
		.amdhsa_uses_dynamic_stack 0
		.amdhsa_enable_private_segment 0
		.amdhsa_system_sgpr_workgroup_id_x 1
		.amdhsa_system_sgpr_workgroup_id_y 0
		.amdhsa_system_sgpr_workgroup_id_z 0
		.amdhsa_system_sgpr_workgroup_info 0
		.amdhsa_system_vgpr_workitem_id 0
		.amdhsa_next_free_vgpr 40
		.amdhsa_next_free_sgpr 14
		.amdhsa_reserve_vcc 1
		.amdhsa_float_round_mode_32 0
		.amdhsa_float_round_mode_16_64 0
		.amdhsa_float_denorm_mode_32 3
		.amdhsa_float_denorm_mode_16_64 3
		.amdhsa_fp16_overflow 0
		.amdhsa_workgroup_processor_mode 1
		.amdhsa_memory_ordered 1
		.amdhsa_forward_progress 1
		.amdhsa_inst_pref_size 18
		.amdhsa_round_robin_scheduling 0
		.amdhsa_exception_fp_ieee_invalid_op 0
		.amdhsa_exception_fp_denorm_src 0
		.amdhsa_exception_fp_ieee_div_zero 0
		.amdhsa_exception_fp_ieee_overflow 0
		.amdhsa_exception_fp_ieee_underflow 0
		.amdhsa_exception_fp_ieee_inexact 0
		.amdhsa_exception_int_div_zero 0
	.end_amdhsa_kernel
	.section	.text._Z16sort_keys_kernelIhLj64ELj1EN10test_utils4lessELj10EEvPKT_PS2_T2_,"axG",@progbits,_Z16sort_keys_kernelIhLj64ELj1EN10test_utils4lessELj10EEvPKT_PS2_T2_,comdat
.Lfunc_end80:
	.size	_Z16sort_keys_kernelIhLj64ELj1EN10test_utils4lessELj10EEvPKT_PS2_T2_, .Lfunc_end80-_Z16sort_keys_kernelIhLj64ELj1EN10test_utils4lessELj10EEvPKT_PS2_T2_
                                        ; -- End function
	.set _Z16sort_keys_kernelIhLj64ELj1EN10test_utils4lessELj10EEvPKT_PS2_T2_.num_vgpr, 40
	.set _Z16sort_keys_kernelIhLj64ELj1EN10test_utils4lessELj10EEvPKT_PS2_T2_.num_agpr, 0
	.set _Z16sort_keys_kernelIhLj64ELj1EN10test_utils4lessELj10EEvPKT_PS2_T2_.numbered_sgpr, 14
	.set _Z16sort_keys_kernelIhLj64ELj1EN10test_utils4lessELj10EEvPKT_PS2_T2_.num_named_barrier, 0
	.set _Z16sort_keys_kernelIhLj64ELj1EN10test_utils4lessELj10EEvPKT_PS2_T2_.private_seg_size, 0
	.set _Z16sort_keys_kernelIhLj64ELj1EN10test_utils4lessELj10EEvPKT_PS2_T2_.uses_vcc, 1
	.set _Z16sort_keys_kernelIhLj64ELj1EN10test_utils4lessELj10EEvPKT_PS2_T2_.uses_flat_scratch, 0
	.set _Z16sort_keys_kernelIhLj64ELj1EN10test_utils4lessELj10EEvPKT_PS2_T2_.has_dyn_sized_stack, 0
	.set _Z16sort_keys_kernelIhLj64ELj1EN10test_utils4lessELj10EEvPKT_PS2_T2_.has_recursion, 0
	.set _Z16sort_keys_kernelIhLj64ELj1EN10test_utils4lessELj10EEvPKT_PS2_T2_.has_indirect_call, 0
	.section	.AMDGPU.csdata,"",@progbits
; Kernel info:
; codeLenInByte = 2180
; TotalNumSgprs: 16
; NumVgprs: 40
; ScratchSize: 0
; MemoryBound: 0
; FloatMode: 240
; IeeeMode: 1
; LDSByteSize: 65 bytes/workgroup (compile time only)
; SGPRBlocks: 0
; VGPRBlocks: 4
; NumSGPRsForWavesPerEU: 16
; NumVGPRsForWavesPerEU: 40
; Occupancy: 16
; WaveLimiterHint : 0
; COMPUTE_PGM_RSRC2:SCRATCH_EN: 0
; COMPUTE_PGM_RSRC2:USER_SGPR: 2
; COMPUTE_PGM_RSRC2:TRAP_HANDLER: 0
; COMPUTE_PGM_RSRC2:TGID_X_EN: 1
; COMPUTE_PGM_RSRC2:TGID_Y_EN: 0
; COMPUTE_PGM_RSRC2:TGID_Z_EN: 0
; COMPUTE_PGM_RSRC2:TIDIG_COMP_CNT: 0
	.section	.text._Z17sort_pairs_kernelIhLj64ELj1EN10test_utils4lessELj10EEvPKT_PS2_T2_,"axG",@progbits,_Z17sort_pairs_kernelIhLj64ELj1EN10test_utils4lessELj10EEvPKT_PS2_T2_,comdat
	.protected	_Z17sort_pairs_kernelIhLj64ELj1EN10test_utils4lessELj10EEvPKT_PS2_T2_ ; -- Begin function _Z17sort_pairs_kernelIhLj64ELj1EN10test_utils4lessELj10EEvPKT_PS2_T2_
	.globl	_Z17sort_pairs_kernelIhLj64ELj1EN10test_utils4lessELj10EEvPKT_PS2_T2_
	.p2align	8
	.type	_Z17sort_pairs_kernelIhLj64ELj1EN10test_utils4lessELj10EEvPKT_PS2_T2_,@function
_Z17sort_pairs_kernelIhLj64ELj1EN10test_utils4lessELj10EEvPKT_PS2_T2_: ; @_Z17sort_pairs_kernelIhLj64ELj1EN10test_utils4lessELj10EEvPKT_PS2_T2_
; %bb.0:
	s_load_b128 s[8:11], s[0:1], 0x0
	s_lshl_b32 s12, ttmp9, 6
	s_mov_b32 s13, 0
	v_and_b32_e32 v2, 60, v0
	v_and_b32_e32 v1, 62, v0
	v_and_b32_e32 v23, 1, v0
	v_and_b32_e32 v3, 56, v0
	v_and_b32_e32 v28, 3, v0
	v_or_b32_e32 v9, 2, v2
	v_add_nc_u32_e32 v10, 4, v2
	v_and_b32_e32 v4, 48, v0
	v_or_b32_e32 v8, 1, v1
	v_add_nc_u32_e32 v17, -1, v23
	v_or_b32_e32 v11, 4, v3
	v_add_nc_u32_e32 v12, 8, v3
	v_sub_nc_u32_e32 v32, v10, v9
	v_and_b32_e32 v29, 7, v0
	v_and_b32_e32 v5, 32, v0
	v_or_b32_e32 v13, 8, v4
	v_add_nc_u32_e32 v14, 16, v4
	s_wait_kmcnt 0x0
	s_add_nc_u64 s[0:1], s[8:9], s[12:13]
	v_sub_nc_u32_e32 v24, v8, v1
	global_load_u8 v33, v0, s[0:1]
	v_cmp_lt_i32_e64 s0, 0, v23
	v_sub_nc_u32_e32 v25, v9, v2
	v_sub_nc_u32_e32 v34, v12, v11
	;; [unrolled: 1-line block ×3, first 2 shown]
	v_and_b32_e32 v30, 15, v0
	v_cndmask_b32_e64 v17, 0, v17, s0
	v_cmp_ge_i32_e64 s0, v28, v32
	v_or_b32_e32 v15, 16, v5
	v_add_nc_u32_e32 v16, 32, v5
	v_add_nc_u32_e32 v18, v8, v23
	;; [unrolled: 1-line block ×3, first 2 shown]
	v_sub_nc_u32_e32 v26, v11, v3
	v_sub_nc_u32_e32 v35, v14, v13
	v_min_i32_e32 v23, v23, v24
	v_min_i32_e32 v24, v28, v25
	v_sub_nc_u32_e32 v39, v29, v34
	s_wait_alu 0xf1ff
	v_cndmask_b32_e64 v28, 0, v38, s0
	v_cmp_ge_i32_e64 s0, v29, v34
	v_and_b32_e32 v31, 31, v0
	v_add_nc_u32_e32 v20, v11, v29
	v_sub_nc_u32_e32 v27, v13, v4
	v_sub_nc_u32_e32 v37, v16, v15
	v_min_i32_e32 v25, v29, v26
	v_sub_nc_u32_e32 v40, v30, v35
	s_wait_alu 0xf1ff
	v_cndmask_b32_e64 v29, 0, v39, s0
	v_cmp_ge_i32_e64 s0, v30, v35
	v_add_nc_u32_e32 v21, v13, v30
	v_sub_nc_u32_e32 v36, v15, v5
	v_min_i32_e32 v26, v30, v27
	v_sub_nc_u32_e32 v41, v31, v37
	s_wait_alu 0xf1ff
	v_cndmask_b32_e64 v30, 0, v40, s0
	v_cmp_ge_i32_e64 s0, v31, v37
	v_add_nc_u32_e32 v22, v15, v31
	v_min_i32_e32 v27, v31, v36
	v_sub_nc_u32_e64 v6, v0, 32 clamp
	v_min_i32_e32 v7, 32, v0
	s_wait_alu 0xf1ff
	v_cndmask_b32_e64 v31, 0, v41, s0
	v_cmp_lt_i32_e64 s0, v17, v23
	v_cmp_lt_i32_e64 s1, v28, v24
	;; [unrolled: 1-line block ×5, first 2 shown]
	v_add_nc_u32_e32 v32, 32, v0
	s_mov_b32 s8, s13
	v_cmp_lt_i32_e32 vcc_lo, v6, v7
	s_wait_loadcnt 0x0
	v_add_nc_u16 v34, v33, 1
	s_branch .LBB81_2
.LBB81_1:                               ;   in Loop: Header=BB81_2 Depth=1
	s_or_b32 exec_lo, exec_lo, s6
	v_sub_nc_u32_e32 v36, v32, v35
	v_cmp_le_i32_e64 s5, 32, v35
	s_add_co_i32 s8, s8, 1
	ds_load_u8 v33, v35
	ds_load_u8 v37, v36
	v_cmp_gt_i32_e64 s7, 64, v36
	s_wait_loadcnt_dscnt 0x0
	s_barrier_signal -1
	s_barrier_wait -1
	global_inv scope:SCOPE_SE
	ds_store_b8 v0, v34
	s_wait_loadcnt_dscnt 0x0
	s_barrier_signal -1
	s_barrier_wait -1
	global_inv scope:SCOPE_SE
	v_and_b32_e32 v38, 0xff, v33
	v_and_b32_e32 v39, 0xff, v37
	s_delay_alu instid0(VALU_DEP_1)
	v_cmp_lt_u16_e64 s6, v39, v38
	s_or_b32 s5, s5, s6
	s_wait_alu 0xfffe
	s_and_b32 s5, s7, s5
	s_cmp_eq_u32 s8, 10
	s_wait_alu 0xfffe
	v_cndmask_b32_e64 v35, v35, v36, s5
	v_cndmask_b32_e64 v33, v33, v37, s5
	ds_load_u8 v34, v35
	s_cbranch_scc1 .LBB81_26
.LBB81_2:                               ; =>This Loop Header: Depth=1
                                        ;     Child Loop BB81_4 Depth 2
                                        ;     Child Loop BB81_8 Depth 2
	;; [unrolled: 1-line block ×6, first 2 shown]
	s_barrier_signal -1
	s_barrier_wait -1
	global_inv scope:SCOPE_SE
	ds_store_b8 v0, v33
	v_mov_b32_e32 v33, v17
	s_wait_loadcnt_dscnt 0x0
	s_barrier_signal -1
	s_barrier_wait -1
	global_inv scope:SCOPE_SE
	s_and_saveexec_b32 s6, s0
	s_cbranch_execz .LBB81_6
; %bb.3:                                ;   in Loop: Header=BB81_2 Depth=1
	v_mov_b32_e32 v33, v17
	v_mov_b32_e32 v35, v23
	s_mov_b32 s7, 0
.LBB81_4:                               ;   Parent Loop BB81_2 Depth=1
                                        ; =>  This Inner Loop Header: Depth=2
	s_delay_alu instid0(VALU_DEP_1) | instskip(NEXT) | instid1(VALU_DEP_1)
	v_sub_nc_u32_e32 v36, v35, v33
	v_lshrrev_b32_e32 v36, 1, v36
	s_delay_alu instid0(VALU_DEP_1) | instskip(NEXT) | instid1(VALU_DEP_1)
	v_add_nc_u32_e32 v36, v36, v33
	v_add_nc_u32_e32 v37, v1, v36
	v_xad_u32 v38, v36, -1, v18
	v_add_nc_u32_e32 v39, 1, v36
	ds_load_u8 v37, v37
	ds_load_u8 v38, v38
	s_wait_dscnt 0x0
	v_cmp_lt_u16_e64 s5, v38, v37
	s_wait_alu 0xf1ff
	s_delay_alu instid0(VALU_DEP_1) | instskip(SKIP_1) | instid1(VALU_DEP_1)
	v_cndmask_b32_e64 v35, v35, v36, s5
	v_cndmask_b32_e64 v33, v39, v33, s5
	v_cmp_ge_i32_e64 s5, v33, v35
	s_or_b32 s7, s5, s7
	s_delay_alu instid0(SALU_CYCLE_1)
	s_and_not1_b32 exec_lo, exec_lo, s7
	s_cbranch_execnz .LBB81_4
; %bb.5:                                ;   in Loop: Header=BB81_2 Depth=1
	s_or_b32 exec_lo, exec_lo, s7
.LBB81_6:                               ;   in Loop: Header=BB81_2 Depth=1
	s_delay_alu instid0(SALU_CYCLE_1)
	s_or_b32 exec_lo, exec_lo, s6
	v_add_nc_u32_e32 v35, v33, v1
	v_sub_nc_u32_e32 v33, v18, v33
	ds_load_u8 v36, v35
	ds_load_u8 v37, v33
	s_wait_loadcnt_dscnt 0x0
	s_barrier_signal -1
	s_barrier_wait -1
	global_inv scope:SCOPE_SE
	ds_store_b8 v0, v34
	v_mov_b32_e32 v34, v28
	v_cmp_le_i32_e64 s5, v8, v35
	v_cmp_ge_i32_e64 s7, v8, v33
	s_wait_loadcnt_dscnt 0x0
	s_barrier_signal -1
	s_barrier_wait -1
	global_inv scope:SCOPE_SE
	v_and_b32_e32 v38, 0xff, v36
	v_and_b32_e32 v39, 0xff, v37
	s_delay_alu instid0(VALU_DEP_1)
	v_cmp_lt_u16_e64 s6, v39, v38
	s_or_b32 s5, s5, s6
	s_wait_alu 0xfffe
	s_and_b32 s5, s7, s5
	s_wait_alu 0xfffe
	v_cndmask_b32_e64 v33, v35, v33, s5
	v_cndmask_b32_e64 v36, v36, v37, s5
	ds_load_u8 v33, v33
	s_wait_loadcnt_dscnt 0x0
	s_barrier_signal -1
	s_barrier_wait -1
	global_inv scope:SCOPE_SE
	ds_store_b8 v0, v36
	s_wait_loadcnt_dscnt 0x0
	s_barrier_signal -1
	s_barrier_wait -1
	global_inv scope:SCOPE_SE
	s_and_saveexec_b32 s6, s1
	s_cbranch_execz .LBB81_10
; %bb.7:                                ;   in Loop: Header=BB81_2 Depth=1
	v_dual_mov_b32 v34, v28 :: v_dual_mov_b32 v35, v24
	s_mov_b32 s7, 0
.LBB81_8:                               ;   Parent Loop BB81_2 Depth=1
                                        ; =>  This Inner Loop Header: Depth=2
	s_delay_alu instid0(VALU_DEP_1) | instskip(NEXT) | instid1(VALU_DEP_1)
	v_sub_nc_u32_e32 v36, v35, v34
	v_lshrrev_b32_e32 v36, 1, v36
	s_delay_alu instid0(VALU_DEP_1) | instskip(NEXT) | instid1(VALU_DEP_1)
	v_add_nc_u32_e32 v36, v36, v34
	v_add_nc_u32_e32 v37, v2, v36
	v_xad_u32 v38, v36, -1, v19
	v_add_nc_u32_e32 v39, 1, v36
	ds_load_u8 v37, v37
	ds_load_u8 v38, v38
	s_wait_dscnt 0x0
	v_cmp_lt_u16_e64 s5, v38, v37
	s_wait_alu 0xf1ff
	s_delay_alu instid0(VALU_DEP_1) | instskip(SKIP_1) | instid1(VALU_DEP_1)
	v_cndmask_b32_e64 v35, v35, v36, s5
	v_cndmask_b32_e64 v34, v39, v34, s5
	v_cmp_ge_i32_e64 s5, v34, v35
	s_or_b32 s7, s5, s7
	s_delay_alu instid0(SALU_CYCLE_1)
	s_and_not1_b32 exec_lo, exec_lo, s7
	s_cbranch_execnz .LBB81_8
; %bb.9:                                ;   in Loop: Header=BB81_2 Depth=1
	s_or_b32 exec_lo, exec_lo, s7
.LBB81_10:                              ;   in Loop: Header=BB81_2 Depth=1
	s_delay_alu instid0(SALU_CYCLE_1)
	s_or_b32 exec_lo, exec_lo, s6
	v_add_nc_u32_e32 v35, v34, v2
	v_sub_nc_u32_e32 v34, v19, v34
	ds_load_u8 v36, v35
	ds_load_u8 v37, v34
	v_cmp_le_i32_e64 s5, v9, v35
	v_cmp_gt_i32_e64 s7, v10, v34
	s_wait_loadcnt_dscnt 0x0
	s_barrier_signal -1
	s_barrier_wait -1
	global_inv scope:SCOPE_SE
	ds_store_b8 v0, v33
	s_wait_loadcnt_dscnt 0x0
	s_barrier_signal -1
	s_barrier_wait -1
	global_inv scope:SCOPE_SE
	v_and_b32_e32 v38, 0xff, v36
	v_and_b32_e32 v39, 0xff, v37
	s_delay_alu instid0(VALU_DEP_1)
	v_cmp_lt_u16_e64 s6, v39, v38
	s_or_b32 s5, s5, s6
	s_wait_alu 0xfffe
	s_and_b32 s5, s7, s5
	s_wait_alu 0xfffe
	v_cndmask_b32_e64 v34, v35, v34, s5
	v_cndmask_b32_e64 v36, v36, v37, s5
	ds_load_u8 v33, v34
	v_mov_b32_e32 v34, v29
	s_wait_loadcnt_dscnt 0x0
	s_barrier_signal -1
	s_barrier_wait -1
	global_inv scope:SCOPE_SE
	ds_store_b8 v0, v36
	s_wait_loadcnt_dscnt 0x0
	s_barrier_signal -1
	s_barrier_wait -1
	global_inv scope:SCOPE_SE
	s_and_saveexec_b32 s6, s2
	s_cbranch_execz .LBB81_14
; %bb.11:                               ;   in Loop: Header=BB81_2 Depth=1
	v_dual_mov_b32 v34, v29 :: v_dual_mov_b32 v35, v25
	s_mov_b32 s7, 0
.LBB81_12:                              ;   Parent Loop BB81_2 Depth=1
                                        ; =>  This Inner Loop Header: Depth=2
	s_delay_alu instid0(VALU_DEP_1) | instskip(NEXT) | instid1(VALU_DEP_1)
	v_sub_nc_u32_e32 v36, v35, v34
	v_lshrrev_b32_e32 v36, 1, v36
	s_delay_alu instid0(VALU_DEP_1) | instskip(NEXT) | instid1(VALU_DEP_1)
	v_add_nc_u32_e32 v36, v36, v34
	v_add_nc_u32_e32 v37, v3, v36
	v_xad_u32 v38, v36, -1, v20
	v_add_nc_u32_e32 v39, 1, v36
	ds_load_u8 v37, v37
	ds_load_u8 v38, v38
	s_wait_dscnt 0x0
	v_cmp_lt_u16_e64 s5, v38, v37
	s_wait_alu 0xf1ff
	s_delay_alu instid0(VALU_DEP_1) | instskip(SKIP_1) | instid1(VALU_DEP_1)
	v_cndmask_b32_e64 v35, v35, v36, s5
	v_cndmask_b32_e64 v34, v39, v34, s5
	v_cmp_ge_i32_e64 s5, v34, v35
	s_or_b32 s7, s5, s7
	s_delay_alu instid0(SALU_CYCLE_1)
	s_and_not1_b32 exec_lo, exec_lo, s7
	s_cbranch_execnz .LBB81_12
; %bb.13:                               ;   in Loop: Header=BB81_2 Depth=1
	s_or_b32 exec_lo, exec_lo, s7
.LBB81_14:                              ;   in Loop: Header=BB81_2 Depth=1
	s_delay_alu instid0(SALU_CYCLE_1)
	s_or_b32 exec_lo, exec_lo, s6
	v_add_nc_u32_e32 v35, v34, v3
	v_sub_nc_u32_e32 v34, v20, v34
	ds_load_u8 v36, v35
	ds_load_u8 v37, v34
	v_cmp_le_i32_e64 s5, v11, v35
	v_cmp_gt_i32_e64 s7, v12, v34
	s_wait_loadcnt_dscnt 0x0
	s_barrier_signal -1
	s_barrier_wait -1
	global_inv scope:SCOPE_SE
	ds_store_b8 v0, v33
	s_wait_loadcnt_dscnt 0x0
	s_barrier_signal -1
	s_barrier_wait -1
	global_inv scope:SCOPE_SE
	v_and_b32_e32 v38, 0xff, v36
	v_and_b32_e32 v39, 0xff, v37
	s_delay_alu instid0(VALU_DEP_1)
	v_cmp_lt_u16_e64 s6, v39, v38
	s_or_b32 s5, s5, s6
	s_wait_alu 0xfffe
	s_and_b32 s5, s7, s5
	s_wait_alu 0xfffe
	v_cndmask_b32_e64 v34, v35, v34, s5
	v_cndmask_b32_e64 v36, v36, v37, s5
	ds_load_u8 v33, v34
	v_mov_b32_e32 v34, v30
	s_wait_loadcnt_dscnt 0x0
	s_barrier_signal -1
	s_barrier_wait -1
	global_inv scope:SCOPE_SE
	ds_store_b8 v0, v36
	s_wait_loadcnt_dscnt 0x0
	s_barrier_signal -1
	s_barrier_wait -1
	global_inv scope:SCOPE_SE
	s_and_saveexec_b32 s6, s3
	s_cbranch_execz .LBB81_18
; %bb.15:                               ;   in Loop: Header=BB81_2 Depth=1
	v_dual_mov_b32 v34, v30 :: v_dual_mov_b32 v35, v26
	s_mov_b32 s7, 0
.LBB81_16:                              ;   Parent Loop BB81_2 Depth=1
                                        ; =>  This Inner Loop Header: Depth=2
	s_delay_alu instid0(VALU_DEP_1) | instskip(NEXT) | instid1(VALU_DEP_1)
	v_sub_nc_u32_e32 v36, v35, v34
	v_lshrrev_b32_e32 v36, 1, v36
	s_delay_alu instid0(VALU_DEP_1) | instskip(NEXT) | instid1(VALU_DEP_1)
	v_add_nc_u32_e32 v36, v36, v34
	v_add_nc_u32_e32 v37, v4, v36
	v_xad_u32 v38, v36, -1, v21
	v_add_nc_u32_e32 v39, 1, v36
	ds_load_u8 v37, v37
	ds_load_u8 v38, v38
	s_wait_dscnt 0x0
	v_cmp_lt_u16_e64 s5, v38, v37
	s_wait_alu 0xf1ff
	s_delay_alu instid0(VALU_DEP_1) | instskip(SKIP_1) | instid1(VALU_DEP_1)
	v_cndmask_b32_e64 v35, v35, v36, s5
	v_cndmask_b32_e64 v34, v39, v34, s5
	v_cmp_ge_i32_e64 s5, v34, v35
	s_or_b32 s7, s5, s7
	s_delay_alu instid0(SALU_CYCLE_1)
	s_and_not1_b32 exec_lo, exec_lo, s7
	s_cbranch_execnz .LBB81_16
; %bb.17:                               ;   in Loop: Header=BB81_2 Depth=1
	s_or_b32 exec_lo, exec_lo, s7
.LBB81_18:                              ;   in Loop: Header=BB81_2 Depth=1
	s_delay_alu instid0(SALU_CYCLE_1)
	s_or_b32 exec_lo, exec_lo, s6
	v_add_nc_u32_e32 v35, v34, v4
	v_sub_nc_u32_e32 v34, v21, v34
	ds_load_u8 v36, v35
	ds_load_u8 v37, v34
	v_cmp_le_i32_e64 s5, v13, v35
	v_cmp_gt_i32_e64 s7, v14, v34
	s_wait_loadcnt_dscnt 0x0
	s_barrier_signal -1
	s_barrier_wait -1
	global_inv scope:SCOPE_SE
	ds_store_b8 v0, v33
	s_wait_loadcnt_dscnt 0x0
	s_barrier_signal -1
	s_barrier_wait -1
	global_inv scope:SCOPE_SE
	v_and_b32_e32 v38, 0xff, v36
	v_and_b32_e32 v39, 0xff, v37
	s_delay_alu instid0(VALU_DEP_1)
	v_cmp_lt_u16_e64 s6, v39, v38
	s_or_b32 s5, s5, s6
	s_wait_alu 0xfffe
	s_and_b32 s5, s7, s5
	s_wait_alu 0xfffe
	v_cndmask_b32_e64 v34, v35, v34, s5
	v_cndmask_b32_e64 v36, v36, v37, s5
	ds_load_u8 v33, v34
	v_mov_b32_e32 v34, v31
	s_wait_loadcnt_dscnt 0x0
	s_barrier_signal -1
	s_barrier_wait -1
	global_inv scope:SCOPE_SE
	ds_store_b8 v0, v36
	s_wait_loadcnt_dscnt 0x0
	s_barrier_signal -1
	s_barrier_wait -1
	global_inv scope:SCOPE_SE
	s_and_saveexec_b32 s6, s4
	s_cbranch_execz .LBB81_22
; %bb.19:                               ;   in Loop: Header=BB81_2 Depth=1
	v_dual_mov_b32 v34, v31 :: v_dual_mov_b32 v35, v27
	s_mov_b32 s7, 0
.LBB81_20:                              ;   Parent Loop BB81_2 Depth=1
                                        ; =>  This Inner Loop Header: Depth=2
	s_delay_alu instid0(VALU_DEP_1) | instskip(NEXT) | instid1(VALU_DEP_1)
	v_sub_nc_u32_e32 v36, v35, v34
	v_lshrrev_b32_e32 v36, 1, v36
	s_delay_alu instid0(VALU_DEP_1) | instskip(NEXT) | instid1(VALU_DEP_1)
	v_add_nc_u32_e32 v36, v36, v34
	v_add_nc_u32_e32 v37, v5, v36
	v_xad_u32 v38, v36, -1, v22
	v_add_nc_u32_e32 v39, 1, v36
	ds_load_u8 v37, v37
	ds_load_u8 v38, v38
	s_wait_dscnt 0x0
	v_cmp_lt_u16_e64 s5, v38, v37
	s_wait_alu 0xf1ff
	s_delay_alu instid0(VALU_DEP_1) | instskip(SKIP_1) | instid1(VALU_DEP_1)
	v_cndmask_b32_e64 v35, v35, v36, s5
	v_cndmask_b32_e64 v34, v39, v34, s5
	v_cmp_ge_i32_e64 s5, v34, v35
	s_or_b32 s7, s5, s7
	s_delay_alu instid0(SALU_CYCLE_1)
	s_and_not1_b32 exec_lo, exec_lo, s7
	s_cbranch_execnz .LBB81_20
; %bb.21:                               ;   in Loop: Header=BB81_2 Depth=1
	s_or_b32 exec_lo, exec_lo, s7
.LBB81_22:                              ;   in Loop: Header=BB81_2 Depth=1
	s_delay_alu instid0(SALU_CYCLE_1)
	s_or_b32 exec_lo, exec_lo, s6
	v_add_nc_u32_e32 v35, v34, v5
	v_sub_nc_u32_e32 v34, v22, v34
	ds_load_u8 v36, v35
	ds_load_u8 v37, v34
	v_cmp_le_i32_e64 s5, v15, v35
	v_cmp_gt_i32_e64 s7, v16, v34
	s_wait_loadcnt_dscnt 0x0
	s_barrier_signal -1
	s_barrier_wait -1
	global_inv scope:SCOPE_SE
	ds_store_b8 v0, v33
	s_wait_loadcnt_dscnt 0x0
	s_barrier_signal -1
	s_barrier_wait -1
	global_inv scope:SCOPE_SE
	v_and_b32_e32 v38, 0xff, v36
	v_and_b32_e32 v39, 0xff, v37
	s_delay_alu instid0(VALU_DEP_1)
	v_cmp_lt_u16_e64 s6, v39, v38
	s_or_b32 s5, s5, s6
	s_wait_alu 0xfffe
	s_and_b32 s5, s7, s5
	s_wait_alu 0xfffe
	v_cndmask_b32_e64 v34, v35, v34, s5
	v_cndmask_b32_e64 v36, v36, v37, s5
	v_mov_b32_e32 v35, v6
	ds_load_u8 v34, v34
	s_wait_loadcnt_dscnt 0x0
	s_barrier_signal -1
	s_barrier_wait -1
	global_inv scope:SCOPE_SE
	ds_store_b8 v0, v36
	s_wait_loadcnt_dscnt 0x0
	s_barrier_signal -1
	s_barrier_wait -1
	global_inv scope:SCOPE_SE
	s_and_saveexec_b32 s6, vcc_lo
	s_cbranch_execz .LBB81_1
; %bb.23:                               ;   in Loop: Header=BB81_2 Depth=1
	v_mov_b32_e32 v35, v6
	v_mov_b32_e32 v33, v7
	s_mov_b32 s7, 0
.LBB81_24:                              ;   Parent Loop BB81_2 Depth=1
                                        ; =>  This Inner Loop Header: Depth=2
	s_delay_alu instid0(VALU_DEP_1) | instskip(NEXT) | instid1(VALU_DEP_1)
	v_sub_nc_u32_e32 v36, v33, v35
	v_lshrrev_b32_e32 v36, 1, v36
	s_delay_alu instid0(VALU_DEP_1) | instskip(NEXT) | instid1(VALU_DEP_1)
	v_add_nc_u32_e32 v36, v36, v35
	v_xad_u32 v37, v36, -1, v32
	v_add_nc_u32_e32 v39, 1, v36
	ds_load_u8 v38, v36
	ds_load_u8 v37, v37
	s_wait_dscnt 0x0
	v_cmp_lt_u16_e64 s5, v37, v38
	s_wait_alu 0xf1ff
	s_delay_alu instid0(VALU_DEP_1) | instskip(SKIP_1) | instid1(VALU_DEP_1)
	v_cndmask_b32_e64 v33, v33, v36, s5
	v_cndmask_b32_e64 v35, v39, v35, s5
	v_cmp_ge_i32_e64 s5, v35, v33
	s_or_b32 s7, s5, s7
	s_delay_alu instid0(SALU_CYCLE_1)
	s_and_not1_b32 exec_lo, exec_lo, s7
	s_cbranch_execnz .LBB81_24
; %bb.25:                               ;   in Loop: Header=BB81_2 Depth=1
	s_or_b32 exec_lo, exec_lo, s7
	s_branch .LBB81_1
.LBB81_26:
	s_add_nc_u64 s[0:1], s[10:11], s[12:13]
	s_wait_dscnt 0x0
	v_add_nc_u16 v2, v33, v34
	s_wait_alu 0xfffe
	v_add_co_u32 v0, s0, s0, v0
	s_wait_alu 0xf1ff
	v_add_co_ci_u32_e64 v1, null, s1, 0, s0
	global_store_b8 v[0:1], v2, off
	s_endpgm
	.section	.rodata,"a",@progbits
	.p2align	6, 0x0
	.amdhsa_kernel _Z17sort_pairs_kernelIhLj64ELj1EN10test_utils4lessELj10EEvPKT_PS2_T2_
		.amdhsa_group_segment_fixed_size 65
		.amdhsa_private_segment_fixed_size 0
		.amdhsa_kernarg_size 20
		.amdhsa_user_sgpr_count 2
		.amdhsa_user_sgpr_dispatch_ptr 0
		.amdhsa_user_sgpr_queue_ptr 0
		.amdhsa_user_sgpr_kernarg_segment_ptr 1
		.amdhsa_user_sgpr_dispatch_id 0
		.amdhsa_user_sgpr_private_segment_size 0
		.amdhsa_wavefront_size32 1
		.amdhsa_uses_dynamic_stack 0
		.amdhsa_enable_private_segment 0
		.amdhsa_system_sgpr_workgroup_id_x 1
		.amdhsa_system_sgpr_workgroup_id_y 0
		.amdhsa_system_sgpr_workgroup_id_z 0
		.amdhsa_system_sgpr_workgroup_info 0
		.amdhsa_system_vgpr_workitem_id 0
		.amdhsa_next_free_vgpr 42
		.amdhsa_next_free_sgpr 14
		.amdhsa_reserve_vcc 1
		.amdhsa_float_round_mode_32 0
		.amdhsa_float_round_mode_16_64 0
		.amdhsa_float_denorm_mode_32 3
		.amdhsa_float_denorm_mode_16_64 3
		.amdhsa_fp16_overflow 0
		.amdhsa_workgroup_processor_mode 1
		.amdhsa_memory_ordered 1
		.amdhsa_forward_progress 1
		.amdhsa_inst_pref_size 21
		.amdhsa_round_robin_scheduling 0
		.amdhsa_exception_fp_ieee_invalid_op 0
		.amdhsa_exception_fp_denorm_src 0
		.amdhsa_exception_fp_ieee_div_zero 0
		.amdhsa_exception_fp_ieee_overflow 0
		.amdhsa_exception_fp_ieee_underflow 0
		.amdhsa_exception_fp_ieee_inexact 0
		.amdhsa_exception_int_div_zero 0
	.end_amdhsa_kernel
	.section	.text._Z17sort_pairs_kernelIhLj64ELj1EN10test_utils4lessELj10EEvPKT_PS2_T2_,"axG",@progbits,_Z17sort_pairs_kernelIhLj64ELj1EN10test_utils4lessELj10EEvPKT_PS2_T2_,comdat
.Lfunc_end81:
	.size	_Z17sort_pairs_kernelIhLj64ELj1EN10test_utils4lessELj10EEvPKT_PS2_T2_, .Lfunc_end81-_Z17sort_pairs_kernelIhLj64ELj1EN10test_utils4lessELj10EEvPKT_PS2_T2_
                                        ; -- End function
	.set _Z17sort_pairs_kernelIhLj64ELj1EN10test_utils4lessELj10EEvPKT_PS2_T2_.num_vgpr, 42
	.set _Z17sort_pairs_kernelIhLj64ELj1EN10test_utils4lessELj10EEvPKT_PS2_T2_.num_agpr, 0
	.set _Z17sort_pairs_kernelIhLj64ELj1EN10test_utils4lessELj10EEvPKT_PS2_T2_.numbered_sgpr, 14
	.set _Z17sort_pairs_kernelIhLj64ELj1EN10test_utils4lessELj10EEvPKT_PS2_T2_.num_named_barrier, 0
	.set _Z17sort_pairs_kernelIhLj64ELj1EN10test_utils4lessELj10EEvPKT_PS2_T2_.private_seg_size, 0
	.set _Z17sort_pairs_kernelIhLj64ELj1EN10test_utils4lessELj10EEvPKT_PS2_T2_.uses_vcc, 1
	.set _Z17sort_pairs_kernelIhLj64ELj1EN10test_utils4lessELj10EEvPKT_PS2_T2_.uses_flat_scratch, 0
	.set _Z17sort_pairs_kernelIhLj64ELj1EN10test_utils4lessELj10EEvPKT_PS2_T2_.has_dyn_sized_stack, 0
	.set _Z17sort_pairs_kernelIhLj64ELj1EN10test_utils4lessELj10EEvPKT_PS2_T2_.has_recursion, 0
	.set _Z17sort_pairs_kernelIhLj64ELj1EN10test_utils4lessELj10EEvPKT_PS2_T2_.has_indirect_call, 0
	.section	.AMDGPU.csdata,"",@progbits
; Kernel info:
; codeLenInByte = 2648
; TotalNumSgprs: 16
; NumVgprs: 42
; ScratchSize: 0
; MemoryBound: 0
; FloatMode: 240
; IeeeMode: 1
; LDSByteSize: 65 bytes/workgroup (compile time only)
; SGPRBlocks: 0
; VGPRBlocks: 5
; NumSGPRsForWavesPerEU: 16
; NumVGPRsForWavesPerEU: 42
; Occupancy: 16
; WaveLimiterHint : 0
; COMPUTE_PGM_RSRC2:SCRATCH_EN: 0
; COMPUTE_PGM_RSRC2:USER_SGPR: 2
; COMPUTE_PGM_RSRC2:TRAP_HANDLER: 0
; COMPUTE_PGM_RSRC2:TGID_X_EN: 1
; COMPUTE_PGM_RSRC2:TGID_Y_EN: 0
; COMPUTE_PGM_RSRC2:TGID_Z_EN: 0
; COMPUTE_PGM_RSRC2:TIDIG_COMP_CNT: 0
	.section	.text._Z16sort_keys_kernelIhLj64ELj2EN10test_utils4lessELj10EEvPKT_PS2_T2_,"axG",@progbits,_Z16sort_keys_kernelIhLj64ELj2EN10test_utils4lessELj10EEvPKT_PS2_T2_,comdat
	.protected	_Z16sort_keys_kernelIhLj64ELj2EN10test_utils4lessELj10EEvPKT_PS2_T2_ ; -- Begin function _Z16sort_keys_kernelIhLj64ELj2EN10test_utils4lessELj10EEvPKT_PS2_T2_
	.globl	_Z16sort_keys_kernelIhLj64ELj2EN10test_utils4lessELj10EEvPKT_PS2_T2_
	.p2align	8
	.type	_Z16sort_keys_kernelIhLj64ELj2EN10test_utils4lessELj10EEvPKT_PS2_T2_,@function
_Z16sort_keys_kernelIhLj64ELj2EN10test_utils4lessELj10EEvPKT_PS2_T2_: ; @_Z16sort_keys_kernelIhLj64ELj2EN10test_utils4lessELj10EEvPKT_PS2_T2_
; %bb.0:
	s_load_b128 s[8:11], s[0:1], 0x0
	s_lshl_b32 s12, ttmp9, 7
	s_mov_b32 s13, 0
	v_lshlrev_b32_e32 v1, 1, v0
	s_delay_alu instid0(VALU_DEP_1)
	v_and_b32_e32 v2, 0x7c, v1
	v_and_b32_e32 v5, 0x78, v1
	;; [unrolled: 1-line block ×5, first 2 shown]
	v_or_b32_e32 v3, 2, v2
	v_add_nc_u32_e32 v4, 4, v2
	v_or_b32_e32 v6, 4, v5
	v_add_nc_u32_e32 v7, 8, v5
	v_add_nc_u32_e32 v12, 16, v8
	v_and_b32_e32 v25, 14, v1
	v_sub_nc_u32_e32 v9, v4, v3
	s_wait_kmcnt 0x0
	s_add_nc_u64 s[0:1], s[8:9], s[12:13]
	v_sub_nc_u32_e32 v13, v7, v6
	s_clause 0x1
	global_load_u8 v36, v0, s[0:1] offset:64
	global_load_u8 v35, v0, s[0:1]
	v_sub_nc_u32_e32 v17, v6, v5
	v_sub_nc_u32_e32 v11, v15, v9
	v_cmp_ge_i32_e32 vcc_lo, v15, v9
	v_sub_nc_u32_e32 v14, v16, v13
	v_and_b32_e32 v18, 64, v1
	v_and_b32_e32 v32, 30, v1
	;; [unrolled: 1-line block ×3, first 2 shown]
	v_cndmask_b32_e32 v9, 0, v11, vcc_lo
	v_or_b32_e32 v11, 8, v8
	v_cmp_ge_i32_e32 vcc_lo, v16, v13
	v_or_b32_e32 v23, 32, v18
	v_add_nc_u32_e32 v24, 64, v18
	v_sub_nc_u32_e32 v10, v3, v2
	v_sub_nc_u32_e32 v19, v12, v11
	s_wait_alu 0xfffd
	v_cndmask_b32_e32 v13, 0, v14, vcc_lo
	v_min_i32_e32 v14, v16, v17
	v_and_b32_e32 v17, 0x60, v1
	v_sub_nc_u32_e32 v28, v24, v23
	v_sub_nc_u32_e32 v20, v25, v19
	v_cmp_ge_i32_e64 s1, v25, v19
	v_sub_nc_u32_e32 v22, v11, v8
	v_add_nc_u32_e32 v21, 32, v17
	v_sub_nc_u32_e32 v30, v23, v18
	v_sub_nc_u32_e32 v31, v33, v28
	v_cndmask_b32_e64 v19, 0, v20, s1
	v_or_b32_e32 v20, 16, v17
	v_min_i32_e32 v22, v25, v22
	v_min_i32_e32 v10, v15, v10
	v_add_nc_u32_e32 v15, v3, v15
	v_cmp_lt_i32_e64 s0, v13, v14
	v_sub_nc_u32_e32 v26, v21, v20
	v_sub_nc_u32_e32 v29, v20, v17
	v_add_nc_u32_e32 v16, v6, v16
	v_cmp_lt_i32_e64 s1, v19, v22
	v_add_nc_u32_e32 v25, v11, v25
	v_sub_nc_u32_e32 v27, v32, v26
	v_cmp_ge_i32_e64 s2, v32, v26
	v_add_nc_u32_e32 v34, 64, v1
	s_mov_b32 s9, s13
	v_cmp_lt_i32_e32 vcc_lo, v9, v10
	v_cndmask_b32_e64 v26, 0, v27, s2
	v_cmp_ge_i32_e64 s2, v33, v28
	v_min_i32_e32 v27, v32, v29
	v_min_i32_e32 v29, v33, v30
	v_sub_nc_u32_e64 v30, v1, 64 clamp
	v_add_nc_u32_e32 v32, v20, v32
	s_wait_alu 0xf1ff
	v_cndmask_b32_e64 v28, 0, v31, s2
	v_min_i32_e32 v31, 64, v1
	v_cmp_lt_i32_e64 s2, v26, v27
	v_add_nc_u32_e32 v33, v23, v33
	s_delay_alu instid0(VALU_DEP_4) | instskip(NEXT) | instid1(VALU_DEP_4)
	v_cmp_lt_i32_e64 s3, v28, v29
	v_cmp_lt_i32_e64 s4, v30, v31
	s_branch .LBB82_2
.LBB82_1:                               ;   in Loop: Header=BB82_2 Depth=1
	s_or_b32 exec_lo, exec_lo, s6
	s_wait_dscnt 0x0
	v_and_b32_e32 v35, 0xff, v39
	v_and_b32_e32 v42, 0xff, v41
	v_cmp_le_i32_e64 s6, 64, v40
	v_cmp_gt_i32_e64 s8, 0x80, v38
	s_add_co_i32 s9, s9, 1
	v_cmp_lt_u16_e64 s7, v42, v35
	v_cndmask_b32_e64 v35, v36, v37, s5
	s_or_b32 s6, s6, s7
	s_delay_alu instid0(SALU_CYCLE_1)
	s_and_b32 s5, s8, s6
	s_cmp_eq_u32 s9, 10
	s_wait_alu 0xfffe
	v_cndmask_b32_e64 v36, v39, v41, s5
	s_cbranch_scc1 .LBB82_50
.LBB82_2:                               ; =>This Loop Header: Depth=1
                                        ;     Child Loop BB82_4 Depth 2
                                        ;     Child Loop BB82_12 Depth 2
	;; [unrolled: 1-line block ×6, first 2 shown]
	s_wait_loadcnt 0x0
	v_and_b32_e32 v37, 0xff, v35
	s_delay_alu instid0(VALU_DEP_2) | instskip(SKIP_3) | instid1(VALU_DEP_3)
	v_and_b32_e32 v38, 0xff, v36
	v_perm_b32 v39, v36, v35, 0xc0c0004
	v_perm_b32 v35, v35, v36, 0xc0c0004
	s_barrier_signal -1
	v_cmp_lt_u16_e64 s5, v38, v37
	s_barrier_wait -1
	global_inv scope:SCOPE_SE
	s_wait_alu 0xf1ff
	v_cndmask_b32_e64 v36, v35, v39, s5
	v_mov_b32_e32 v35, v9
	s_delay_alu instid0(VALU_DEP_2)
	v_lshrrev_b16 v37, 8, v36
	ds_store_b8 v1, v36
	ds_store_b8 v1, v37 offset:1
	s_wait_loadcnt_dscnt 0x0
	s_barrier_signal -1
	s_barrier_wait -1
	global_inv scope:SCOPE_SE
	s_and_saveexec_b32 s6, vcc_lo
	s_cbranch_execz .LBB82_6
; %bb.3:                                ;   in Loop: Header=BB82_2 Depth=1
	v_dual_mov_b32 v35, v9 :: v_dual_mov_b32 v36, v10
	s_mov_b32 s7, 0
.LBB82_4:                               ;   Parent Loop BB82_2 Depth=1
                                        ; =>  This Inner Loop Header: Depth=2
	s_delay_alu instid0(VALU_DEP_1) | instskip(NEXT) | instid1(VALU_DEP_1)
	v_sub_nc_u32_e32 v37, v36, v35
	v_lshrrev_b32_e32 v37, 1, v37
	s_delay_alu instid0(VALU_DEP_1) | instskip(NEXT) | instid1(VALU_DEP_1)
	v_add_nc_u32_e32 v37, v37, v35
	v_add_nc_u32_e32 v38, v2, v37
	v_xad_u32 v39, v37, -1, v15
	v_add_nc_u32_e32 v40, 1, v37
	ds_load_u8 v38, v38
	ds_load_u8 v39, v39
	s_wait_dscnt 0x0
	v_cmp_lt_u16_e64 s5, v39, v38
	s_wait_alu 0xf1ff
	s_delay_alu instid0(VALU_DEP_1) | instskip(SKIP_1) | instid1(VALU_DEP_1)
	v_cndmask_b32_e64 v36, v36, v37, s5
	v_cndmask_b32_e64 v35, v40, v35, s5
	v_cmp_ge_i32_e64 s5, v35, v36
	s_or_b32 s7, s5, s7
	s_delay_alu instid0(SALU_CYCLE_1)
	s_and_not1_b32 exec_lo, exec_lo, s7
	s_cbranch_execnz .LBB82_4
; %bb.5:                                ;   in Loop: Header=BB82_2 Depth=1
	s_or_b32 exec_lo, exec_lo, s7
.LBB82_6:                               ;   in Loop: Header=BB82_2 Depth=1
	s_delay_alu instid0(SALU_CYCLE_1)
	s_or_b32 exec_lo, exec_lo, s6
	v_add_nc_u32_e32 v37, v35, v2
	v_sub_nc_u32_e32 v38, v15, v35
	ds_load_u8 v35, v37
	ds_load_u8 v36, v38
	v_cmp_le_i32_e64 s5, v3, v37
	v_cmp_gt_i32_e64 s7, v4, v38
	s_wait_dscnt 0x1
	v_and_b32_e32 v39, 0xff, v35
	s_wait_dscnt 0x0
	v_and_b32_e32 v40, 0xff, v36
	s_delay_alu instid0(VALU_DEP_1)
	v_cmp_lt_u16_e64 s6, v40, v39
                                        ; implicit-def: $vgpr39
	s_or_b32 s5, s5, s6
	s_wait_alu 0xfffe
	s_and_b32 s5, s7, s5
	s_wait_alu 0xfffe
	s_xor_b32 s6, s5, -1
	s_delay_alu instid0(SALU_CYCLE_1) | instskip(NEXT) | instid1(SALU_CYCLE_1)
	s_and_saveexec_b32 s7, s6
	s_xor_b32 s6, exec_lo, s7
; %bb.7:                                ;   in Loop: Header=BB82_2 Depth=1
	ds_load_u8 v39, v37 offset:1
; %bb.8:                                ;   in Loop: Header=BB82_2 Depth=1
	s_or_saveexec_b32 s6, s6
	v_mov_b32_e32 v40, v36
	s_xor_b32 exec_lo, exec_lo, s6
	s_cbranch_execz .LBB82_10
; %bb.9:                                ;   in Loop: Header=BB82_2 Depth=1
	ds_load_u8 v40, v38 offset:1
	s_wait_dscnt 0x1
	v_mov_b32_e32 v39, v35
.LBB82_10:                              ;   in Loop: Header=BB82_2 Depth=1
	s_or_b32 exec_lo, exec_lo, s6
	v_add_nc_u32_e32 v41, 1, v37
	v_add_nc_u32_e32 v42, 1, v38
	s_wait_dscnt 0x0
	v_and_b32_e32 v43, 0xff, v39
	v_and_b32_e32 v44, 0xff, v40
	v_cndmask_b32_e64 v36, v35, v36, s5
	v_cndmask_b32_e64 v37, v41, v37, s5
	v_mov_b32_e32 v35, v13
	v_cndmask_b32_e64 v38, v38, v42, s5
	v_cmp_lt_u16_e64 s6, v44, v43
	s_wait_loadcnt 0x0
	v_cmp_ge_i32_e64 s7, v37, v3
	s_barrier_signal -1
	v_cmp_lt_i32_e64 s8, v38, v4
	s_barrier_wait -1
	global_inv scope:SCOPE_SE
	s_or_b32 s5, s7, s6
	s_wait_alu 0xfffe
	s_and_b32 s5, s8, s5
	s_wait_alu 0xfffe
	v_cndmask_b32_e64 v37, v39, v40, s5
	ds_store_b8 v1, v36
	ds_store_b8 v1, v37 offset:1
	s_wait_loadcnt_dscnt 0x0
	s_barrier_signal -1
	s_barrier_wait -1
	global_inv scope:SCOPE_SE
	s_and_saveexec_b32 s6, s0
	s_cbranch_execz .LBB82_14
; %bb.11:                               ;   in Loop: Header=BB82_2 Depth=1
	v_dual_mov_b32 v35, v13 :: v_dual_mov_b32 v36, v14
	s_mov_b32 s7, 0
.LBB82_12:                              ;   Parent Loop BB82_2 Depth=1
                                        ; =>  This Inner Loop Header: Depth=2
	s_delay_alu instid0(VALU_DEP_1) | instskip(NEXT) | instid1(VALU_DEP_1)
	v_sub_nc_u32_e32 v37, v36, v35
	v_lshrrev_b32_e32 v37, 1, v37
	s_delay_alu instid0(VALU_DEP_1) | instskip(NEXT) | instid1(VALU_DEP_1)
	v_add_nc_u32_e32 v37, v37, v35
	v_add_nc_u32_e32 v38, v5, v37
	v_xad_u32 v39, v37, -1, v16
	v_add_nc_u32_e32 v40, 1, v37
	ds_load_u8 v38, v38
	ds_load_u8 v39, v39
	s_wait_dscnt 0x0
	v_cmp_lt_u16_e64 s5, v39, v38
	s_wait_alu 0xf1ff
	s_delay_alu instid0(VALU_DEP_1) | instskip(SKIP_1) | instid1(VALU_DEP_1)
	v_cndmask_b32_e64 v36, v36, v37, s5
	v_cndmask_b32_e64 v35, v40, v35, s5
	v_cmp_ge_i32_e64 s5, v35, v36
	s_or_b32 s7, s5, s7
	s_delay_alu instid0(SALU_CYCLE_1)
	s_and_not1_b32 exec_lo, exec_lo, s7
	s_cbranch_execnz .LBB82_12
; %bb.13:                               ;   in Loop: Header=BB82_2 Depth=1
	s_or_b32 exec_lo, exec_lo, s7
.LBB82_14:                              ;   in Loop: Header=BB82_2 Depth=1
	s_delay_alu instid0(SALU_CYCLE_1)
	s_or_b32 exec_lo, exec_lo, s6
	v_add_nc_u32_e32 v37, v35, v5
	v_sub_nc_u32_e32 v38, v16, v35
	ds_load_u8 v35, v37
	ds_load_u8 v36, v38
	v_cmp_le_i32_e64 s5, v6, v37
	v_cmp_gt_i32_e64 s7, v7, v38
	s_wait_dscnt 0x1
	v_and_b32_e32 v39, 0xff, v35
	s_wait_dscnt 0x0
	v_and_b32_e32 v40, 0xff, v36
	s_delay_alu instid0(VALU_DEP_1)
	v_cmp_lt_u16_e64 s6, v40, v39
                                        ; implicit-def: $vgpr39
	s_or_b32 s5, s5, s6
	s_wait_alu 0xfffe
	s_and_b32 s5, s7, s5
	s_wait_alu 0xfffe
	s_xor_b32 s6, s5, -1
	s_delay_alu instid0(SALU_CYCLE_1) | instskip(NEXT) | instid1(SALU_CYCLE_1)
	s_and_saveexec_b32 s7, s6
	s_xor_b32 s6, exec_lo, s7
; %bb.15:                               ;   in Loop: Header=BB82_2 Depth=1
	ds_load_u8 v39, v37 offset:1
; %bb.16:                               ;   in Loop: Header=BB82_2 Depth=1
	s_or_saveexec_b32 s6, s6
	v_mov_b32_e32 v40, v36
	s_xor_b32 exec_lo, exec_lo, s6
	s_cbranch_execz .LBB82_18
; %bb.17:                               ;   in Loop: Header=BB82_2 Depth=1
	ds_load_u8 v40, v38 offset:1
	s_wait_dscnt 0x1
	v_mov_b32_e32 v39, v35
.LBB82_18:                              ;   in Loop: Header=BB82_2 Depth=1
	s_or_b32 exec_lo, exec_lo, s6
	v_add_nc_u32_e32 v41, 1, v37
	v_add_nc_u32_e32 v42, 1, v38
	s_wait_dscnt 0x0
	v_and_b32_e32 v43, 0xff, v39
	v_and_b32_e32 v44, 0xff, v40
	v_cndmask_b32_e64 v36, v35, v36, s5
	v_cndmask_b32_e64 v37, v41, v37, s5
	v_mov_b32_e32 v35, v19
	v_cndmask_b32_e64 v38, v38, v42, s5
	v_cmp_lt_u16_e64 s6, v44, v43
	s_wait_loadcnt 0x0
	v_cmp_ge_i32_e64 s7, v37, v6
	s_barrier_signal -1
	v_cmp_lt_i32_e64 s8, v38, v7
	s_barrier_wait -1
	global_inv scope:SCOPE_SE
	s_or_b32 s5, s7, s6
	s_wait_alu 0xfffe
	s_and_b32 s5, s8, s5
	s_wait_alu 0xfffe
	v_cndmask_b32_e64 v37, v39, v40, s5
	ds_store_b8 v1, v36
	ds_store_b8 v1, v37 offset:1
	s_wait_loadcnt_dscnt 0x0
	s_barrier_signal -1
	s_barrier_wait -1
	global_inv scope:SCOPE_SE
	s_and_saveexec_b32 s6, s1
	s_cbranch_execz .LBB82_22
; %bb.19:                               ;   in Loop: Header=BB82_2 Depth=1
	v_dual_mov_b32 v35, v19 :: v_dual_mov_b32 v36, v22
	s_mov_b32 s7, 0
.LBB82_20:                              ;   Parent Loop BB82_2 Depth=1
                                        ; =>  This Inner Loop Header: Depth=2
	s_delay_alu instid0(VALU_DEP_1) | instskip(NEXT) | instid1(VALU_DEP_1)
	v_sub_nc_u32_e32 v37, v36, v35
	v_lshrrev_b32_e32 v37, 1, v37
	s_delay_alu instid0(VALU_DEP_1) | instskip(NEXT) | instid1(VALU_DEP_1)
	v_add_nc_u32_e32 v37, v37, v35
	v_add_nc_u32_e32 v38, v8, v37
	v_xad_u32 v39, v37, -1, v25
	v_add_nc_u32_e32 v40, 1, v37
	ds_load_u8 v38, v38
	ds_load_u8 v39, v39
	s_wait_dscnt 0x0
	v_cmp_lt_u16_e64 s5, v39, v38
	s_wait_alu 0xf1ff
	s_delay_alu instid0(VALU_DEP_1) | instskip(SKIP_1) | instid1(VALU_DEP_1)
	v_cndmask_b32_e64 v36, v36, v37, s5
	v_cndmask_b32_e64 v35, v40, v35, s5
	v_cmp_ge_i32_e64 s5, v35, v36
	s_or_b32 s7, s5, s7
	s_delay_alu instid0(SALU_CYCLE_1)
	s_and_not1_b32 exec_lo, exec_lo, s7
	s_cbranch_execnz .LBB82_20
; %bb.21:                               ;   in Loop: Header=BB82_2 Depth=1
	s_or_b32 exec_lo, exec_lo, s7
.LBB82_22:                              ;   in Loop: Header=BB82_2 Depth=1
	s_delay_alu instid0(SALU_CYCLE_1)
	s_or_b32 exec_lo, exec_lo, s6
	v_add_nc_u32_e32 v37, v35, v8
	v_sub_nc_u32_e32 v38, v25, v35
	ds_load_u8 v35, v37
	ds_load_u8 v36, v38
	v_cmp_le_i32_e64 s5, v11, v37
	v_cmp_gt_i32_e64 s7, v12, v38
	s_wait_dscnt 0x1
	v_and_b32_e32 v39, 0xff, v35
	s_wait_dscnt 0x0
	v_and_b32_e32 v40, 0xff, v36
	s_delay_alu instid0(VALU_DEP_1)
	v_cmp_lt_u16_e64 s6, v40, v39
                                        ; implicit-def: $vgpr39
	s_or_b32 s5, s5, s6
	s_wait_alu 0xfffe
	s_and_b32 s5, s7, s5
	s_wait_alu 0xfffe
	s_xor_b32 s6, s5, -1
	s_delay_alu instid0(SALU_CYCLE_1) | instskip(NEXT) | instid1(SALU_CYCLE_1)
	s_and_saveexec_b32 s7, s6
	s_xor_b32 s6, exec_lo, s7
; %bb.23:                               ;   in Loop: Header=BB82_2 Depth=1
	ds_load_u8 v39, v37 offset:1
; %bb.24:                               ;   in Loop: Header=BB82_2 Depth=1
	s_or_saveexec_b32 s6, s6
	v_mov_b32_e32 v40, v36
	s_xor_b32 exec_lo, exec_lo, s6
	s_cbranch_execz .LBB82_26
; %bb.25:                               ;   in Loop: Header=BB82_2 Depth=1
	ds_load_u8 v40, v38 offset:1
	s_wait_dscnt 0x1
	v_mov_b32_e32 v39, v35
.LBB82_26:                              ;   in Loop: Header=BB82_2 Depth=1
	s_or_b32 exec_lo, exec_lo, s6
	v_add_nc_u32_e32 v41, 1, v37
	v_add_nc_u32_e32 v42, 1, v38
	s_wait_dscnt 0x0
	v_and_b32_e32 v43, 0xff, v39
	v_and_b32_e32 v44, 0xff, v40
	v_cndmask_b32_e64 v36, v35, v36, s5
	v_cndmask_b32_e64 v37, v41, v37, s5
	v_mov_b32_e32 v35, v26
	v_cndmask_b32_e64 v38, v38, v42, s5
	v_cmp_lt_u16_e64 s6, v44, v43
	s_wait_loadcnt 0x0
	v_cmp_ge_i32_e64 s7, v37, v11
	s_barrier_signal -1
	v_cmp_lt_i32_e64 s8, v38, v12
	s_barrier_wait -1
	global_inv scope:SCOPE_SE
	s_or_b32 s5, s7, s6
	s_wait_alu 0xfffe
	s_and_b32 s5, s8, s5
	s_wait_alu 0xfffe
	v_cndmask_b32_e64 v37, v39, v40, s5
	ds_store_b8 v1, v36
	ds_store_b8 v1, v37 offset:1
	s_wait_loadcnt_dscnt 0x0
	s_barrier_signal -1
	s_barrier_wait -1
	global_inv scope:SCOPE_SE
	s_and_saveexec_b32 s6, s2
	s_cbranch_execz .LBB82_30
; %bb.27:                               ;   in Loop: Header=BB82_2 Depth=1
	v_dual_mov_b32 v35, v26 :: v_dual_mov_b32 v36, v27
	s_mov_b32 s7, 0
.LBB82_28:                              ;   Parent Loop BB82_2 Depth=1
                                        ; =>  This Inner Loop Header: Depth=2
	s_delay_alu instid0(VALU_DEP_1) | instskip(NEXT) | instid1(VALU_DEP_1)
	v_sub_nc_u32_e32 v37, v36, v35
	v_lshrrev_b32_e32 v37, 1, v37
	s_delay_alu instid0(VALU_DEP_1) | instskip(NEXT) | instid1(VALU_DEP_1)
	v_add_nc_u32_e32 v37, v37, v35
	v_add_nc_u32_e32 v38, v17, v37
	v_xad_u32 v39, v37, -1, v32
	v_add_nc_u32_e32 v40, 1, v37
	ds_load_u8 v38, v38
	ds_load_u8 v39, v39
	s_wait_dscnt 0x0
	v_cmp_lt_u16_e64 s5, v39, v38
	s_wait_alu 0xf1ff
	s_delay_alu instid0(VALU_DEP_1) | instskip(SKIP_1) | instid1(VALU_DEP_1)
	v_cndmask_b32_e64 v36, v36, v37, s5
	v_cndmask_b32_e64 v35, v40, v35, s5
	v_cmp_ge_i32_e64 s5, v35, v36
	s_or_b32 s7, s5, s7
	s_delay_alu instid0(SALU_CYCLE_1)
	s_and_not1_b32 exec_lo, exec_lo, s7
	s_cbranch_execnz .LBB82_28
; %bb.29:                               ;   in Loop: Header=BB82_2 Depth=1
	s_or_b32 exec_lo, exec_lo, s7
.LBB82_30:                              ;   in Loop: Header=BB82_2 Depth=1
	s_delay_alu instid0(SALU_CYCLE_1)
	s_or_b32 exec_lo, exec_lo, s6
	v_add_nc_u32_e32 v37, v35, v17
	v_sub_nc_u32_e32 v38, v32, v35
	ds_load_u8 v35, v37
	ds_load_u8 v36, v38
	v_cmp_le_i32_e64 s5, v20, v37
	v_cmp_gt_i32_e64 s7, v21, v38
	s_wait_dscnt 0x1
	v_and_b32_e32 v39, 0xff, v35
	s_wait_dscnt 0x0
	v_and_b32_e32 v40, 0xff, v36
	s_delay_alu instid0(VALU_DEP_1)
	v_cmp_lt_u16_e64 s6, v40, v39
                                        ; implicit-def: $vgpr39
	s_or_b32 s5, s5, s6
	s_wait_alu 0xfffe
	s_and_b32 s5, s7, s5
	s_wait_alu 0xfffe
	s_xor_b32 s6, s5, -1
	s_delay_alu instid0(SALU_CYCLE_1) | instskip(NEXT) | instid1(SALU_CYCLE_1)
	s_and_saveexec_b32 s7, s6
	s_xor_b32 s6, exec_lo, s7
; %bb.31:                               ;   in Loop: Header=BB82_2 Depth=1
	ds_load_u8 v39, v37 offset:1
; %bb.32:                               ;   in Loop: Header=BB82_2 Depth=1
	s_or_saveexec_b32 s6, s6
	v_mov_b32_e32 v40, v36
	s_xor_b32 exec_lo, exec_lo, s6
	s_cbranch_execz .LBB82_34
; %bb.33:                               ;   in Loop: Header=BB82_2 Depth=1
	ds_load_u8 v40, v38 offset:1
	s_wait_dscnt 0x1
	v_mov_b32_e32 v39, v35
.LBB82_34:                              ;   in Loop: Header=BB82_2 Depth=1
	s_or_b32 exec_lo, exec_lo, s6
	v_add_nc_u32_e32 v41, 1, v37
	v_add_nc_u32_e32 v42, 1, v38
	s_wait_dscnt 0x0
	v_and_b32_e32 v43, 0xff, v39
	v_and_b32_e32 v44, 0xff, v40
	v_cndmask_b32_e64 v36, v35, v36, s5
	v_cndmask_b32_e64 v37, v41, v37, s5
	v_mov_b32_e32 v35, v28
	v_cndmask_b32_e64 v38, v38, v42, s5
	v_cmp_lt_u16_e64 s6, v44, v43
	s_wait_loadcnt 0x0
	v_cmp_ge_i32_e64 s7, v37, v20
	s_barrier_signal -1
	v_cmp_lt_i32_e64 s8, v38, v21
	s_barrier_wait -1
	global_inv scope:SCOPE_SE
	s_or_b32 s5, s7, s6
	s_wait_alu 0xfffe
	s_and_b32 s5, s8, s5
	s_wait_alu 0xfffe
	v_cndmask_b32_e64 v37, v39, v40, s5
	ds_store_b8 v1, v36
	ds_store_b8 v1, v37 offset:1
	s_wait_loadcnt_dscnt 0x0
	s_barrier_signal -1
	s_barrier_wait -1
	global_inv scope:SCOPE_SE
	s_and_saveexec_b32 s6, s3
	s_cbranch_execz .LBB82_38
; %bb.35:                               ;   in Loop: Header=BB82_2 Depth=1
	v_dual_mov_b32 v35, v28 :: v_dual_mov_b32 v36, v29
	s_mov_b32 s7, 0
.LBB82_36:                              ;   Parent Loop BB82_2 Depth=1
                                        ; =>  This Inner Loop Header: Depth=2
	s_delay_alu instid0(VALU_DEP_1) | instskip(NEXT) | instid1(VALU_DEP_1)
	v_sub_nc_u32_e32 v37, v36, v35
	v_lshrrev_b32_e32 v37, 1, v37
	s_delay_alu instid0(VALU_DEP_1) | instskip(NEXT) | instid1(VALU_DEP_1)
	v_add_nc_u32_e32 v37, v37, v35
	v_add_nc_u32_e32 v38, v18, v37
	v_xad_u32 v39, v37, -1, v33
	v_add_nc_u32_e32 v40, 1, v37
	ds_load_u8 v38, v38
	ds_load_u8 v39, v39
	s_wait_dscnt 0x0
	v_cmp_lt_u16_e64 s5, v39, v38
	s_wait_alu 0xf1ff
	s_delay_alu instid0(VALU_DEP_1) | instskip(SKIP_1) | instid1(VALU_DEP_1)
	v_cndmask_b32_e64 v36, v36, v37, s5
	v_cndmask_b32_e64 v35, v40, v35, s5
	v_cmp_ge_i32_e64 s5, v35, v36
	s_or_b32 s7, s5, s7
	s_delay_alu instid0(SALU_CYCLE_1)
	s_and_not1_b32 exec_lo, exec_lo, s7
	s_cbranch_execnz .LBB82_36
; %bb.37:                               ;   in Loop: Header=BB82_2 Depth=1
	s_or_b32 exec_lo, exec_lo, s7
.LBB82_38:                              ;   in Loop: Header=BB82_2 Depth=1
	s_delay_alu instid0(SALU_CYCLE_1)
	s_or_b32 exec_lo, exec_lo, s6
	v_add_nc_u32_e32 v37, v35, v18
	v_sub_nc_u32_e32 v38, v33, v35
	ds_load_u8 v35, v37
	ds_load_u8 v36, v38
	v_cmp_le_i32_e64 s5, v23, v37
	v_cmp_gt_i32_e64 s7, v24, v38
	s_wait_dscnt 0x1
	v_and_b32_e32 v39, 0xff, v35
	s_wait_dscnt 0x0
	v_and_b32_e32 v40, 0xff, v36
	s_delay_alu instid0(VALU_DEP_1)
	v_cmp_lt_u16_e64 s6, v40, v39
                                        ; implicit-def: $vgpr39
	s_or_b32 s5, s5, s6
	s_wait_alu 0xfffe
	s_and_b32 s5, s7, s5
	s_wait_alu 0xfffe
	s_xor_b32 s6, s5, -1
	s_delay_alu instid0(SALU_CYCLE_1) | instskip(NEXT) | instid1(SALU_CYCLE_1)
	s_and_saveexec_b32 s7, s6
	s_xor_b32 s6, exec_lo, s7
; %bb.39:                               ;   in Loop: Header=BB82_2 Depth=1
	ds_load_u8 v39, v37 offset:1
; %bb.40:                               ;   in Loop: Header=BB82_2 Depth=1
	s_or_saveexec_b32 s6, s6
	v_mov_b32_e32 v40, v36
	s_xor_b32 exec_lo, exec_lo, s6
	s_cbranch_execz .LBB82_42
; %bb.41:                               ;   in Loop: Header=BB82_2 Depth=1
	ds_load_u8 v40, v38 offset:1
	s_wait_dscnt 0x1
	v_mov_b32_e32 v39, v35
.LBB82_42:                              ;   in Loop: Header=BB82_2 Depth=1
	s_or_b32 exec_lo, exec_lo, s6
	v_add_nc_u32_e32 v41, 1, v37
	v_add_nc_u32_e32 v42, 1, v38
	s_wait_dscnt 0x0
	v_and_b32_e32 v43, 0xff, v39
	v_and_b32_e32 v44, 0xff, v40
	v_cndmask_b32_e64 v36, v35, v36, s5
	v_cndmask_b32_e64 v37, v41, v37, s5
	v_mov_b32_e32 v35, v30
	v_cndmask_b32_e64 v38, v38, v42, s5
	v_cmp_lt_u16_e64 s6, v44, v43
	s_wait_loadcnt 0x0
	v_cmp_ge_i32_e64 s7, v37, v23
	s_barrier_signal -1
	v_cmp_lt_i32_e64 s8, v38, v24
	s_barrier_wait -1
	global_inv scope:SCOPE_SE
	s_or_b32 s5, s7, s6
	s_wait_alu 0xfffe
	s_and_b32 s5, s8, s5
	s_wait_alu 0xfffe
	v_cndmask_b32_e64 v37, v39, v40, s5
	ds_store_b8 v1, v36
	ds_store_b8 v1, v37 offset:1
	s_wait_loadcnt_dscnt 0x0
	s_barrier_signal -1
	s_barrier_wait -1
	global_inv scope:SCOPE_SE
	s_and_saveexec_b32 s6, s4
	s_cbranch_execz .LBB82_46
; %bb.43:                               ;   in Loop: Header=BB82_2 Depth=1
	v_dual_mov_b32 v35, v30 :: v_dual_mov_b32 v36, v31
	s_mov_b32 s7, 0
.LBB82_44:                              ;   Parent Loop BB82_2 Depth=1
                                        ; =>  This Inner Loop Header: Depth=2
	s_delay_alu instid0(VALU_DEP_1) | instskip(NEXT) | instid1(VALU_DEP_1)
	v_sub_nc_u32_e32 v37, v36, v35
	v_lshrrev_b32_e32 v37, 1, v37
	s_delay_alu instid0(VALU_DEP_1) | instskip(NEXT) | instid1(VALU_DEP_1)
	v_add_nc_u32_e32 v37, v37, v35
	v_xad_u32 v38, v37, -1, v34
	v_add_nc_u32_e32 v40, 1, v37
	ds_load_u8 v39, v37
	ds_load_u8 v38, v38
	s_wait_dscnt 0x0
	v_cmp_lt_u16_e64 s5, v38, v39
	s_wait_alu 0xf1ff
	s_delay_alu instid0(VALU_DEP_1) | instskip(SKIP_1) | instid1(VALU_DEP_1)
	v_cndmask_b32_e64 v36, v36, v37, s5
	v_cndmask_b32_e64 v35, v40, v35, s5
	v_cmp_ge_i32_e64 s5, v35, v36
	s_or_b32 s7, s5, s7
	s_delay_alu instid0(SALU_CYCLE_1)
	s_and_not1_b32 exec_lo, exec_lo, s7
	s_cbranch_execnz .LBB82_44
; %bb.45:                               ;   in Loop: Header=BB82_2 Depth=1
	s_or_b32 exec_lo, exec_lo, s7
.LBB82_46:                              ;   in Loop: Header=BB82_2 Depth=1
	s_delay_alu instid0(SALU_CYCLE_1)
	s_or_b32 exec_lo, exec_lo, s6
	v_sub_nc_u32_e32 v38, v34, v35
	v_cmp_le_i32_e64 s5, 64, v35
	ds_load_u8 v36, v35
	ds_load_u8 v37, v38
	v_cmp_gt_i32_e64 s7, 0x80, v38
	s_wait_dscnt 0x1
	v_and_b32_e32 v39, 0xff, v36
	s_wait_dscnt 0x0
	v_and_b32_e32 v40, 0xff, v37
	s_delay_alu instid0(VALU_DEP_1)
	v_cmp_lt_u16_e64 s6, v40, v39
                                        ; implicit-def: $vgpr39
                                        ; implicit-def: $vgpr40
	s_or_b32 s5, s5, s6
	s_wait_alu 0xfffe
	s_and_b32 s5, s7, s5
	s_wait_alu 0xfffe
	s_xor_b32 s6, s5, -1
	s_delay_alu instid0(SALU_CYCLE_1) | instskip(NEXT) | instid1(SALU_CYCLE_1)
	s_and_saveexec_b32 s7, s6
	s_xor_b32 s6, exec_lo, s7
; %bb.47:                               ;   in Loop: Header=BB82_2 Depth=1
	ds_load_u8 v39, v35 offset:1
	v_add_nc_u32_e32 v40, 1, v35
                                        ; implicit-def: $vgpr35
; %bb.48:                               ;   in Loop: Header=BB82_2 Depth=1
	s_or_saveexec_b32 s6, s6
	v_mov_b32_e32 v41, v37
	s_xor_b32 exec_lo, exec_lo, s6
	s_cbranch_execz .LBB82_1
; %bb.49:                               ;   in Loop: Header=BB82_2 Depth=1
	ds_load_u8 v41, v38 offset:1
	s_wait_dscnt 0x1
	v_dual_mov_b32 v39, v36 :: v_dual_add_nc_u32 v38, 1, v38
	v_mov_b32_e32 v40, v35
	s_branch .LBB82_1
.LBB82_50:
	s_add_nc_u64 s[0:1], s[10:11], s[12:13]
	s_wait_alu 0xfffe
	v_add_co_u32 v0, s0, s0, v0
	s_wait_alu 0xf1ff
	v_add_co_ci_u32_e64 v1, null, s1, 0, s0
	s_clause 0x1
	global_store_b8 v[0:1], v35, off
	global_store_b8 v[0:1], v36, off offset:64
	s_endpgm
	.section	.rodata,"a",@progbits
	.p2align	6, 0x0
	.amdhsa_kernel _Z16sort_keys_kernelIhLj64ELj2EN10test_utils4lessELj10EEvPKT_PS2_T2_
		.amdhsa_group_segment_fixed_size 129
		.amdhsa_private_segment_fixed_size 0
		.amdhsa_kernarg_size 20
		.amdhsa_user_sgpr_count 2
		.amdhsa_user_sgpr_dispatch_ptr 0
		.amdhsa_user_sgpr_queue_ptr 0
		.amdhsa_user_sgpr_kernarg_segment_ptr 1
		.amdhsa_user_sgpr_dispatch_id 0
		.amdhsa_user_sgpr_private_segment_size 0
		.amdhsa_wavefront_size32 1
		.amdhsa_uses_dynamic_stack 0
		.amdhsa_enable_private_segment 0
		.amdhsa_system_sgpr_workgroup_id_x 1
		.amdhsa_system_sgpr_workgroup_id_y 0
		.amdhsa_system_sgpr_workgroup_id_z 0
		.amdhsa_system_sgpr_workgroup_info 0
		.amdhsa_system_vgpr_workitem_id 0
		.amdhsa_next_free_vgpr 45
		.amdhsa_next_free_sgpr 14
		.amdhsa_reserve_vcc 1
		.amdhsa_float_round_mode_32 0
		.amdhsa_float_round_mode_16_64 0
		.amdhsa_float_denorm_mode_32 3
		.amdhsa_float_denorm_mode_16_64 3
		.amdhsa_fp16_overflow 0
		.amdhsa_workgroup_processor_mode 1
		.amdhsa_memory_ordered 1
		.amdhsa_forward_progress 1
		.amdhsa_inst_pref_size 26
		.amdhsa_round_robin_scheduling 0
		.amdhsa_exception_fp_ieee_invalid_op 0
		.amdhsa_exception_fp_denorm_src 0
		.amdhsa_exception_fp_ieee_div_zero 0
		.amdhsa_exception_fp_ieee_overflow 0
		.amdhsa_exception_fp_ieee_underflow 0
		.amdhsa_exception_fp_ieee_inexact 0
		.amdhsa_exception_int_div_zero 0
	.end_amdhsa_kernel
	.section	.text._Z16sort_keys_kernelIhLj64ELj2EN10test_utils4lessELj10EEvPKT_PS2_T2_,"axG",@progbits,_Z16sort_keys_kernelIhLj64ELj2EN10test_utils4lessELj10EEvPKT_PS2_T2_,comdat
.Lfunc_end82:
	.size	_Z16sort_keys_kernelIhLj64ELj2EN10test_utils4lessELj10EEvPKT_PS2_T2_, .Lfunc_end82-_Z16sort_keys_kernelIhLj64ELj2EN10test_utils4lessELj10EEvPKT_PS2_T2_
                                        ; -- End function
	.set _Z16sort_keys_kernelIhLj64ELj2EN10test_utils4lessELj10EEvPKT_PS2_T2_.num_vgpr, 45
	.set _Z16sort_keys_kernelIhLj64ELj2EN10test_utils4lessELj10EEvPKT_PS2_T2_.num_agpr, 0
	.set _Z16sort_keys_kernelIhLj64ELj2EN10test_utils4lessELj10EEvPKT_PS2_T2_.numbered_sgpr, 14
	.set _Z16sort_keys_kernelIhLj64ELj2EN10test_utils4lessELj10EEvPKT_PS2_T2_.num_named_barrier, 0
	.set _Z16sort_keys_kernelIhLj64ELj2EN10test_utils4lessELj10EEvPKT_PS2_T2_.private_seg_size, 0
	.set _Z16sort_keys_kernelIhLj64ELj2EN10test_utils4lessELj10EEvPKT_PS2_T2_.uses_vcc, 1
	.set _Z16sort_keys_kernelIhLj64ELj2EN10test_utils4lessELj10EEvPKT_PS2_T2_.uses_flat_scratch, 0
	.set _Z16sort_keys_kernelIhLj64ELj2EN10test_utils4lessELj10EEvPKT_PS2_T2_.has_dyn_sized_stack, 0
	.set _Z16sort_keys_kernelIhLj64ELj2EN10test_utils4lessELj10EEvPKT_PS2_T2_.has_recursion, 0
	.set _Z16sort_keys_kernelIhLj64ELj2EN10test_utils4lessELj10EEvPKT_PS2_T2_.has_indirect_call, 0
	.section	.AMDGPU.csdata,"",@progbits
; Kernel info:
; codeLenInByte = 3324
; TotalNumSgprs: 16
; NumVgprs: 45
; ScratchSize: 0
; MemoryBound: 0
; FloatMode: 240
; IeeeMode: 1
; LDSByteSize: 129 bytes/workgroup (compile time only)
; SGPRBlocks: 0
; VGPRBlocks: 5
; NumSGPRsForWavesPerEU: 16
; NumVGPRsForWavesPerEU: 45
; Occupancy: 16
; WaveLimiterHint : 0
; COMPUTE_PGM_RSRC2:SCRATCH_EN: 0
; COMPUTE_PGM_RSRC2:USER_SGPR: 2
; COMPUTE_PGM_RSRC2:TRAP_HANDLER: 0
; COMPUTE_PGM_RSRC2:TGID_X_EN: 1
; COMPUTE_PGM_RSRC2:TGID_Y_EN: 0
; COMPUTE_PGM_RSRC2:TGID_Z_EN: 0
; COMPUTE_PGM_RSRC2:TIDIG_COMP_CNT: 0
	.section	.text._Z17sort_pairs_kernelIhLj64ELj2EN10test_utils4lessELj10EEvPKT_PS2_T2_,"axG",@progbits,_Z17sort_pairs_kernelIhLj64ELj2EN10test_utils4lessELj10EEvPKT_PS2_T2_,comdat
	.protected	_Z17sort_pairs_kernelIhLj64ELj2EN10test_utils4lessELj10EEvPKT_PS2_T2_ ; -- Begin function _Z17sort_pairs_kernelIhLj64ELj2EN10test_utils4lessELj10EEvPKT_PS2_T2_
	.globl	_Z17sort_pairs_kernelIhLj64ELj2EN10test_utils4lessELj10EEvPKT_PS2_T2_
	.p2align	8
	.type	_Z17sort_pairs_kernelIhLj64ELj2EN10test_utils4lessELj10EEvPKT_PS2_T2_,@function
_Z17sort_pairs_kernelIhLj64ELj2EN10test_utils4lessELj10EEvPKT_PS2_T2_: ; @_Z17sort_pairs_kernelIhLj64ELj2EN10test_utils4lessELj10EEvPKT_PS2_T2_
; %bb.0:
	s_load_b128 s[8:11], s[0:1], 0x0
	s_lshl_b32 s12, ttmp9, 7
	s_mov_b32 s13, 0
	v_lshlrev_b32_e32 v1, 1, v0
	s_delay_alu instid0(VALU_DEP_1)
	v_and_b32_e32 v2, 0x7c, v1
	v_and_b32_e32 v3, 0x78, v1
	;; [unrolled: 1-line block ×5, first 2 shown]
	v_or_b32_e32 v9, 2, v2
	v_add_nc_u32_e32 v10, 4, v2
	v_or_b32_e32 v11, 4, v3
	v_add_nc_u32_e32 v12, 8, v3
	v_and_b32_e32 v5, 0x60, v1
	v_or_b32_e32 v13, 8, v4
	v_sub_nc_u32_e32 v34, v10, v9
	s_wait_kmcnt 0x0
	s_add_nc_u64 s[0:1], s[8:9], s[12:13]
	v_add_nc_u32_e32 v14, 16, v4
	s_clause 0x1
	global_load_u8 v38, v0, s[0:1]
	global_load_u8 v37, v0, s[0:1] offset:64
	v_sub_nc_u32_e32 v24, v9, v2
	v_sub_nc_u32_e32 v35, v12, v11
	;; [unrolled: 1-line block ×3, first 2 shown]
	v_cmp_ge_i32_e64 s0, v29, v34
	v_and_b32_e32 v31, 14, v1
	v_and_b32_e32 v6, 64, v1
	v_or_b32_e32 v15, 16, v5
	v_add_nc_u32_e32 v16, 32, v5
	v_add_nc_u32_e32 v19, v9, v29
	v_sub_nc_u32_e32 v25, v11, v3
	v_sub_nc_u32_e32 v36, v14, v13
	v_min_i32_e32 v24, v29, v24
	v_sub_nc_u32_e32 v42, v30, v35
	v_cndmask_b32_e64 v29, 0, v41, s0
	v_cmp_ge_i32_e64 s0, v30, v35
	v_and_b32_e32 v32, 30, v1
	v_or_b32_e32 v17, 32, v6
	v_add_nc_u32_e32 v18, 64, v6
	v_add_nc_u32_e32 v20, v11, v30
	v_sub_nc_u32_e32 v26, v13, v4
	v_sub_nc_u32_e32 v39, v16, v15
	v_min_i32_e32 v25, v30, v25
	v_sub_nc_u32_e32 v43, v31, v36
	s_wait_alu 0xf1ff
	v_cndmask_b32_e64 v30, 0, v42, s0
	v_cmp_ge_i32_e64 s0, v31, v36
	v_and_b32_e32 v33, 62, v1
	v_add_nc_u32_e32 v21, v13, v31
	v_sub_nc_u32_e32 v27, v15, v5
	v_sub_nc_u32_e32 v40, v18, v17
	v_min_i32_e32 v26, v31, v26
	v_sub_nc_u32_e32 v44, v32, v39
	s_wait_alu 0xf1ff
	v_cndmask_b32_e64 v31, 0, v43, s0
	v_cmp_ge_i32_e64 s0, v32, v39
	v_add_nc_u32_e32 v22, v15, v32
	v_sub_nc_u32_e32 v28, v17, v6
	v_min_i32_e32 v27, v32, v27
	v_sub_nc_u32_e32 v45, v33, v40
	s_wait_alu 0xf1ff
	v_cndmask_b32_e64 v32, 0, v44, s0
	v_cmp_ge_i32_e64 s0, v33, v40
	v_add_nc_u32_e32 v23, v17, v33
	v_min_i32_e32 v28, v33, v28
	v_sub_nc_u32_e64 v7, v1, 64 clamp
	v_min_i32_e32 v8, 64, v1
	s_wait_alu 0xf1ff
	v_cndmask_b32_e64 v33, 0, v45, s0
	v_cmp_lt_i32_e64 s0, v29, v24
	v_cmp_lt_i32_e64 s1, v30, v25
	;; [unrolled: 1-line block ×5, first 2 shown]
	v_add_nc_u32_e32 v34, 64, v1
	s_mov_b32 s9, s13
	v_cmp_lt_i32_e32 vcc_lo, v7, v8
	s_wait_loadcnt 0x1
	v_add_nc_u16 v36, v38, 1
	s_wait_loadcnt 0x0
	v_add_nc_u16 v35, v37, 1
	s_branch .LBB83_2
.LBB83_1:                               ;   in Loop: Header=BB83_2 Depth=1
	s_or_b32 exec_lo, exec_lo, s6
	s_wait_dscnt 0x0
	s_delay_alu instid0(VALU_DEP_1)
	v_and_b32_e32 v37, 0xff, v42
	v_and_b32_e32 v45, 0xff, v44
	v_cmp_le_i32_e64 s7, 64, v41
	v_cmp_gt_i32_e64 s6, 0x80, v40
	s_wait_loadcnt 0x0
	s_barrier_signal -1
	v_cmp_lt_u16_e64 s8, v45, v37
	s_barrier_wait -1
	global_inv scope:SCOPE_SE
	ds_store_b8 v1, v35
	ds_store_b8 v1, v36 offset:1
	s_wait_loadcnt_dscnt 0x0
	s_or_b32 s7, s7, s8
	s_barrier_signal -1
	s_wait_alu 0xfffe
	s_and_b32 s6, s6, s7
	s_barrier_wait -1
	s_wait_alu 0xfffe
	v_cndmask_b32_e64 v35, v41, v40, s6
	global_inv scope:SCOPE_SE
	v_cndmask_b32_e64 v37, v42, v44, s6
	ds_load_u8 v36, v43
	ds_load_u8 v35, v35
	v_cndmask_b32_e64 v38, v38, v39, s5
	s_add_co_i32 s9, s9, 1
	s_delay_alu instid0(SALU_CYCLE_1)
	s_cmp_eq_u32 s9, 10
	s_cbranch_scc1 .LBB83_50
.LBB83_2:                               ; =>This Loop Header: Depth=1
                                        ;     Child Loop BB83_4 Depth 2
                                        ;     Child Loop BB83_12 Depth 2
	;; [unrolled: 1-line block ×6, first 2 shown]
	s_delay_alu instid0(VALU_DEP_1) | instskip(SKIP_4) | instid1(VALU_DEP_3)
	v_and_b32_e32 v39, 0xff, v38
	v_and_b32_e32 v40, 0xff, v37
	v_perm_b32 v41, v37, v38, 0xc0c0004
	v_perm_b32 v37, v38, v37, 0xc0c0004
	s_barrier_signal -1
	v_cmp_lt_u16_e64 s5, v40, v39
	s_barrier_wait -1
	global_inv scope:SCOPE_SE
	s_wait_alu 0xf1ff
	v_cndmask_b32_e64 v38, v37, v41, s5
	v_mov_b32_e32 v37, v29
	s_delay_alu instid0(VALU_DEP_2)
	v_lshrrev_b16 v39, 8, v38
	ds_store_b8 v1, v38
	ds_store_b8 v1, v39 offset:1
	s_wait_loadcnt_dscnt 0x0
	s_barrier_signal -1
	s_barrier_wait -1
	global_inv scope:SCOPE_SE
	s_and_saveexec_b32 s7, s0
	s_cbranch_execz .LBB83_6
; %bb.3:                                ;   in Loop: Header=BB83_2 Depth=1
	v_dual_mov_b32 v37, v29 :: v_dual_mov_b32 v38, v24
	s_mov_b32 s8, 0
.LBB83_4:                               ;   Parent Loop BB83_2 Depth=1
                                        ; =>  This Inner Loop Header: Depth=2
	s_delay_alu instid0(VALU_DEP_1) | instskip(NEXT) | instid1(VALU_DEP_1)
	v_sub_nc_u32_e32 v39, v38, v37
	v_lshrrev_b32_e32 v39, 1, v39
	s_delay_alu instid0(VALU_DEP_1) | instskip(NEXT) | instid1(VALU_DEP_1)
	v_add_nc_u32_e32 v39, v39, v37
	v_add_nc_u32_e32 v40, v2, v39
	v_xad_u32 v41, v39, -1, v19
	v_add_nc_u32_e32 v42, 1, v39
	ds_load_u8 v40, v40
	ds_load_u8 v41, v41
	s_wait_dscnt 0x0
	v_cmp_lt_u16_e64 s6, v41, v40
	s_wait_alu 0xf1ff
	s_delay_alu instid0(VALU_DEP_1) | instskip(SKIP_1) | instid1(VALU_DEP_1)
	v_cndmask_b32_e64 v38, v38, v39, s6
	v_cndmask_b32_e64 v37, v42, v37, s6
	v_cmp_ge_i32_e64 s6, v37, v38
	s_or_b32 s8, s6, s8
	s_delay_alu instid0(SALU_CYCLE_1)
	s_and_not1_b32 exec_lo, exec_lo, s8
	s_cbranch_execnz .LBB83_4
; %bb.5:                                ;   in Loop: Header=BB83_2 Depth=1
	s_or_b32 exec_lo, exec_lo, s8
.LBB83_6:                               ;   in Loop: Header=BB83_2 Depth=1
	s_wait_alu 0xfffe
	s_or_b32 exec_lo, exec_lo, s7
	v_add_nc_u32_e32 v39, v37, v2
	v_sub_nc_u32_e32 v40, v19, v37
	ds_load_u8 v37, v39
	ds_load_u8 v38, v40
	v_cmp_le_i32_e64 s6, v9, v39
	v_cmp_gt_i32_e64 s8, v10, v40
	s_wait_dscnt 0x1
	v_and_b32_e32 v41, 0xff, v37
	s_wait_dscnt 0x0
	v_and_b32_e32 v42, 0xff, v38
	s_delay_alu instid0(VALU_DEP_1)
	v_cmp_lt_u16_e64 s7, v42, v41
                                        ; implicit-def: $vgpr41
	s_or_b32 s6, s6, s7
	s_wait_alu 0xfffe
	s_and_b32 s6, s8, s6
	s_wait_alu 0xfffe
	s_xor_b32 s7, s6, -1
	s_wait_alu 0xfffe
	s_and_saveexec_b32 s8, s7
	s_delay_alu instid0(SALU_CYCLE_1)
	s_xor_b32 s7, exec_lo, s8
; %bb.7:                                ;   in Loop: Header=BB83_2 Depth=1
	ds_load_u8 v41, v39 offset:1
; %bb.8:                                ;   in Loop: Header=BB83_2 Depth=1
	s_wait_alu 0xfffe
	s_or_saveexec_b32 s7, s7
	v_mov_b32_e32 v42, v38
	s_wait_alu 0xfffe
	s_xor_b32 exec_lo, exec_lo, s7
	s_cbranch_execz .LBB83_10
; %bb.9:                                ;   in Loop: Header=BB83_2 Depth=1
	ds_load_u8 v42, v40 offset:1
	s_wait_dscnt 0x1
	v_mov_b32_e32 v41, v37
.LBB83_10:                              ;   in Loop: Header=BB83_2 Depth=1
	s_or_b32 exec_lo, exec_lo, s7
	v_add_nc_u32_e32 v43, 1, v39
	v_add_nc_u32_e32 v44, 1, v40
	s_wait_dscnt 0x0
	v_and_b32_e32 v46, 0xff, v41
	v_and_b32_e32 v47, 0xff, v42
	v_perm_b32 v45, v35, v36, 0xc0c0004
	v_cndmask_b32_e64 v43, v43, v39, s6
	v_perm_b32 v35, v36, v35, 0xc0c0004
	v_cndmask_b32_e64 v36, v40, v44, s6
	v_cmp_lt_u16_e64 s7, v47, v46
	v_cndmask_b32_e64 v39, v39, v40, s6
	v_cmp_ge_i32_e64 s8, v43, v9
	v_cndmask_b32_e64 v35, v35, v45, s5
	v_cmp_lt_i32_e64 s5, v36, v10
	s_wait_loadcnt 0x0
	s_barrier_signal -1
	s_or_b32 s7, s8, s7
	v_lshrrev_b16 v40, 8, v35
	s_wait_alu 0xfffe
	s_and_b32 s5, s5, s7
	s_barrier_wait -1
	s_wait_alu 0xfffe
	v_cndmask_b32_e64 v36, v43, v36, s5
	global_inv scope:SCOPE_SE
	ds_store_b8 v1, v35
	ds_store_b8 v1, v40 offset:1
	s_wait_loadcnt_dscnt 0x0
	s_barrier_signal -1
	s_barrier_wait -1
	global_inv scope:SCOPE_SE
	ds_load_u8 v35, v39
	ds_load_u8 v36, v36
	v_cndmask_b32_e64 v37, v37, v38, s6
	v_cndmask_b32_e64 v41, v41, v42, s5
	s_wait_loadcnt_dscnt 0x0
	s_barrier_signal -1
	s_barrier_wait -1
	global_inv scope:SCOPE_SE
	ds_store_b8 v1, v37
	ds_store_b8 v1, v41 offset:1
	v_mov_b32_e32 v37, v30
	s_wait_loadcnt_dscnt 0x0
	s_barrier_signal -1
	s_barrier_wait -1
	global_inv scope:SCOPE_SE
	s_and_saveexec_b32 s6, s1
	s_cbranch_execz .LBB83_14
; %bb.11:                               ;   in Loop: Header=BB83_2 Depth=1
	v_dual_mov_b32 v37, v30 :: v_dual_mov_b32 v38, v25
	s_mov_b32 s7, 0
.LBB83_12:                              ;   Parent Loop BB83_2 Depth=1
                                        ; =>  This Inner Loop Header: Depth=2
	s_delay_alu instid0(VALU_DEP_1) | instskip(NEXT) | instid1(VALU_DEP_1)
	v_sub_nc_u32_e32 v39, v38, v37
	v_lshrrev_b32_e32 v39, 1, v39
	s_delay_alu instid0(VALU_DEP_1) | instskip(NEXT) | instid1(VALU_DEP_1)
	v_add_nc_u32_e32 v39, v39, v37
	v_add_nc_u32_e32 v40, v3, v39
	v_xad_u32 v41, v39, -1, v20
	v_add_nc_u32_e32 v42, 1, v39
	ds_load_u8 v40, v40
	ds_load_u8 v41, v41
	s_wait_dscnt 0x0
	v_cmp_lt_u16_e64 s5, v41, v40
	s_wait_alu 0xf1ff
	s_delay_alu instid0(VALU_DEP_1) | instskip(SKIP_1) | instid1(VALU_DEP_1)
	v_cndmask_b32_e64 v38, v38, v39, s5
	v_cndmask_b32_e64 v37, v42, v37, s5
	v_cmp_ge_i32_e64 s5, v37, v38
	s_wait_alu 0xfffe
	s_or_b32 s7, s5, s7
	s_wait_alu 0xfffe
	s_and_not1_b32 exec_lo, exec_lo, s7
	s_cbranch_execnz .LBB83_12
; %bb.13:                               ;   in Loop: Header=BB83_2 Depth=1
	s_or_b32 exec_lo, exec_lo, s7
.LBB83_14:                              ;   in Loop: Header=BB83_2 Depth=1
	s_wait_alu 0xfffe
	s_or_b32 exec_lo, exec_lo, s6
	v_add_nc_u32_e32 v40, v37, v3
	v_sub_nc_u32_e32 v39, v20, v37
	ds_load_u8 v37, v40
	ds_load_u8 v38, v39
	v_cmp_le_i32_e64 s5, v11, v40
	v_cmp_gt_i32_e64 s7, v12, v39
	s_wait_dscnt 0x1
	v_and_b32_e32 v41, 0xff, v37
	s_wait_dscnt 0x0
	v_and_b32_e32 v42, 0xff, v38
	s_delay_alu instid0(VALU_DEP_1)
	v_cmp_lt_u16_e64 s6, v42, v41
                                        ; implicit-def: $vgpr41
	s_or_b32 s5, s5, s6
	s_wait_alu 0xfffe
	s_and_b32 s5, s7, s5
	s_wait_alu 0xfffe
	s_xor_b32 s6, s5, -1
	s_wait_alu 0xfffe
	s_and_saveexec_b32 s7, s6
	s_wait_alu 0xfffe
	s_xor_b32 s6, exec_lo, s7
; %bb.15:                               ;   in Loop: Header=BB83_2 Depth=1
	ds_load_u8 v41, v40 offset:1
; %bb.16:                               ;   in Loop: Header=BB83_2 Depth=1
	s_wait_alu 0xfffe
	s_or_saveexec_b32 s6, s6
	v_mov_b32_e32 v42, v38
	s_wait_alu 0xfffe
	s_xor_b32 exec_lo, exec_lo, s6
	s_cbranch_execz .LBB83_18
; %bb.17:                               ;   in Loop: Header=BB83_2 Depth=1
	ds_load_u8 v42, v39 offset:1
	s_wait_dscnt 0x1
	v_mov_b32_e32 v41, v37
.LBB83_18:                              ;   in Loop: Header=BB83_2 Depth=1
	s_or_b32 exec_lo, exec_lo, s6
	v_add_nc_u32_e32 v43, 1, v40
	v_add_nc_u32_e32 v44, 1, v39
	s_wait_dscnt 0x0
	v_and_b32_e32 v45, 0xff, v41
	v_and_b32_e32 v46, 0xff, v42
	s_wait_loadcnt 0x0
	v_cndmask_b32_e64 v43, v43, v40, s5
	v_cndmask_b32_e64 v40, v40, v39, s5
	;; [unrolled: 1-line block ×3, first 2 shown]
	v_cmp_lt_u16_e64 s6, v46, v45
	s_barrier_signal -1
	v_cmp_ge_i32_e64 s7, v43, v11
	s_barrier_wait -1
	v_cmp_lt_i32_e64 s8, v39, v12
	global_inv scope:SCOPE_SE
	ds_store_b8 v1, v35
	ds_store_b8 v1, v36 offset:1
	s_or_b32 s6, s7, s6
	s_wait_loadcnt_dscnt 0x0
	s_wait_alu 0xfffe
	s_and_b32 s6, s8, s6
	s_barrier_signal -1
	s_wait_alu 0xfffe
	v_cndmask_b32_e64 v36, v43, v39, s6
	s_barrier_wait -1
	global_inv scope:SCOPE_SE
	v_cndmask_b32_e64 v37, v37, v38, s5
	ds_load_u8 v35, v40
	ds_load_u8 v36, v36
	v_cndmask_b32_e64 v41, v41, v42, s6
	s_wait_loadcnt_dscnt 0x0
	s_barrier_signal -1
	s_barrier_wait -1
	global_inv scope:SCOPE_SE
	ds_store_b8 v1, v37
	ds_store_b8 v1, v41 offset:1
	v_mov_b32_e32 v37, v31
	s_wait_loadcnt_dscnt 0x0
	s_barrier_signal -1
	s_barrier_wait -1
	global_inv scope:SCOPE_SE
	s_and_saveexec_b32 s6, s2
	s_cbranch_execz .LBB83_22
; %bb.19:                               ;   in Loop: Header=BB83_2 Depth=1
	v_dual_mov_b32 v37, v31 :: v_dual_mov_b32 v38, v26
	s_mov_b32 s7, 0
.LBB83_20:                              ;   Parent Loop BB83_2 Depth=1
                                        ; =>  This Inner Loop Header: Depth=2
	s_delay_alu instid0(VALU_DEP_1) | instskip(NEXT) | instid1(VALU_DEP_1)
	v_sub_nc_u32_e32 v39, v38, v37
	v_lshrrev_b32_e32 v39, 1, v39
	s_delay_alu instid0(VALU_DEP_1) | instskip(NEXT) | instid1(VALU_DEP_1)
	v_add_nc_u32_e32 v39, v39, v37
	v_add_nc_u32_e32 v40, v4, v39
	v_xad_u32 v41, v39, -1, v21
	v_add_nc_u32_e32 v42, 1, v39
	ds_load_u8 v40, v40
	ds_load_u8 v41, v41
	s_wait_dscnt 0x0
	v_cmp_lt_u16_e64 s5, v41, v40
	s_wait_alu 0xf1ff
	s_delay_alu instid0(VALU_DEP_1) | instskip(SKIP_1) | instid1(VALU_DEP_1)
	v_cndmask_b32_e64 v38, v38, v39, s5
	v_cndmask_b32_e64 v37, v42, v37, s5
	v_cmp_ge_i32_e64 s5, v37, v38
	s_wait_alu 0xfffe
	s_or_b32 s7, s5, s7
	s_wait_alu 0xfffe
	s_and_not1_b32 exec_lo, exec_lo, s7
	s_cbranch_execnz .LBB83_20
; %bb.21:                               ;   in Loop: Header=BB83_2 Depth=1
	s_or_b32 exec_lo, exec_lo, s7
.LBB83_22:                              ;   in Loop: Header=BB83_2 Depth=1
	s_wait_alu 0xfffe
	s_or_b32 exec_lo, exec_lo, s6
	v_add_nc_u32_e32 v40, v37, v4
	v_sub_nc_u32_e32 v39, v21, v37
	ds_load_u8 v37, v40
	ds_load_u8 v38, v39
	v_cmp_le_i32_e64 s5, v13, v40
	v_cmp_gt_i32_e64 s7, v14, v39
	s_wait_dscnt 0x1
	v_and_b32_e32 v41, 0xff, v37
	s_wait_dscnt 0x0
	v_and_b32_e32 v42, 0xff, v38
	s_delay_alu instid0(VALU_DEP_1)
	v_cmp_lt_u16_e64 s6, v42, v41
                                        ; implicit-def: $vgpr41
	s_or_b32 s5, s5, s6
	s_wait_alu 0xfffe
	s_and_b32 s5, s7, s5
	s_wait_alu 0xfffe
	s_xor_b32 s6, s5, -1
	s_wait_alu 0xfffe
	s_and_saveexec_b32 s7, s6
	s_wait_alu 0xfffe
	s_xor_b32 s6, exec_lo, s7
; %bb.23:                               ;   in Loop: Header=BB83_2 Depth=1
	ds_load_u8 v41, v40 offset:1
; %bb.24:                               ;   in Loop: Header=BB83_2 Depth=1
	s_wait_alu 0xfffe
	s_or_saveexec_b32 s6, s6
	v_mov_b32_e32 v42, v38
	s_wait_alu 0xfffe
	s_xor_b32 exec_lo, exec_lo, s6
	s_cbranch_execz .LBB83_26
; %bb.25:                               ;   in Loop: Header=BB83_2 Depth=1
	ds_load_u8 v42, v39 offset:1
	s_wait_dscnt 0x1
	v_mov_b32_e32 v41, v37
.LBB83_26:                              ;   in Loop: Header=BB83_2 Depth=1
	s_or_b32 exec_lo, exec_lo, s6
	v_add_nc_u32_e32 v43, 1, v40
	v_add_nc_u32_e32 v44, 1, v39
	s_wait_dscnt 0x0
	v_and_b32_e32 v45, 0xff, v41
	v_and_b32_e32 v46, 0xff, v42
	s_wait_loadcnt 0x0
	v_cndmask_b32_e64 v43, v43, v40, s5
	v_cndmask_b32_e64 v40, v40, v39, s5
	;; [unrolled: 1-line block ×3, first 2 shown]
	v_cmp_lt_u16_e64 s6, v46, v45
	s_barrier_signal -1
	v_cmp_ge_i32_e64 s7, v43, v13
	s_barrier_wait -1
	v_cmp_lt_i32_e64 s8, v39, v14
	global_inv scope:SCOPE_SE
	ds_store_b8 v1, v35
	ds_store_b8 v1, v36 offset:1
	s_or_b32 s6, s7, s6
	s_wait_loadcnt_dscnt 0x0
	s_wait_alu 0xfffe
	s_and_b32 s6, s8, s6
	s_barrier_signal -1
	s_wait_alu 0xfffe
	v_cndmask_b32_e64 v36, v43, v39, s6
	s_barrier_wait -1
	global_inv scope:SCOPE_SE
	v_cndmask_b32_e64 v37, v37, v38, s5
	ds_load_u8 v35, v40
	ds_load_u8 v36, v36
	v_cndmask_b32_e64 v41, v41, v42, s6
	s_wait_loadcnt_dscnt 0x0
	s_barrier_signal -1
	s_barrier_wait -1
	global_inv scope:SCOPE_SE
	ds_store_b8 v1, v37
	ds_store_b8 v1, v41 offset:1
	v_mov_b32_e32 v37, v32
	s_wait_loadcnt_dscnt 0x0
	s_barrier_signal -1
	s_barrier_wait -1
	global_inv scope:SCOPE_SE
	s_and_saveexec_b32 s6, s3
	s_cbranch_execz .LBB83_30
; %bb.27:                               ;   in Loop: Header=BB83_2 Depth=1
	v_dual_mov_b32 v37, v32 :: v_dual_mov_b32 v38, v27
	s_mov_b32 s7, 0
.LBB83_28:                              ;   Parent Loop BB83_2 Depth=1
                                        ; =>  This Inner Loop Header: Depth=2
	s_delay_alu instid0(VALU_DEP_1) | instskip(NEXT) | instid1(VALU_DEP_1)
	v_sub_nc_u32_e32 v39, v38, v37
	v_lshrrev_b32_e32 v39, 1, v39
	s_delay_alu instid0(VALU_DEP_1) | instskip(NEXT) | instid1(VALU_DEP_1)
	v_add_nc_u32_e32 v39, v39, v37
	v_add_nc_u32_e32 v40, v5, v39
	v_xad_u32 v41, v39, -1, v22
	v_add_nc_u32_e32 v42, 1, v39
	ds_load_u8 v40, v40
	ds_load_u8 v41, v41
	s_wait_dscnt 0x0
	v_cmp_lt_u16_e64 s5, v41, v40
	s_wait_alu 0xf1ff
	s_delay_alu instid0(VALU_DEP_1) | instskip(SKIP_1) | instid1(VALU_DEP_1)
	v_cndmask_b32_e64 v38, v38, v39, s5
	v_cndmask_b32_e64 v37, v42, v37, s5
	v_cmp_ge_i32_e64 s5, v37, v38
	s_wait_alu 0xfffe
	s_or_b32 s7, s5, s7
	s_wait_alu 0xfffe
	s_and_not1_b32 exec_lo, exec_lo, s7
	s_cbranch_execnz .LBB83_28
; %bb.29:                               ;   in Loop: Header=BB83_2 Depth=1
	s_or_b32 exec_lo, exec_lo, s7
.LBB83_30:                              ;   in Loop: Header=BB83_2 Depth=1
	s_wait_alu 0xfffe
	s_or_b32 exec_lo, exec_lo, s6
	v_add_nc_u32_e32 v40, v37, v5
	v_sub_nc_u32_e32 v39, v22, v37
	ds_load_u8 v37, v40
	ds_load_u8 v38, v39
	v_cmp_le_i32_e64 s5, v15, v40
	v_cmp_gt_i32_e64 s7, v16, v39
	s_wait_dscnt 0x1
	v_and_b32_e32 v41, 0xff, v37
	s_wait_dscnt 0x0
	v_and_b32_e32 v42, 0xff, v38
	s_delay_alu instid0(VALU_DEP_1)
	v_cmp_lt_u16_e64 s6, v42, v41
                                        ; implicit-def: $vgpr41
	s_or_b32 s5, s5, s6
	s_wait_alu 0xfffe
	s_and_b32 s5, s7, s5
	s_wait_alu 0xfffe
	s_xor_b32 s6, s5, -1
	s_wait_alu 0xfffe
	s_and_saveexec_b32 s7, s6
	s_wait_alu 0xfffe
	s_xor_b32 s6, exec_lo, s7
; %bb.31:                               ;   in Loop: Header=BB83_2 Depth=1
	ds_load_u8 v41, v40 offset:1
; %bb.32:                               ;   in Loop: Header=BB83_2 Depth=1
	s_wait_alu 0xfffe
	s_or_saveexec_b32 s6, s6
	v_mov_b32_e32 v42, v38
	s_wait_alu 0xfffe
	s_xor_b32 exec_lo, exec_lo, s6
	s_cbranch_execz .LBB83_34
; %bb.33:                               ;   in Loop: Header=BB83_2 Depth=1
	ds_load_u8 v42, v39 offset:1
	s_wait_dscnt 0x1
	v_mov_b32_e32 v41, v37
.LBB83_34:                              ;   in Loop: Header=BB83_2 Depth=1
	s_or_b32 exec_lo, exec_lo, s6
	v_add_nc_u32_e32 v43, 1, v40
	v_add_nc_u32_e32 v44, 1, v39
	s_wait_dscnt 0x0
	v_and_b32_e32 v45, 0xff, v41
	v_and_b32_e32 v46, 0xff, v42
	s_wait_loadcnt 0x0
	v_cndmask_b32_e64 v43, v43, v40, s5
	v_cndmask_b32_e64 v40, v40, v39, s5
	v_cndmask_b32_e64 v39, v39, v44, s5
	v_cmp_lt_u16_e64 s6, v46, v45
	s_barrier_signal -1
	v_cmp_ge_i32_e64 s7, v43, v15
	s_barrier_wait -1
	v_cmp_lt_i32_e64 s8, v39, v16
	global_inv scope:SCOPE_SE
	ds_store_b8 v1, v35
	ds_store_b8 v1, v36 offset:1
	s_or_b32 s6, s7, s6
	s_wait_loadcnt_dscnt 0x0
	s_wait_alu 0xfffe
	s_and_b32 s6, s8, s6
	s_barrier_signal -1
	s_wait_alu 0xfffe
	v_cndmask_b32_e64 v36, v43, v39, s6
	s_barrier_wait -1
	global_inv scope:SCOPE_SE
	v_cndmask_b32_e64 v37, v37, v38, s5
	ds_load_u8 v35, v40
	ds_load_u8 v36, v36
	v_cndmask_b32_e64 v41, v41, v42, s6
	s_wait_loadcnt_dscnt 0x0
	s_barrier_signal -1
	s_barrier_wait -1
	global_inv scope:SCOPE_SE
	ds_store_b8 v1, v37
	ds_store_b8 v1, v41 offset:1
	v_mov_b32_e32 v37, v33
	s_wait_loadcnt_dscnt 0x0
	s_barrier_signal -1
	s_barrier_wait -1
	global_inv scope:SCOPE_SE
	s_and_saveexec_b32 s6, s4
	s_cbranch_execz .LBB83_38
; %bb.35:                               ;   in Loop: Header=BB83_2 Depth=1
	v_dual_mov_b32 v37, v33 :: v_dual_mov_b32 v38, v28
	s_mov_b32 s7, 0
.LBB83_36:                              ;   Parent Loop BB83_2 Depth=1
                                        ; =>  This Inner Loop Header: Depth=2
	s_delay_alu instid0(VALU_DEP_1) | instskip(NEXT) | instid1(VALU_DEP_1)
	v_sub_nc_u32_e32 v39, v38, v37
	v_lshrrev_b32_e32 v39, 1, v39
	s_delay_alu instid0(VALU_DEP_1) | instskip(NEXT) | instid1(VALU_DEP_1)
	v_add_nc_u32_e32 v39, v39, v37
	v_add_nc_u32_e32 v40, v6, v39
	v_xad_u32 v41, v39, -1, v23
	v_add_nc_u32_e32 v42, 1, v39
	ds_load_u8 v40, v40
	ds_load_u8 v41, v41
	s_wait_dscnt 0x0
	v_cmp_lt_u16_e64 s5, v41, v40
	s_wait_alu 0xf1ff
	s_delay_alu instid0(VALU_DEP_1) | instskip(SKIP_1) | instid1(VALU_DEP_1)
	v_cndmask_b32_e64 v38, v38, v39, s5
	v_cndmask_b32_e64 v37, v42, v37, s5
	v_cmp_ge_i32_e64 s5, v37, v38
	s_wait_alu 0xfffe
	s_or_b32 s7, s5, s7
	s_wait_alu 0xfffe
	s_and_not1_b32 exec_lo, exec_lo, s7
	s_cbranch_execnz .LBB83_36
; %bb.37:                               ;   in Loop: Header=BB83_2 Depth=1
	s_or_b32 exec_lo, exec_lo, s7
.LBB83_38:                              ;   in Loop: Header=BB83_2 Depth=1
	s_wait_alu 0xfffe
	s_or_b32 exec_lo, exec_lo, s6
	v_add_nc_u32_e32 v40, v37, v6
	v_sub_nc_u32_e32 v39, v23, v37
	ds_load_u8 v37, v40
	ds_load_u8 v38, v39
	v_cmp_le_i32_e64 s5, v17, v40
	v_cmp_gt_i32_e64 s7, v18, v39
	s_wait_dscnt 0x1
	v_and_b32_e32 v41, 0xff, v37
	s_wait_dscnt 0x0
	v_and_b32_e32 v42, 0xff, v38
	s_delay_alu instid0(VALU_DEP_1)
	v_cmp_lt_u16_e64 s6, v42, v41
                                        ; implicit-def: $vgpr41
	s_or_b32 s5, s5, s6
	s_wait_alu 0xfffe
	s_and_b32 s5, s7, s5
	s_wait_alu 0xfffe
	s_xor_b32 s6, s5, -1
	s_wait_alu 0xfffe
	s_and_saveexec_b32 s7, s6
	s_wait_alu 0xfffe
	s_xor_b32 s6, exec_lo, s7
; %bb.39:                               ;   in Loop: Header=BB83_2 Depth=1
	ds_load_u8 v41, v40 offset:1
; %bb.40:                               ;   in Loop: Header=BB83_2 Depth=1
	s_wait_alu 0xfffe
	s_or_saveexec_b32 s6, s6
	v_mov_b32_e32 v42, v38
	s_wait_alu 0xfffe
	s_xor_b32 exec_lo, exec_lo, s6
	s_cbranch_execz .LBB83_42
; %bb.41:                               ;   in Loop: Header=BB83_2 Depth=1
	ds_load_u8 v42, v39 offset:1
	s_wait_dscnt 0x1
	v_mov_b32_e32 v41, v37
.LBB83_42:                              ;   in Loop: Header=BB83_2 Depth=1
	s_or_b32 exec_lo, exec_lo, s6
	v_add_nc_u32_e32 v43, 1, v40
	v_add_nc_u32_e32 v44, 1, v39
	s_wait_dscnt 0x0
	v_and_b32_e32 v45, 0xff, v41
	v_and_b32_e32 v46, 0xff, v42
	s_wait_loadcnt 0x0
	v_cndmask_b32_e64 v43, v43, v40, s5
	v_cndmask_b32_e64 v40, v40, v39, s5
	v_cndmask_b32_e64 v39, v39, v44, s5
	v_cmp_lt_u16_e64 s6, v46, v45
	s_barrier_signal -1
	v_cmp_ge_i32_e64 s7, v43, v17
	s_barrier_wait -1
	v_cmp_lt_i32_e64 s8, v39, v18
	global_inv scope:SCOPE_SE
	ds_store_b8 v1, v35
	ds_store_b8 v1, v36 offset:1
	s_or_b32 s6, s7, s6
	s_wait_loadcnt_dscnt 0x0
	s_wait_alu 0xfffe
	s_and_b32 s6, s8, s6
	s_barrier_signal -1
	s_wait_alu 0xfffe
	v_cndmask_b32_e64 v36, v43, v39, s6
	s_barrier_wait -1
	global_inv scope:SCOPE_SE
	v_cndmask_b32_e64 v37, v37, v38, s5
	ds_load_u8 v35, v40
	ds_load_u8 v36, v36
	v_cndmask_b32_e64 v41, v41, v42, s6
	s_wait_loadcnt_dscnt 0x0
	s_barrier_signal -1
	s_barrier_wait -1
	global_inv scope:SCOPE_SE
	ds_store_b8 v1, v37
	ds_store_b8 v1, v41 offset:1
	v_mov_b32_e32 v37, v7
	s_wait_loadcnt_dscnt 0x0
	s_barrier_signal -1
	s_barrier_wait -1
	global_inv scope:SCOPE_SE
	s_and_saveexec_b32 s6, vcc_lo
	s_cbranch_execz .LBB83_46
; %bb.43:                               ;   in Loop: Header=BB83_2 Depth=1
	v_dual_mov_b32 v37, v7 :: v_dual_mov_b32 v38, v8
	s_mov_b32 s7, 0
.LBB83_44:                              ;   Parent Loop BB83_2 Depth=1
                                        ; =>  This Inner Loop Header: Depth=2
	s_delay_alu instid0(VALU_DEP_1) | instskip(NEXT) | instid1(VALU_DEP_1)
	v_sub_nc_u32_e32 v39, v38, v37
	v_lshrrev_b32_e32 v39, 1, v39
	s_delay_alu instid0(VALU_DEP_1) | instskip(NEXT) | instid1(VALU_DEP_1)
	v_add_nc_u32_e32 v39, v39, v37
	v_xad_u32 v40, v39, -1, v34
	v_add_nc_u32_e32 v42, 1, v39
	ds_load_u8 v41, v39
	ds_load_u8 v40, v40
	s_wait_dscnt 0x0
	v_cmp_lt_u16_e64 s5, v40, v41
	s_wait_alu 0xf1ff
	s_delay_alu instid0(VALU_DEP_1) | instskip(SKIP_1) | instid1(VALU_DEP_1)
	v_cndmask_b32_e64 v38, v38, v39, s5
	v_cndmask_b32_e64 v37, v42, v37, s5
	v_cmp_ge_i32_e64 s5, v37, v38
	s_wait_alu 0xfffe
	s_or_b32 s7, s5, s7
	s_wait_alu 0xfffe
	s_and_not1_b32 exec_lo, exec_lo, s7
	s_cbranch_execnz .LBB83_44
; %bb.45:                               ;   in Loop: Header=BB83_2 Depth=1
	s_or_b32 exec_lo, exec_lo, s7
.LBB83_46:                              ;   in Loop: Header=BB83_2 Depth=1
	s_wait_alu 0xfffe
	s_or_b32 exec_lo, exec_lo, s6
	v_sub_nc_u32_e32 v40, v34, v37
	v_cmp_le_i32_e64 s5, 64, v37
	ds_load_u8 v38, v37
	ds_load_u8 v39, v40
	v_cmp_gt_i32_e64 s7, 0x80, v40
	s_wait_dscnt 0x1
	v_and_b32_e32 v41, 0xff, v38
	s_wait_dscnt 0x0
	v_and_b32_e32 v42, 0xff, v39
	s_delay_alu instid0(VALU_DEP_1)
	v_cmp_lt_u16_e64 s6, v42, v41
                                        ; implicit-def: $vgpr42
                                        ; implicit-def: $vgpr41
	s_or_b32 s5, s5, s6
	s_wait_alu 0xfffe
	s_and_b32 s5, s7, s5
	s_wait_alu 0xfffe
	s_xor_b32 s6, s5, -1
	s_wait_alu 0xfffe
	s_and_saveexec_b32 s7, s6
	s_wait_alu 0xfffe
	s_xor_b32 s6, exec_lo, s7
; %bb.47:                               ;   in Loop: Header=BB83_2 Depth=1
	ds_load_u8 v42, v37 offset:1
	v_add_nc_u32_e32 v41, 1, v37
; %bb.48:                               ;   in Loop: Header=BB83_2 Depth=1
	s_wait_alu 0xfffe
	s_or_saveexec_b32 s6, s6
	v_dual_mov_b32 v43, v37 :: v_dual_mov_b32 v44, v39
	s_wait_alu 0xfffe
	s_xor_b32 exec_lo, exec_lo, s6
	s_cbranch_execz .LBB83_1
; %bb.49:                               ;   in Loop: Header=BB83_2 Depth=1
	ds_load_u8 v44, v40 offset:1
	s_wait_dscnt 0x1
	v_dual_mov_b32 v43, v40 :: v_dual_add_nc_u32 v42, 1, v40
	s_delay_alu instid0(VALU_DEP_1)
	v_dual_mov_b32 v41, v37 :: v_dual_mov_b32 v40, v42
	v_mov_b32_e32 v42, v38
	s_branch .LBB83_1
.LBB83_50:
	s_add_nc_u64 s[0:1], s[10:11], s[12:13]
	s_wait_dscnt 0x1
	v_add_nc_u16 v2, v38, v36
	s_wait_alu 0xfffe
	v_add_co_u32 v0, s0, s0, v0
	s_wait_alu 0xf1ff
	v_add_co_ci_u32_e64 v1, null, s1, 0, s0
	s_wait_dscnt 0x0
	v_add_nc_u16 v3, v37, v35
	s_clause 0x1
	global_store_b8 v[0:1], v2, off
	global_store_b8 v[0:1], v3, off offset:64
	s_endpgm
	.section	.rodata,"a",@progbits
	.p2align	6, 0x0
	.amdhsa_kernel _Z17sort_pairs_kernelIhLj64ELj2EN10test_utils4lessELj10EEvPKT_PS2_T2_
		.amdhsa_group_segment_fixed_size 129
		.amdhsa_private_segment_fixed_size 0
		.amdhsa_kernarg_size 20
		.amdhsa_user_sgpr_count 2
		.amdhsa_user_sgpr_dispatch_ptr 0
		.amdhsa_user_sgpr_queue_ptr 0
		.amdhsa_user_sgpr_kernarg_segment_ptr 1
		.amdhsa_user_sgpr_dispatch_id 0
		.amdhsa_user_sgpr_private_segment_size 0
		.amdhsa_wavefront_size32 1
		.amdhsa_uses_dynamic_stack 0
		.amdhsa_enable_private_segment 0
		.amdhsa_system_sgpr_workgroup_id_x 1
		.amdhsa_system_sgpr_workgroup_id_y 0
		.amdhsa_system_sgpr_workgroup_id_z 0
		.amdhsa_system_sgpr_workgroup_info 0
		.amdhsa_system_vgpr_workitem_id 0
		.amdhsa_next_free_vgpr 48
		.amdhsa_next_free_sgpr 14
		.amdhsa_reserve_vcc 1
		.amdhsa_float_round_mode_32 0
		.amdhsa_float_round_mode_16_64 0
		.amdhsa_float_denorm_mode_32 3
		.amdhsa_float_denorm_mode_16_64 3
		.amdhsa_fp16_overflow 0
		.amdhsa_workgroup_processor_mode 1
		.amdhsa_memory_ordered 1
		.amdhsa_forward_progress 1
		.amdhsa_inst_pref_size 33
		.amdhsa_round_robin_scheduling 0
		.amdhsa_exception_fp_ieee_invalid_op 0
		.amdhsa_exception_fp_denorm_src 0
		.amdhsa_exception_fp_ieee_div_zero 0
		.amdhsa_exception_fp_ieee_overflow 0
		.amdhsa_exception_fp_ieee_underflow 0
		.amdhsa_exception_fp_ieee_inexact 0
		.amdhsa_exception_int_div_zero 0
	.end_amdhsa_kernel
	.section	.text._Z17sort_pairs_kernelIhLj64ELj2EN10test_utils4lessELj10EEvPKT_PS2_T2_,"axG",@progbits,_Z17sort_pairs_kernelIhLj64ELj2EN10test_utils4lessELj10EEvPKT_PS2_T2_,comdat
.Lfunc_end83:
	.size	_Z17sort_pairs_kernelIhLj64ELj2EN10test_utils4lessELj10EEvPKT_PS2_T2_, .Lfunc_end83-_Z17sort_pairs_kernelIhLj64ELj2EN10test_utils4lessELj10EEvPKT_PS2_T2_
                                        ; -- End function
	.set _Z17sort_pairs_kernelIhLj64ELj2EN10test_utils4lessELj10EEvPKT_PS2_T2_.num_vgpr, 48
	.set _Z17sort_pairs_kernelIhLj64ELj2EN10test_utils4lessELj10EEvPKT_PS2_T2_.num_agpr, 0
	.set _Z17sort_pairs_kernelIhLj64ELj2EN10test_utils4lessELj10EEvPKT_PS2_T2_.numbered_sgpr, 14
	.set _Z17sort_pairs_kernelIhLj64ELj2EN10test_utils4lessELj10EEvPKT_PS2_T2_.num_named_barrier, 0
	.set _Z17sort_pairs_kernelIhLj64ELj2EN10test_utils4lessELj10EEvPKT_PS2_T2_.private_seg_size, 0
	.set _Z17sort_pairs_kernelIhLj64ELj2EN10test_utils4lessELj10EEvPKT_PS2_T2_.uses_vcc, 1
	.set _Z17sort_pairs_kernelIhLj64ELj2EN10test_utils4lessELj10EEvPKT_PS2_T2_.uses_flat_scratch, 0
	.set _Z17sort_pairs_kernelIhLj64ELj2EN10test_utils4lessELj10EEvPKT_PS2_T2_.has_dyn_sized_stack, 0
	.set _Z17sort_pairs_kernelIhLj64ELj2EN10test_utils4lessELj10EEvPKT_PS2_T2_.has_recursion, 0
	.set _Z17sort_pairs_kernelIhLj64ELj2EN10test_utils4lessELj10EEvPKT_PS2_T2_.has_indirect_call, 0
	.section	.AMDGPU.csdata,"",@progbits
; Kernel info:
; codeLenInByte = 4112
; TotalNumSgprs: 16
; NumVgprs: 48
; ScratchSize: 0
; MemoryBound: 0
; FloatMode: 240
; IeeeMode: 1
; LDSByteSize: 129 bytes/workgroup (compile time only)
; SGPRBlocks: 0
; VGPRBlocks: 5
; NumSGPRsForWavesPerEU: 16
; NumVGPRsForWavesPerEU: 48
; Occupancy: 16
; WaveLimiterHint : 0
; COMPUTE_PGM_RSRC2:SCRATCH_EN: 0
; COMPUTE_PGM_RSRC2:USER_SGPR: 2
; COMPUTE_PGM_RSRC2:TRAP_HANDLER: 0
; COMPUTE_PGM_RSRC2:TGID_X_EN: 1
; COMPUTE_PGM_RSRC2:TGID_Y_EN: 0
; COMPUTE_PGM_RSRC2:TGID_Z_EN: 0
; COMPUTE_PGM_RSRC2:TIDIG_COMP_CNT: 0
	.section	.text._Z16sort_keys_kernelIhLj64ELj3EN10test_utils4lessELj10EEvPKT_PS2_T2_,"axG",@progbits,_Z16sort_keys_kernelIhLj64ELj3EN10test_utils4lessELj10EEvPKT_PS2_T2_,comdat
	.protected	_Z16sort_keys_kernelIhLj64ELj3EN10test_utils4lessELj10EEvPKT_PS2_T2_ ; -- Begin function _Z16sort_keys_kernelIhLj64ELj3EN10test_utils4lessELj10EEvPKT_PS2_T2_
	.globl	_Z16sort_keys_kernelIhLj64ELj3EN10test_utils4lessELj10EEvPKT_PS2_T2_
	.p2align	8
	.type	_Z16sort_keys_kernelIhLj64ELj3EN10test_utils4lessELj10EEvPKT_PS2_T2_,@function
_Z16sort_keys_kernelIhLj64ELj3EN10test_utils4lessELj10EEvPKT_PS2_T2_: ; @_Z16sort_keys_kernelIhLj64ELj3EN10test_utils4lessELj10EEvPKT_PS2_T2_
; %bb.0:
	s_load_b128 s[8:11], s[0:1], 0x0
	s_mul_i32 s12, ttmp9, 0xc0
	s_mov_b32 s13, 0
	v_and_b32_e32 v3, 62, v0
	v_and_b32_e32 v5, 60, v0
	;; [unrolled: 1-line block ×5, first 2 shown]
	v_mul_u32_u24_e32 v9, 3, v3
	v_and_b32_e32 v8, 32, v0
	v_mul_u32_u24_e32 v10, 3, v5
	v_mul_u32_u24_e32 v11, 3, v6
	v_cmp_eq_u32_e32 vcc_lo, 1, v4
	v_min_u32_e32 v20, 0xbd, v9
	v_min_u32_e32 v14, 0xba, v9
	v_mul_u32_u24_e32 v12, 3, v7
	v_mul_u32_u24_e32 v13, 3, v8
	v_min_u32_e32 v6, 0xc0, v10
	v_min_u32_e32 v21, 0xba, v10
	;; [unrolled: 1-line block ×3, first 2 shown]
	s_wait_kmcnt 0x0
	s_add_nc_u64 s[0:1], s[8:9], s[12:13]
	v_min_u32_e32 v7, 0xc0, v11
	s_clause 0x2
	global_load_u8 v39, v0, s[0:1] offset:64
	global_load_u8 v40, v0, s[0:1] offset:128
	global_load_u8 v41, v0, s[0:1]
	v_min_u32_e32 v22, 0xb4, v11
	v_min_u32_e32 v16, 0xa8, v11
	v_add_nc_u32_e32 v10, 3, v20
	v_add_nc_u32_e32 v11, 6, v14
	v_and_b32_e32 v25, 3, v0
	v_cndmask_b32_e64 v34, 0, 3, vcc_lo
	v_min_u32_e32 v5, 0xc0, v9
	v_min_u32_e32 v8, 0xc0, v12
	;; [unrolled: 1-line block ×7, first 2 shown]
	v_add_nc_u32_e32 v12, 6, v21
	v_add_nc_u32_e32 v13, 12, v15
	v_sub_nc_u32_e32 v42, v11, v10
	v_and_b32_e32 v26, 7, v0
	v_mul_u32_u24_e32 v35, 3, v25
	v_add_nc_u32_e32 v14, 12, v22
	v_add_nc_u32_e32 v15, 24, v16
	v_sub_nc_u32_e32 v29, v10, v5
	v_sub_nc_u32_e32 v45, v13, v12
	;; [unrolled: 1-line block ×3, first 2 shown]
	v_cmp_ge_i32_e64 s0, v34, v42
	v_and_b32_e32 v27, 15, v0
	v_mul_u32_u24_e32 v36, 3, v26
	v_add_nc_u32_e32 v16, 24, v23
	v_add_nc_u32_e32 v17, 48, v17
	;; [unrolled: 1-line block ×4, first 2 shown]
	v_sub_nc_u32_e32 v30, v12, v6
	v_sub_nc_u32_e32 v46, v15, v14
	v_min_i32_e32 v29, v34, v29
	v_sub_nc_u32_e32 v50, v35, v45
	v_cndmask_b32_e64 v34, 0, v49, s0
	v_cmp_ge_i32_e64 s0, v35, v45
	v_and_b32_e32 v43, 31, v0
	v_mul_u32_u24_e32 v37, 3, v27
	v_add_nc_u32_e32 v18, 48, v44
	v_add_nc_u32_e32 v19, 0x60, v19
	v_sub_nc_u32_e32 v31, v14, v7
	v_sub_nc_u32_e32 v47, v17, v16
	v_min_i32_e32 v30, v35, v30
	v_sub_nc_u32_e32 v51, v36, v46
	s_wait_alu 0xf1ff
	v_cndmask_b32_e64 v35, 0, v50, s0
	v_cmp_ge_i32_e64 s0, v36, v46
	v_mul_u32_u24_e32 v38, 3, v43
	v_sub_nc_u32_e32 v32, v16, v8
	v_sub_nc_u32_e32 v48, v19, v18
	v_min_i32_e32 v31, v36, v31
	v_sub_nc_u32_e32 v52, v37, v47
	s_wait_alu 0xf1ff
	v_cndmask_b32_e64 v36, 0, v51, s0
	v_cmp_ge_i32_e64 s0, v37, v47
	v_sub_nc_u32_e32 v33, v18, v9
	v_min_i32_e32 v32, v37, v32
	v_sub_nc_u32_e32 v53, v38, v48
	v_mul_u32_u24_e32 v1, 3, v0
	s_wait_alu 0xf1ff
	v_cndmask_b32_e64 v37, 0, v52, s0
	v_cmp_ge_i32_e64 s0, v38, v48
	v_min_i32_e32 v33, v38, v33
	v_mad_u32_u24 v2, v0, 3, 0x60
	v_subrev_nc_u32_e64 v3, 0x60, v1 clamp
	v_min_i32_e32 v4, 0x60, v1
	s_wait_alu 0xf1ff
	v_cndmask_b32_e64 v38, 0, v53, s0
	v_mad_u32_u24 v21, v25, 3, v21
	v_mad_u32_u24 v22, v26, 3, v22
	v_mad_u32_u24 v23, v27, 3, v23
	v_mad_u32_u24 v25, v25, 3, v12
	v_mad_u32_u24 v26, v26, 3, v14
	v_mad_u32_u24 v27, v27, 3, v16
	v_mad_u32_u24 v28, v43, 3, v18
	v_cmp_lt_i32_e64 s0, v34, v29
	v_cmp_lt_i32_e64 s1, v35, v30
	;; [unrolled: 1-line block ×5, first 2 shown]
	s_mov_b32 s9, s13
	v_cmp_lt_i32_e32 vcc_lo, v3, v4
	s_wait_loadcnt 0x0
	v_perm_b32 v39, v41, v39, 0xc0c0004
	s_delay_alu instid0(VALU_DEP_1)
	v_lshl_or_b32 v42, v40, 16, v39
	v_mad_u32_u24 v39, v43, 3, v44
	s_branch .LBB84_2
.LBB84_1:                               ;   in Loop: Header=BB84_2 Depth=1
	s_or_b32 exec_lo, exec_lo, s7
	s_wait_dscnt 0x0
	v_and_b32_e32 v47, 0xff, v45
	v_and_b32_e32 v49, 0xff, v48
	v_cndmask_b32_e64 v43, v43, v44, s6
	v_cmp_le_i32_e64 s6, 0x60, v46
	v_cndmask_b32_e64 v40, v40, v41, s5
	v_cmp_gt_i32_e64 s5, 0xc0, v42
	v_cmp_lt_u16_e64 s7, v49, v47
	v_lshlrev_b16 v42, 8, v43
	s_add_co_i32 s9, s9, 1
	v_and_b32_e32 v44, 0xff, v40
	s_or_b32 s6, s6, s7
	s_wait_alu 0xfffe
	s_and_b32 s5, s5, s6
	s_delay_alu instid0(VALU_DEP_1) | instskip(SKIP_3) | instid1(VALU_DEP_2)
	v_or_b32_e32 v42, v44, v42
	s_wait_alu 0xfffe
	v_cndmask_b32_e64 v41, v45, v48, s5
	s_cmp_eq_u32 s9, 10
	v_and_b32_e32 v42, 0xffff, v42
	s_delay_alu instid0(VALU_DEP_2) | instskip(NEXT) | instid1(VALU_DEP_1)
	v_and_b32_e32 v44, 0xff, v41
	v_lshlrev_b32_e32 v44, 16, v44
	s_delay_alu instid0(VALU_DEP_1)
	v_or_b32_e32 v42, v42, v44
	s_cbranch_scc1 .LBB84_74
.LBB84_2:                               ; =>This Loop Header: Depth=1
                                        ;     Child Loop BB84_4 Depth 2
                                        ;     Child Loop BB84_16 Depth 2
	;; [unrolled: 1-line block ×6, first 2 shown]
	s_delay_alu instid0(VALU_DEP_1) | instskip(SKIP_3) | instid1(VALU_DEP_3)
	v_lshrrev_b32_e32 v40, 8, v42
	v_and_b32_e32 v41, 0xff, v42
	v_perm_b32 v43, v42, v42, 0x7060405
	s_barrier_signal -1
	v_and_b32_e32 v40, 0xff, v40
	s_barrier_wait -1
	global_inv scope:SCOPE_SE
	v_cmp_lt_u16_e64 s5, v40, v41
	v_max_u16 v44, v40, v41
	v_min_u16 v40, v40, v41
	s_wait_alu 0xf1ff
	s_delay_alu instid0(VALU_DEP_3) | instskip(NEXT) | instid1(VALU_DEP_1)
	v_cndmask_b32_e64 v42, v42, v43, s5
	v_lshrrev_b32_e32 v43, 16, v42
	v_and_b32_e32 v45, 0xff, v42
	s_delay_alu instid0(VALU_DEP_2) | instskip(SKIP_2) | instid1(VALU_DEP_3)
	v_lshlrev_b16 v46, 8, v43
	v_and_b32_e32 v47, 0xffffff00, v43
	v_and_b32_e32 v41, 0xff, v43
	v_or_b32_e32 v43, v45, v46
	s_delay_alu instid0(VALU_DEP_3) | instskip(SKIP_1) | instid1(VALU_DEP_4)
	v_or_b32_e32 v45, v44, v47
	v_lshlrev_b16 v46, 8, v40
	v_min_u16 v47, v41, v44
	v_cmp_lt_u16_e64 s5, v41, v44
	v_and_b32_e32 v43, 0xffff, v43
	v_lshlrev_b32_e32 v45, 16, v45
	s_delay_alu instid0(VALU_DEP_4) | instskip(NEXT) | instid1(VALU_DEP_2)
	v_or_b32_e32 v46, v47, v46
	v_or_b32_e32 v43, v43, v45
	s_delay_alu instid0(VALU_DEP_2) | instskip(SKIP_1) | instid1(VALU_DEP_2)
	v_and_b32_e32 v45, 0xffff, v46
	s_wait_alu 0xf1ff
	v_cndmask_b32_e64 v42, v42, v43, s5
	v_cmp_lt_u16_e64 s5, v41, v40
	s_delay_alu instid0(VALU_DEP_2) | instskip(SKIP_1) | instid1(VALU_DEP_1)
	v_and_or_b32 v43, 0xffff0000, v42, v45
	s_wait_alu 0xf1ff
	v_cndmask_b32_e64 v40, v42, v43, s5
	v_mov_b32_e32 v42, v34
	s_delay_alu instid0(VALU_DEP_2)
	v_lshrrev_b32_e32 v41, 8, v40
	ds_store_b8 v1, v40
	ds_store_b8 v1, v41 offset:1
	ds_store_b8_d16_hi v1, v40 offset:2
	s_wait_loadcnt_dscnt 0x0
	s_barrier_signal -1
	s_barrier_wait -1
	global_inv scope:SCOPE_SE
	s_and_saveexec_b32 s6, s0
	s_cbranch_execz .LBB84_6
; %bb.3:                                ;   in Loop: Header=BB84_2 Depth=1
	v_mov_b32_e32 v42, v34
	v_mov_b32_e32 v40, v29
	s_mov_b32 s7, 0
.LBB84_4:                               ;   Parent Loop BB84_2 Depth=1
                                        ; =>  This Inner Loop Header: Depth=2
	s_delay_alu instid0(VALU_DEP_1) | instskip(NEXT) | instid1(VALU_DEP_1)
	v_sub_nc_u32_e32 v41, v40, v42
	v_lshrrev_b32_e32 v41, 1, v41
	s_delay_alu instid0(VALU_DEP_1) | instskip(NEXT) | instid1(VALU_DEP_1)
	v_add_nc_u32_e32 v41, v41, v42
	v_add_nc_u32_e32 v43, v5, v41
	v_xad_u32 v44, v41, -1, v20
	v_add_nc_u32_e32 v45, 1, v41
	ds_load_u8 v43, v43
	ds_load_u8 v44, v44 offset:3
	s_wait_dscnt 0x0
	v_cmp_lt_u16_e64 s5, v44, v43
	s_wait_alu 0xf1ff
	s_delay_alu instid0(VALU_DEP_1) | instskip(SKIP_1) | instid1(VALU_DEP_1)
	v_cndmask_b32_e64 v40, v40, v41, s5
	v_cndmask_b32_e64 v42, v45, v42, s5
	v_cmp_ge_i32_e64 s5, v42, v40
	s_wait_alu 0xfffe
	s_or_b32 s7, s5, s7
	s_wait_alu 0xfffe
	s_and_not1_b32 exec_lo, exec_lo, s7
	s_cbranch_execnz .LBB84_4
; %bb.5:                                ;   in Loop: Header=BB84_2 Depth=1
	s_or_b32 exec_lo, exec_lo, s7
.LBB84_6:                               ;   in Loop: Header=BB84_2 Depth=1
	s_wait_alu 0xfffe
	s_or_b32 exec_lo, exec_lo, s6
	v_add_nc_u32_e32 v44, v42, v5
	v_sub_nc_u32_e32 v46, v20, v42
	v_sub_nc_u32_e32 v45, v24, v42
                                        ; implicit-def: $vgpr42
	ds_load_u8 v40, v44
	ds_load_u8 v41, v46 offset:3
	v_cmp_le_i32_e64 s5, v10, v44
	v_cmp_gt_i32_e64 s7, v11, v45
	s_wait_dscnt 0x1
	v_and_b32_e32 v43, 0xff, v40
	s_wait_dscnt 0x0
	v_and_b32_e32 v47, 0xff, v41
	s_delay_alu instid0(VALU_DEP_1)
	v_cmp_lt_u16_e64 s6, v47, v43
	s_or_b32 s5, s5, s6
	s_wait_alu 0xfffe
	s_and_b32 s5, s7, s5
	s_wait_alu 0xfffe
	s_xor_b32 s6, s5, -1
	s_wait_alu 0xfffe
	s_and_saveexec_b32 s7, s6
	s_wait_alu 0xfffe
	s_xor_b32 s6, exec_lo, s7
; %bb.7:                                ;   in Loop: Header=BB84_2 Depth=1
	ds_load_u8 v42, v44 offset:1
                                        ; implicit-def: $vgpr46
; %bb.8:                                ;   in Loop: Header=BB84_2 Depth=1
	s_wait_alu 0xfffe
	s_or_saveexec_b32 s6, s6
	v_mov_b32_e32 v43, v41
	s_wait_alu 0xfffe
	s_xor_b32 exec_lo, exec_lo, s6
	s_cbranch_execz .LBB84_10
; %bb.9:                                ;   in Loop: Header=BB84_2 Depth=1
	ds_load_u8 v43, v46 offset:4
	s_wait_dscnt 0x1
	v_mov_b32_e32 v42, v40
.LBB84_10:                              ;   in Loop: Header=BB84_2 Depth=1
	s_or_b32 exec_lo, exec_lo, s6
	v_add_nc_u32_e32 v46, 1, v44
	v_add_nc_u32_e32 v47, 1, v45
	s_wait_dscnt 0x0
	v_and_b32_e32 v48, 0xff, v42
	s_delay_alu instid0(VALU_DEP_3) | instskip(SKIP_2) | instid1(VALU_DEP_3)
	v_cndmask_b32_e64 v46, v46, v44, s5
	v_and_b32_e32 v44, 0xff, v43
	v_cndmask_b32_e64 v45, v45, v47, s5
	v_cmp_ge_i32_e64 s6, v46, v10
	s_delay_alu instid0(VALU_DEP_3) | instskip(NEXT) | instid1(VALU_DEP_3)
	v_cmp_lt_u16_e64 s7, v44, v48
	v_cmp_lt_i32_e64 s8, v45, v11
                                        ; implicit-def: $vgpr44
	s_or_b32 s6, s6, s7
	s_wait_alu 0xfffe
	s_and_b32 s6, s8, s6
	s_wait_alu 0xfffe
	s_xor_b32 s7, s6, -1
	s_wait_alu 0xfffe
	s_and_saveexec_b32 s8, s7
	s_delay_alu instid0(SALU_CYCLE_1)
	s_xor_b32 s7, exec_lo, s8
; %bb.11:                               ;   in Loop: Header=BB84_2 Depth=1
	ds_load_u8 v44, v46 offset:1
; %bb.12:                               ;   in Loop: Header=BB84_2 Depth=1
	s_wait_alu 0xfffe
	s_or_saveexec_b32 s7, s7
	v_mov_b32_e32 v47, v43
	s_wait_alu 0xfffe
	s_xor_b32 exec_lo, exec_lo, s7
	s_cbranch_execz .LBB84_14
; %bb.13:                               ;   in Loop: Header=BB84_2 Depth=1
	ds_load_u8 v47, v45 offset:1
	s_wait_dscnt 0x1
	v_mov_b32_e32 v44, v42
.LBB84_14:                              ;   in Loop: Header=BB84_2 Depth=1
	s_or_b32 exec_lo, exec_lo, s7
	v_add_nc_u32_e32 v48, 1, v46
	v_add_nc_u32_e32 v49, 1, v45
	s_wait_dscnt 0x0
	v_and_b32_e32 v50, 0xff, v44
	v_and_b32_e32 v51, 0xff, v47
	v_cndmask_b32_e64 v43, v42, v43, s6
	v_cndmask_b32_e64 v46, v48, v46, s6
	v_mov_b32_e32 v42, v35
	v_cndmask_b32_e64 v45, v45, v49, s6
	v_cmp_lt_u16_e64 s6, v51, v50
	v_cndmask_b32_e64 v40, v40, v41, s5
	v_cmp_ge_i32_e64 s7, v46, v10
	s_wait_loadcnt 0x0
	v_cmp_lt_i32_e64 s5, v45, v11
	s_barrier_signal -1
	s_barrier_wait -1
	s_or_b32 s6, s7, s6
	global_inv scope:SCOPE_SE
	s_wait_alu 0xfffe
	s_and_b32 s5, s5, s6
	s_wait_alu 0xfffe
	v_cndmask_b32_e64 v41, v44, v47, s5
	ds_store_b8 v1, v40
	ds_store_b8 v1, v43 offset:1
	ds_store_b8 v1, v41 offset:2
	s_wait_loadcnt_dscnt 0x0
	s_barrier_signal -1
	s_barrier_wait -1
	global_inv scope:SCOPE_SE
	s_and_saveexec_b32 s6, s1
	s_cbranch_execz .LBB84_18
; %bb.15:                               ;   in Loop: Header=BB84_2 Depth=1
	v_mov_b32_e32 v42, v35
	v_mov_b32_e32 v40, v30
	s_mov_b32 s7, 0
.LBB84_16:                              ;   Parent Loop BB84_2 Depth=1
                                        ; =>  This Inner Loop Header: Depth=2
	s_delay_alu instid0(VALU_DEP_1) | instskip(NEXT) | instid1(VALU_DEP_1)
	v_sub_nc_u32_e32 v41, v40, v42
	v_lshrrev_b32_e32 v41, 1, v41
	s_delay_alu instid0(VALU_DEP_1) | instskip(NEXT) | instid1(VALU_DEP_1)
	v_add_nc_u32_e32 v41, v41, v42
	v_add_nc_u32_e32 v43, v6, v41
	v_xad_u32 v44, v41, -1, v21
	v_add_nc_u32_e32 v45, 1, v41
	ds_load_u8 v43, v43
	ds_load_u8 v44, v44 offset:6
	s_wait_dscnt 0x0
	v_cmp_lt_u16_e64 s5, v44, v43
	s_wait_alu 0xf1ff
	s_delay_alu instid0(VALU_DEP_1) | instskip(SKIP_1) | instid1(VALU_DEP_1)
	v_cndmask_b32_e64 v40, v40, v41, s5
	v_cndmask_b32_e64 v42, v45, v42, s5
	v_cmp_ge_i32_e64 s5, v42, v40
	s_wait_alu 0xfffe
	s_or_b32 s7, s5, s7
	s_wait_alu 0xfffe
	s_and_not1_b32 exec_lo, exec_lo, s7
	s_cbranch_execnz .LBB84_16
; %bb.17:                               ;   in Loop: Header=BB84_2 Depth=1
	s_or_b32 exec_lo, exec_lo, s7
.LBB84_18:                              ;   in Loop: Header=BB84_2 Depth=1
	s_wait_alu 0xfffe
	s_or_b32 exec_lo, exec_lo, s6
	v_add_nc_u32_e32 v44, v42, v6
	v_sub_nc_u32_e32 v46, v21, v42
	v_sub_nc_u32_e32 v45, v25, v42
                                        ; implicit-def: $vgpr42
	ds_load_u8 v40, v44
	ds_load_u8 v41, v46 offset:6
	v_cmp_le_i32_e64 s5, v12, v44
	v_cmp_gt_i32_e64 s7, v13, v45
	s_wait_dscnt 0x1
	v_and_b32_e32 v43, 0xff, v40
	s_wait_dscnt 0x0
	v_and_b32_e32 v47, 0xff, v41
	s_delay_alu instid0(VALU_DEP_1)
	v_cmp_lt_u16_e64 s6, v47, v43
	s_or_b32 s5, s5, s6
	s_wait_alu 0xfffe
	s_and_b32 s5, s7, s5
	s_wait_alu 0xfffe
	s_xor_b32 s6, s5, -1
	s_wait_alu 0xfffe
	s_and_saveexec_b32 s7, s6
	s_wait_alu 0xfffe
	s_xor_b32 s6, exec_lo, s7
; %bb.19:                               ;   in Loop: Header=BB84_2 Depth=1
	ds_load_u8 v42, v44 offset:1
                                        ; implicit-def: $vgpr46
; %bb.20:                               ;   in Loop: Header=BB84_2 Depth=1
	s_wait_alu 0xfffe
	s_or_saveexec_b32 s6, s6
	v_mov_b32_e32 v43, v41
	s_wait_alu 0xfffe
	s_xor_b32 exec_lo, exec_lo, s6
	s_cbranch_execz .LBB84_22
; %bb.21:                               ;   in Loop: Header=BB84_2 Depth=1
	ds_load_u8 v43, v46 offset:7
	s_wait_dscnt 0x1
	v_mov_b32_e32 v42, v40
.LBB84_22:                              ;   in Loop: Header=BB84_2 Depth=1
	s_or_b32 exec_lo, exec_lo, s6
	v_add_nc_u32_e32 v46, 1, v44
	v_add_nc_u32_e32 v47, 1, v45
	s_wait_dscnt 0x0
	v_and_b32_e32 v48, 0xff, v42
	s_delay_alu instid0(VALU_DEP_3) | instskip(SKIP_2) | instid1(VALU_DEP_3)
	v_cndmask_b32_e64 v46, v46, v44, s5
	v_and_b32_e32 v44, 0xff, v43
	v_cndmask_b32_e64 v45, v45, v47, s5
	v_cmp_ge_i32_e64 s6, v46, v12
	s_delay_alu instid0(VALU_DEP_3) | instskip(NEXT) | instid1(VALU_DEP_3)
	v_cmp_lt_u16_e64 s7, v44, v48
	v_cmp_lt_i32_e64 s8, v45, v13
                                        ; implicit-def: $vgpr44
	s_or_b32 s6, s6, s7
	s_wait_alu 0xfffe
	s_and_b32 s6, s8, s6
	s_wait_alu 0xfffe
	s_xor_b32 s7, s6, -1
	s_wait_alu 0xfffe
	s_and_saveexec_b32 s8, s7
	s_delay_alu instid0(SALU_CYCLE_1)
	s_xor_b32 s7, exec_lo, s8
; %bb.23:                               ;   in Loop: Header=BB84_2 Depth=1
	ds_load_u8 v44, v46 offset:1
; %bb.24:                               ;   in Loop: Header=BB84_2 Depth=1
	s_wait_alu 0xfffe
	s_or_saveexec_b32 s7, s7
	v_mov_b32_e32 v47, v43
	s_wait_alu 0xfffe
	s_xor_b32 exec_lo, exec_lo, s7
	s_cbranch_execz .LBB84_26
; %bb.25:                               ;   in Loop: Header=BB84_2 Depth=1
	ds_load_u8 v47, v45 offset:1
	s_wait_dscnt 0x1
	v_mov_b32_e32 v44, v42
.LBB84_26:                              ;   in Loop: Header=BB84_2 Depth=1
	s_or_b32 exec_lo, exec_lo, s7
	v_add_nc_u32_e32 v48, 1, v46
	v_add_nc_u32_e32 v49, 1, v45
	s_wait_dscnt 0x0
	v_and_b32_e32 v50, 0xff, v44
	v_and_b32_e32 v51, 0xff, v47
	v_cndmask_b32_e64 v43, v42, v43, s6
	v_cndmask_b32_e64 v46, v48, v46, s6
	v_mov_b32_e32 v42, v36
	v_cndmask_b32_e64 v45, v45, v49, s6
	v_cmp_lt_u16_e64 s6, v51, v50
	v_cndmask_b32_e64 v40, v40, v41, s5
	v_cmp_ge_i32_e64 s7, v46, v12
	s_wait_loadcnt 0x0
	v_cmp_lt_i32_e64 s5, v45, v13
	s_barrier_signal -1
	s_barrier_wait -1
	s_or_b32 s6, s7, s6
	global_inv scope:SCOPE_SE
	s_wait_alu 0xfffe
	s_and_b32 s5, s5, s6
	s_wait_alu 0xfffe
	v_cndmask_b32_e64 v41, v44, v47, s5
	ds_store_b8 v1, v40
	ds_store_b8 v1, v43 offset:1
	ds_store_b8 v1, v41 offset:2
	s_wait_loadcnt_dscnt 0x0
	s_barrier_signal -1
	s_barrier_wait -1
	global_inv scope:SCOPE_SE
	s_and_saveexec_b32 s6, s2
	s_cbranch_execz .LBB84_30
; %bb.27:                               ;   in Loop: Header=BB84_2 Depth=1
	v_mov_b32_e32 v42, v36
	v_mov_b32_e32 v40, v31
	s_mov_b32 s7, 0
.LBB84_28:                              ;   Parent Loop BB84_2 Depth=1
                                        ; =>  This Inner Loop Header: Depth=2
	s_delay_alu instid0(VALU_DEP_1) | instskip(NEXT) | instid1(VALU_DEP_1)
	v_sub_nc_u32_e32 v41, v40, v42
	v_lshrrev_b32_e32 v41, 1, v41
	s_delay_alu instid0(VALU_DEP_1) | instskip(NEXT) | instid1(VALU_DEP_1)
	v_add_nc_u32_e32 v41, v41, v42
	v_add_nc_u32_e32 v43, v7, v41
	v_xad_u32 v44, v41, -1, v22
	v_add_nc_u32_e32 v45, 1, v41
	ds_load_u8 v43, v43
	ds_load_u8 v44, v44 offset:12
	s_wait_dscnt 0x0
	v_cmp_lt_u16_e64 s5, v44, v43
	s_wait_alu 0xf1ff
	s_delay_alu instid0(VALU_DEP_1) | instskip(SKIP_1) | instid1(VALU_DEP_1)
	v_cndmask_b32_e64 v40, v40, v41, s5
	v_cndmask_b32_e64 v42, v45, v42, s5
	v_cmp_ge_i32_e64 s5, v42, v40
	s_wait_alu 0xfffe
	s_or_b32 s7, s5, s7
	s_wait_alu 0xfffe
	s_and_not1_b32 exec_lo, exec_lo, s7
	s_cbranch_execnz .LBB84_28
; %bb.29:                               ;   in Loop: Header=BB84_2 Depth=1
	s_or_b32 exec_lo, exec_lo, s7
.LBB84_30:                              ;   in Loop: Header=BB84_2 Depth=1
	s_wait_alu 0xfffe
	s_or_b32 exec_lo, exec_lo, s6
	v_add_nc_u32_e32 v44, v42, v7
	v_sub_nc_u32_e32 v46, v22, v42
	v_sub_nc_u32_e32 v45, v26, v42
                                        ; implicit-def: $vgpr42
	ds_load_u8 v40, v44
	ds_load_u8 v41, v46 offset:12
	v_cmp_le_i32_e64 s5, v14, v44
	v_cmp_gt_i32_e64 s7, v15, v45
	s_wait_dscnt 0x1
	v_and_b32_e32 v43, 0xff, v40
	s_wait_dscnt 0x0
	v_and_b32_e32 v47, 0xff, v41
	s_delay_alu instid0(VALU_DEP_1)
	v_cmp_lt_u16_e64 s6, v47, v43
	s_or_b32 s5, s5, s6
	s_wait_alu 0xfffe
	s_and_b32 s5, s7, s5
	s_wait_alu 0xfffe
	s_xor_b32 s6, s5, -1
	s_wait_alu 0xfffe
	s_and_saveexec_b32 s7, s6
	s_wait_alu 0xfffe
	s_xor_b32 s6, exec_lo, s7
; %bb.31:                               ;   in Loop: Header=BB84_2 Depth=1
	ds_load_u8 v42, v44 offset:1
                                        ; implicit-def: $vgpr46
; %bb.32:                               ;   in Loop: Header=BB84_2 Depth=1
	s_wait_alu 0xfffe
	s_or_saveexec_b32 s6, s6
	v_mov_b32_e32 v43, v41
	s_wait_alu 0xfffe
	s_xor_b32 exec_lo, exec_lo, s6
	s_cbranch_execz .LBB84_34
; %bb.33:                               ;   in Loop: Header=BB84_2 Depth=1
	ds_load_u8 v43, v46 offset:13
	s_wait_dscnt 0x1
	v_mov_b32_e32 v42, v40
.LBB84_34:                              ;   in Loop: Header=BB84_2 Depth=1
	s_or_b32 exec_lo, exec_lo, s6
	v_add_nc_u32_e32 v46, 1, v44
	v_add_nc_u32_e32 v47, 1, v45
	s_wait_dscnt 0x0
	v_and_b32_e32 v48, 0xff, v42
	s_delay_alu instid0(VALU_DEP_3) | instskip(SKIP_2) | instid1(VALU_DEP_3)
	v_cndmask_b32_e64 v46, v46, v44, s5
	v_and_b32_e32 v44, 0xff, v43
	v_cndmask_b32_e64 v45, v45, v47, s5
	v_cmp_ge_i32_e64 s6, v46, v14
	s_delay_alu instid0(VALU_DEP_3) | instskip(NEXT) | instid1(VALU_DEP_3)
	v_cmp_lt_u16_e64 s7, v44, v48
	v_cmp_lt_i32_e64 s8, v45, v15
                                        ; implicit-def: $vgpr44
	s_or_b32 s6, s6, s7
	s_wait_alu 0xfffe
	s_and_b32 s6, s8, s6
	s_wait_alu 0xfffe
	s_xor_b32 s7, s6, -1
	s_wait_alu 0xfffe
	s_and_saveexec_b32 s8, s7
	s_delay_alu instid0(SALU_CYCLE_1)
	s_xor_b32 s7, exec_lo, s8
; %bb.35:                               ;   in Loop: Header=BB84_2 Depth=1
	ds_load_u8 v44, v46 offset:1
; %bb.36:                               ;   in Loop: Header=BB84_2 Depth=1
	s_wait_alu 0xfffe
	s_or_saveexec_b32 s7, s7
	v_mov_b32_e32 v47, v43
	s_wait_alu 0xfffe
	s_xor_b32 exec_lo, exec_lo, s7
	s_cbranch_execz .LBB84_38
; %bb.37:                               ;   in Loop: Header=BB84_2 Depth=1
	ds_load_u8 v47, v45 offset:1
	s_wait_dscnt 0x1
	v_mov_b32_e32 v44, v42
.LBB84_38:                              ;   in Loop: Header=BB84_2 Depth=1
	s_or_b32 exec_lo, exec_lo, s7
	v_add_nc_u32_e32 v48, 1, v46
	v_add_nc_u32_e32 v49, 1, v45
	s_wait_dscnt 0x0
	v_and_b32_e32 v50, 0xff, v44
	v_and_b32_e32 v51, 0xff, v47
	v_cndmask_b32_e64 v43, v42, v43, s6
	v_cndmask_b32_e64 v46, v48, v46, s6
	v_mov_b32_e32 v42, v37
	v_cndmask_b32_e64 v45, v45, v49, s6
	v_cmp_lt_u16_e64 s6, v51, v50
	v_cndmask_b32_e64 v40, v40, v41, s5
	v_cmp_ge_i32_e64 s7, v46, v14
	s_wait_loadcnt 0x0
	v_cmp_lt_i32_e64 s5, v45, v15
	s_barrier_signal -1
	s_barrier_wait -1
	s_or_b32 s6, s7, s6
	global_inv scope:SCOPE_SE
	s_wait_alu 0xfffe
	s_and_b32 s5, s5, s6
	s_wait_alu 0xfffe
	v_cndmask_b32_e64 v41, v44, v47, s5
	ds_store_b8 v1, v40
	ds_store_b8 v1, v43 offset:1
	ds_store_b8 v1, v41 offset:2
	s_wait_loadcnt_dscnt 0x0
	s_barrier_signal -1
	s_barrier_wait -1
	global_inv scope:SCOPE_SE
	s_and_saveexec_b32 s6, s3
	s_cbranch_execz .LBB84_42
; %bb.39:                               ;   in Loop: Header=BB84_2 Depth=1
	v_mov_b32_e32 v42, v37
	v_mov_b32_e32 v40, v32
	s_mov_b32 s7, 0
.LBB84_40:                              ;   Parent Loop BB84_2 Depth=1
                                        ; =>  This Inner Loop Header: Depth=2
	s_delay_alu instid0(VALU_DEP_1) | instskip(NEXT) | instid1(VALU_DEP_1)
	v_sub_nc_u32_e32 v41, v40, v42
	v_lshrrev_b32_e32 v41, 1, v41
	s_delay_alu instid0(VALU_DEP_1) | instskip(NEXT) | instid1(VALU_DEP_1)
	v_add_nc_u32_e32 v41, v41, v42
	v_add_nc_u32_e32 v43, v8, v41
	v_xad_u32 v44, v41, -1, v23
	v_add_nc_u32_e32 v45, 1, v41
	ds_load_u8 v43, v43
	ds_load_u8 v44, v44 offset:24
	s_wait_dscnt 0x0
	v_cmp_lt_u16_e64 s5, v44, v43
	s_wait_alu 0xf1ff
	s_delay_alu instid0(VALU_DEP_1) | instskip(SKIP_1) | instid1(VALU_DEP_1)
	v_cndmask_b32_e64 v40, v40, v41, s5
	v_cndmask_b32_e64 v42, v45, v42, s5
	v_cmp_ge_i32_e64 s5, v42, v40
	s_wait_alu 0xfffe
	s_or_b32 s7, s5, s7
	s_wait_alu 0xfffe
	s_and_not1_b32 exec_lo, exec_lo, s7
	s_cbranch_execnz .LBB84_40
; %bb.41:                               ;   in Loop: Header=BB84_2 Depth=1
	s_or_b32 exec_lo, exec_lo, s7
.LBB84_42:                              ;   in Loop: Header=BB84_2 Depth=1
	s_wait_alu 0xfffe
	s_or_b32 exec_lo, exec_lo, s6
	v_add_nc_u32_e32 v44, v42, v8
	v_sub_nc_u32_e32 v46, v23, v42
	v_sub_nc_u32_e32 v45, v27, v42
                                        ; implicit-def: $vgpr42
	ds_load_u8 v40, v44
	ds_load_u8 v41, v46 offset:24
	v_cmp_le_i32_e64 s5, v16, v44
	v_cmp_gt_i32_e64 s7, v17, v45
	s_wait_dscnt 0x1
	v_and_b32_e32 v43, 0xff, v40
	s_wait_dscnt 0x0
	v_and_b32_e32 v47, 0xff, v41
	s_delay_alu instid0(VALU_DEP_1)
	v_cmp_lt_u16_e64 s6, v47, v43
	s_or_b32 s5, s5, s6
	s_wait_alu 0xfffe
	s_and_b32 s5, s7, s5
	s_wait_alu 0xfffe
	s_xor_b32 s6, s5, -1
	s_wait_alu 0xfffe
	s_and_saveexec_b32 s7, s6
	s_wait_alu 0xfffe
	s_xor_b32 s6, exec_lo, s7
; %bb.43:                               ;   in Loop: Header=BB84_2 Depth=1
	ds_load_u8 v42, v44 offset:1
                                        ; implicit-def: $vgpr46
; %bb.44:                               ;   in Loop: Header=BB84_2 Depth=1
	s_wait_alu 0xfffe
	s_or_saveexec_b32 s6, s6
	v_mov_b32_e32 v43, v41
	s_wait_alu 0xfffe
	s_xor_b32 exec_lo, exec_lo, s6
	s_cbranch_execz .LBB84_46
; %bb.45:                               ;   in Loop: Header=BB84_2 Depth=1
	ds_load_u8 v43, v46 offset:25
	s_wait_dscnt 0x1
	v_mov_b32_e32 v42, v40
.LBB84_46:                              ;   in Loop: Header=BB84_2 Depth=1
	s_or_b32 exec_lo, exec_lo, s6
	v_add_nc_u32_e32 v46, 1, v44
	v_add_nc_u32_e32 v47, 1, v45
	s_wait_dscnt 0x0
	v_and_b32_e32 v48, 0xff, v42
	s_delay_alu instid0(VALU_DEP_3) | instskip(SKIP_2) | instid1(VALU_DEP_3)
	v_cndmask_b32_e64 v46, v46, v44, s5
	v_and_b32_e32 v44, 0xff, v43
	v_cndmask_b32_e64 v45, v45, v47, s5
	v_cmp_ge_i32_e64 s6, v46, v16
	s_delay_alu instid0(VALU_DEP_3) | instskip(NEXT) | instid1(VALU_DEP_3)
	v_cmp_lt_u16_e64 s7, v44, v48
	v_cmp_lt_i32_e64 s8, v45, v17
                                        ; implicit-def: $vgpr44
	s_or_b32 s6, s6, s7
	s_wait_alu 0xfffe
	s_and_b32 s6, s8, s6
	s_wait_alu 0xfffe
	s_xor_b32 s7, s6, -1
	s_wait_alu 0xfffe
	s_and_saveexec_b32 s8, s7
	s_delay_alu instid0(SALU_CYCLE_1)
	s_xor_b32 s7, exec_lo, s8
; %bb.47:                               ;   in Loop: Header=BB84_2 Depth=1
	ds_load_u8 v44, v46 offset:1
; %bb.48:                               ;   in Loop: Header=BB84_2 Depth=1
	s_wait_alu 0xfffe
	s_or_saveexec_b32 s7, s7
	v_mov_b32_e32 v47, v43
	s_wait_alu 0xfffe
	s_xor_b32 exec_lo, exec_lo, s7
	s_cbranch_execz .LBB84_50
; %bb.49:                               ;   in Loop: Header=BB84_2 Depth=1
	ds_load_u8 v47, v45 offset:1
	s_wait_dscnt 0x1
	v_mov_b32_e32 v44, v42
.LBB84_50:                              ;   in Loop: Header=BB84_2 Depth=1
	s_or_b32 exec_lo, exec_lo, s7
	v_add_nc_u32_e32 v48, 1, v46
	v_add_nc_u32_e32 v49, 1, v45
	s_wait_dscnt 0x0
	v_and_b32_e32 v50, 0xff, v44
	v_and_b32_e32 v51, 0xff, v47
	v_cndmask_b32_e64 v43, v42, v43, s6
	v_cndmask_b32_e64 v46, v48, v46, s6
	v_mov_b32_e32 v42, v38
	v_cndmask_b32_e64 v45, v45, v49, s6
	v_cmp_lt_u16_e64 s6, v51, v50
	v_cndmask_b32_e64 v40, v40, v41, s5
	v_cmp_ge_i32_e64 s7, v46, v16
	s_wait_loadcnt 0x0
	v_cmp_lt_i32_e64 s5, v45, v17
	s_barrier_signal -1
	s_barrier_wait -1
	s_or_b32 s6, s7, s6
	global_inv scope:SCOPE_SE
	s_wait_alu 0xfffe
	s_and_b32 s5, s5, s6
	s_wait_alu 0xfffe
	v_cndmask_b32_e64 v41, v44, v47, s5
	ds_store_b8 v1, v40
	ds_store_b8 v1, v43 offset:1
	ds_store_b8 v1, v41 offset:2
	s_wait_loadcnt_dscnt 0x0
	s_barrier_signal -1
	s_barrier_wait -1
	global_inv scope:SCOPE_SE
	s_and_saveexec_b32 s6, s4
	s_cbranch_execz .LBB84_54
; %bb.51:                               ;   in Loop: Header=BB84_2 Depth=1
	v_mov_b32_e32 v42, v38
	v_mov_b32_e32 v40, v33
	s_mov_b32 s7, 0
.LBB84_52:                              ;   Parent Loop BB84_2 Depth=1
                                        ; =>  This Inner Loop Header: Depth=2
	s_delay_alu instid0(VALU_DEP_1) | instskip(NEXT) | instid1(VALU_DEP_1)
	v_sub_nc_u32_e32 v41, v40, v42
	v_lshrrev_b32_e32 v41, 1, v41
	s_delay_alu instid0(VALU_DEP_1) | instskip(NEXT) | instid1(VALU_DEP_1)
	v_add_nc_u32_e32 v41, v41, v42
	v_add_nc_u32_e32 v43, v9, v41
	v_xad_u32 v44, v41, -1, v39
	v_add_nc_u32_e32 v45, 1, v41
	ds_load_u8 v43, v43
	ds_load_u8 v44, v44 offset:48
	s_wait_dscnt 0x0
	v_cmp_lt_u16_e64 s5, v44, v43
	s_wait_alu 0xf1ff
	s_delay_alu instid0(VALU_DEP_1) | instskip(SKIP_1) | instid1(VALU_DEP_1)
	v_cndmask_b32_e64 v40, v40, v41, s5
	v_cndmask_b32_e64 v42, v45, v42, s5
	v_cmp_ge_i32_e64 s5, v42, v40
	s_wait_alu 0xfffe
	s_or_b32 s7, s5, s7
	s_wait_alu 0xfffe
	s_and_not1_b32 exec_lo, exec_lo, s7
	s_cbranch_execnz .LBB84_52
; %bb.53:                               ;   in Loop: Header=BB84_2 Depth=1
	s_or_b32 exec_lo, exec_lo, s7
.LBB84_54:                              ;   in Loop: Header=BB84_2 Depth=1
	s_wait_alu 0xfffe
	s_or_b32 exec_lo, exec_lo, s6
	v_add_nc_u32_e32 v44, v42, v9
	v_sub_nc_u32_e32 v46, v39, v42
	v_sub_nc_u32_e32 v45, v28, v42
                                        ; implicit-def: $vgpr42
	ds_load_u8 v40, v44
	ds_load_u8 v41, v46 offset:48
	v_cmp_le_i32_e64 s5, v18, v44
	v_cmp_gt_i32_e64 s7, v19, v45
	s_wait_dscnt 0x1
	v_and_b32_e32 v43, 0xff, v40
	s_wait_dscnt 0x0
	v_and_b32_e32 v47, 0xff, v41
	s_delay_alu instid0(VALU_DEP_1)
	v_cmp_lt_u16_e64 s6, v47, v43
	s_or_b32 s5, s5, s6
	s_wait_alu 0xfffe
	s_and_b32 s5, s7, s5
	s_wait_alu 0xfffe
	s_xor_b32 s6, s5, -1
	s_wait_alu 0xfffe
	s_and_saveexec_b32 s7, s6
	s_wait_alu 0xfffe
	s_xor_b32 s6, exec_lo, s7
; %bb.55:                               ;   in Loop: Header=BB84_2 Depth=1
	ds_load_u8 v42, v44 offset:1
                                        ; implicit-def: $vgpr46
; %bb.56:                               ;   in Loop: Header=BB84_2 Depth=1
	s_wait_alu 0xfffe
	s_or_saveexec_b32 s6, s6
	v_mov_b32_e32 v43, v41
	s_wait_alu 0xfffe
	s_xor_b32 exec_lo, exec_lo, s6
	s_cbranch_execz .LBB84_58
; %bb.57:                               ;   in Loop: Header=BB84_2 Depth=1
	ds_load_u8 v43, v46 offset:49
	s_wait_dscnt 0x1
	v_mov_b32_e32 v42, v40
.LBB84_58:                              ;   in Loop: Header=BB84_2 Depth=1
	s_or_b32 exec_lo, exec_lo, s6
	v_add_nc_u32_e32 v46, 1, v44
	v_add_nc_u32_e32 v47, 1, v45
	s_wait_dscnt 0x0
	v_and_b32_e32 v48, 0xff, v42
	s_delay_alu instid0(VALU_DEP_3) | instskip(SKIP_2) | instid1(VALU_DEP_3)
	v_cndmask_b32_e64 v46, v46, v44, s5
	v_and_b32_e32 v44, 0xff, v43
	v_cndmask_b32_e64 v45, v45, v47, s5
	v_cmp_ge_i32_e64 s6, v46, v18
	s_delay_alu instid0(VALU_DEP_3) | instskip(NEXT) | instid1(VALU_DEP_3)
	v_cmp_lt_u16_e64 s7, v44, v48
	v_cmp_lt_i32_e64 s8, v45, v19
                                        ; implicit-def: $vgpr44
	s_or_b32 s6, s6, s7
	s_wait_alu 0xfffe
	s_and_b32 s6, s8, s6
	s_wait_alu 0xfffe
	s_xor_b32 s7, s6, -1
	s_wait_alu 0xfffe
	s_and_saveexec_b32 s8, s7
	s_delay_alu instid0(SALU_CYCLE_1)
	s_xor_b32 s7, exec_lo, s8
; %bb.59:                               ;   in Loop: Header=BB84_2 Depth=1
	ds_load_u8 v44, v46 offset:1
; %bb.60:                               ;   in Loop: Header=BB84_2 Depth=1
	s_wait_alu 0xfffe
	s_or_saveexec_b32 s7, s7
	v_mov_b32_e32 v47, v43
	s_wait_alu 0xfffe
	s_xor_b32 exec_lo, exec_lo, s7
	s_cbranch_execz .LBB84_62
; %bb.61:                               ;   in Loop: Header=BB84_2 Depth=1
	ds_load_u8 v47, v45 offset:1
	s_wait_dscnt 0x1
	v_mov_b32_e32 v44, v42
.LBB84_62:                              ;   in Loop: Header=BB84_2 Depth=1
	s_or_b32 exec_lo, exec_lo, s7
	v_add_nc_u32_e32 v48, 1, v46
	v_add_nc_u32_e32 v49, 1, v45
	s_wait_dscnt 0x0
	v_and_b32_e32 v50, 0xff, v44
	v_and_b32_e32 v51, 0xff, v47
	v_cndmask_b32_e64 v43, v42, v43, s6
	v_cndmask_b32_e64 v46, v48, v46, s6
	v_mov_b32_e32 v42, v3
	v_cndmask_b32_e64 v45, v45, v49, s6
	v_cmp_lt_u16_e64 s6, v51, v50
	v_cndmask_b32_e64 v40, v40, v41, s5
	v_cmp_ge_i32_e64 s7, v46, v18
	s_wait_loadcnt 0x0
	v_cmp_lt_i32_e64 s5, v45, v19
	s_barrier_signal -1
	s_barrier_wait -1
	s_or_b32 s6, s7, s6
	global_inv scope:SCOPE_SE
	s_wait_alu 0xfffe
	s_and_b32 s5, s5, s6
	s_wait_alu 0xfffe
	v_cndmask_b32_e64 v41, v44, v47, s5
	ds_store_b8 v1, v40
	ds_store_b8 v1, v43 offset:1
	ds_store_b8 v1, v41 offset:2
	s_wait_loadcnt_dscnt 0x0
	s_barrier_signal -1
	s_barrier_wait -1
	global_inv scope:SCOPE_SE
	s_and_saveexec_b32 s6, vcc_lo
	s_cbranch_execz .LBB84_66
; %bb.63:                               ;   in Loop: Header=BB84_2 Depth=1
	v_mov_b32_e32 v42, v3
	v_mov_b32_e32 v40, v4
	s_mov_b32 s7, 0
.LBB84_64:                              ;   Parent Loop BB84_2 Depth=1
                                        ; =>  This Inner Loop Header: Depth=2
	s_delay_alu instid0(VALU_DEP_1) | instskip(NEXT) | instid1(VALU_DEP_1)
	v_sub_nc_u32_e32 v41, v40, v42
	v_lshrrev_b32_e32 v41, 1, v41
	s_delay_alu instid0(VALU_DEP_1) | instskip(NEXT) | instid1(VALU_DEP_1)
	v_add_nc_u32_e32 v41, v41, v42
	v_xad_u32 v43, v41, -1, v1
	v_add_nc_u32_e32 v45, 1, v41
	ds_load_u8 v44, v41
	ds_load_u8 v43, v43 offset:96
	s_wait_dscnt 0x0
	v_cmp_lt_u16_e64 s5, v43, v44
	s_wait_alu 0xf1ff
	s_delay_alu instid0(VALU_DEP_1) | instskip(SKIP_1) | instid1(VALU_DEP_1)
	v_cndmask_b32_e64 v40, v40, v41, s5
	v_cndmask_b32_e64 v42, v45, v42, s5
	v_cmp_ge_i32_e64 s5, v42, v40
	s_wait_alu 0xfffe
	s_or_b32 s7, s5, s7
	s_wait_alu 0xfffe
	s_and_not1_b32 exec_lo, exec_lo, s7
	s_cbranch_execnz .LBB84_64
; %bb.65:                               ;   in Loop: Header=BB84_2 Depth=1
	s_or_b32 exec_lo, exec_lo, s7
.LBB84_66:                              ;   in Loop: Header=BB84_2 Depth=1
	s_wait_alu 0xfffe
	s_or_b32 exec_lo, exec_lo, s6
	v_sub_nc_u32_e32 v46, v1, v42
	v_sub_nc_u32_e32 v45, v2, v42
	v_cmp_le_i32_e64 s5, 0x60, v42
	ds_load_u8 v40, v42
	ds_load_u8 v41, v46 offset:96
	v_cmp_gt_i32_e64 s7, 0xc0, v45
	s_wait_dscnt 0x1
	v_and_b32_e32 v43, 0xff, v40
	s_wait_dscnt 0x0
	v_and_b32_e32 v44, 0xff, v41
	s_delay_alu instid0(VALU_DEP_1)
	v_cmp_lt_u16_e64 s6, v44, v43
                                        ; implicit-def: $vgpr43
	s_or_b32 s5, s5, s6
	s_wait_alu 0xfffe
	s_and_b32 s5, s7, s5
	s_wait_alu 0xfffe
	s_xor_b32 s6, s5, -1
	s_wait_alu 0xfffe
	s_and_saveexec_b32 s7, s6
	s_wait_alu 0xfffe
	s_xor_b32 s6, exec_lo, s7
; %bb.67:                               ;   in Loop: Header=BB84_2 Depth=1
	ds_load_u8 v43, v42 offset:1
                                        ; implicit-def: $vgpr46
; %bb.68:                               ;   in Loop: Header=BB84_2 Depth=1
	s_wait_alu 0xfffe
	s_or_saveexec_b32 s6, s6
	v_mov_b32_e32 v44, v41
	s_wait_alu 0xfffe
	s_xor_b32 exec_lo, exec_lo, s6
	s_cbranch_execz .LBB84_70
; %bb.69:                               ;   in Loop: Header=BB84_2 Depth=1
	ds_load_u8 v44, v46 offset:97
	s_wait_dscnt 0x1
	v_mov_b32_e32 v43, v40
.LBB84_70:                              ;   in Loop: Header=BB84_2 Depth=1
	s_or_b32 exec_lo, exec_lo, s6
	v_add_nc_u32_e32 v46, 1, v42
	v_add_nc_u32_e32 v48, 1, v45
	s_wait_dscnt 0x0
	v_and_b32_e32 v49, 0xff, v43
	s_delay_alu instid0(VALU_DEP_3) | instskip(SKIP_2) | instid1(VALU_DEP_3)
	v_cndmask_b32_e64 v47, v46, v42, s5
	v_and_b32_e32 v46, 0xff, v44
	v_cndmask_b32_e64 v42, v45, v48, s5
                                        ; implicit-def: $vgpr45
	v_cmp_le_i32_e64 s6, 0x60, v47
	s_delay_alu instid0(VALU_DEP_3) | instskip(NEXT) | instid1(VALU_DEP_3)
	v_cmp_lt_u16_e64 s7, v46, v49
	v_cmp_gt_i32_e64 s8, 0xc0, v42
                                        ; implicit-def: $vgpr46
	s_or_b32 s6, s6, s7
	s_wait_alu 0xfffe
	s_and_b32 s6, s8, s6
	s_wait_alu 0xfffe
	s_xor_b32 s7, s6, -1
	s_wait_alu 0xfffe
	s_and_saveexec_b32 s8, s7
	s_delay_alu instid0(SALU_CYCLE_1)
	s_xor_b32 s7, exec_lo, s8
; %bb.71:                               ;   in Loop: Header=BB84_2 Depth=1
	ds_load_u8 v45, v47 offset:1
	v_add_nc_u32_e32 v46, 1, v47
                                        ; implicit-def: $vgpr47
; %bb.72:                               ;   in Loop: Header=BB84_2 Depth=1
	s_wait_alu 0xfffe
	s_or_saveexec_b32 s7, s7
	v_mov_b32_e32 v48, v44
	s_wait_alu 0xfffe
	s_xor_b32 exec_lo, exec_lo, s7
	s_cbranch_execz .LBB84_1
; %bb.73:                               ;   in Loop: Header=BB84_2 Depth=1
	ds_load_u8 v48, v42 offset:1
	s_wait_dscnt 0x1
	v_dual_mov_b32 v45, v43 :: v_dual_add_nc_u32 v42, 1, v42
	v_mov_b32_e32 v46, v47
	s_branch .LBB84_1
.LBB84_74:
	s_add_nc_u64 s[0:1], s[10:11], s[12:13]
	s_wait_alu 0xfffe
	v_add_co_u32 v0, s0, s0, v0
	s_wait_alu 0xf1ff
	v_add_co_ci_u32_e64 v1, null, s1, 0, s0
	s_clause 0x2
	global_store_b8 v[0:1], v40, off
	global_store_b8 v[0:1], v43, off offset:64
	global_store_b8 v[0:1], v41, off offset:128
	s_endpgm
	.section	.rodata,"a",@progbits
	.p2align	6, 0x0
	.amdhsa_kernel _Z16sort_keys_kernelIhLj64ELj3EN10test_utils4lessELj10EEvPKT_PS2_T2_
		.amdhsa_group_segment_fixed_size 193
		.amdhsa_private_segment_fixed_size 0
		.amdhsa_kernarg_size 20
		.amdhsa_user_sgpr_count 2
		.amdhsa_user_sgpr_dispatch_ptr 0
		.amdhsa_user_sgpr_queue_ptr 0
		.amdhsa_user_sgpr_kernarg_segment_ptr 1
		.amdhsa_user_sgpr_dispatch_id 0
		.amdhsa_user_sgpr_private_segment_size 0
		.amdhsa_wavefront_size32 1
		.amdhsa_uses_dynamic_stack 0
		.amdhsa_enable_private_segment 0
		.amdhsa_system_sgpr_workgroup_id_x 1
		.amdhsa_system_sgpr_workgroup_id_y 0
		.amdhsa_system_sgpr_workgroup_id_z 0
		.amdhsa_system_sgpr_workgroup_info 0
		.amdhsa_system_vgpr_workitem_id 0
		.amdhsa_next_free_vgpr 54
		.amdhsa_next_free_sgpr 14
		.amdhsa_reserve_vcc 1
		.amdhsa_float_round_mode_32 0
		.amdhsa_float_round_mode_16_64 0
		.amdhsa_float_denorm_mode_32 3
		.amdhsa_float_denorm_mode_16_64 3
		.amdhsa_fp16_overflow 0
		.amdhsa_workgroup_processor_mode 1
		.amdhsa_memory_ordered 1
		.amdhsa_forward_progress 1
		.amdhsa_inst_pref_size 40
		.amdhsa_round_robin_scheduling 0
		.amdhsa_exception_fp_ieee_invalid_op 0
		.amdhsa_exception_fp_denorm_src 0
		.amdhsa_exception_fp_ieee_div_zero 0
		.amdhsa_exception_fp_ieee_overflow 0
		.amdhsa_exception_fp_ieee_underflow 0
		.amdhsa_exception_fp_ieee_inexact 0
		.amdhsa_exception_int_div_zero 0
	.end_amdhsa_kernel
	.section	.text._Z16sort_keys_kernelIhLj64ELj3EN10test_utils4lessELj10EEvPKT_PS2_T2_,"axG",@progbits,_Z16sort_keys_kernelIhLj64ELj3EN10test_utils4lessELj10EEvPKT_PS2_T2_,comdat
.Lfunc_end84:
	.size	_Z16sort_keys_kernelIhLj64ELj3EN10test_utils4lessELj10EEvPKT_PS2_T2_, .Lfunc_end84-_Z16sort_keys_kernelIhLj64ELj3EN10test_utils4lessELj10EEvPKT_PS2_T2_
                                        ; -- End function
	.set _Z16sort_keys_kernelIhLj64ELj3EN10test_utils4lessELj10EEvPKT_PS2_T2_.num_vgpr, 54
	.set _Z16sort_keys_kernelIhLj64ELj3EN10test_utils4lessELj10EEvPKT_PS2_T2_.num_agpr, 0
	.set _Z16sort_keys_kernelIhLj64ELj3EN10test_utils4lessELj10EEvPKT_PS2_T2_.numbered_sgpr, 14
	.set _Z16sort_keys_kernelIhLj64ELj3EN10test_utils4lessELj10EEvPKT_PS2_T2_.num_named_barrier, 0
	.set _Z16sort_keys_kernelIhLj64ELj3EN10test_utils4lessELj10EEvPKT_PS2_T2_.private_seg_size, 0
	.set _Z16sort_keys_kernelIhLj64ELj3EN10test_utils4lessELj10EEvPKT_PS2_T2_.uses_vcc, 1
	.set _Z16sort_keys_kernelIhLj64ELj3EN10test_utils4lessELj10EEvPKT_PS2_T2_.uses_flat_scratch, 0
	.set _Z16sort_keys_kernelIhLj64ELj3EN10test_utils4lessELj10EEvPKT_PS2_T2_.has_dyn_sized_stack, 0
	.set _Z16sort_keys_kernelIhLj64ELj3EN10test_utils4lessELj10EEvPKT_PS2_T2_.has_recursion, 0
	.set _Z16sort_keys_kernelIhLj64ELj3EN10test_utils4lessELj10EEvPKT_PS2_T2_.has_indirect_call, 0
	.section	.AMDGPU.csdata,"",@progbits
; Kernel info:
; codeLenInByte = 5056
; TotalNumSgprs: 16
; NumVgprs: 54
; ScratchSize: 0
; MemoryBound: 0
; FloatMode: 240
; IeeeMode: 1
; LDSByteSize: 193 bytes/workgroup (compile time only)
; SGPRBlocks: 0
; VGPRBlocks: 6
; NumSGPRsForWavesPerEU: 16
; NumVGPRsForWavesPerEU: 54
; Occupancy: 16
; WaveLimiterHint : 0
; COMPUTE_PGM_RSRC2:SCRATCH_EN: 0
; COMPUTE_PGM_RSRC2:USER_SGPR: 2
; COMPUTE_PGM_RSRC2:TRAP_HANDLER: 0
; COMPUTE_PGM_RSRC2:TGID_X_EN: 1
; COMPUTE_PGM_RSRC2:TGID_Y_EN: 0
; COMPUTE_PGM_RSRC2:TGID_Z_EN: 0
; COMPUTE_PGM_RSRC2:TIDIG_COMP_CNT: 0
	.section	.text._Z17sort_pairs_kernelIhLj64ELj3EN10test_utils4lessELj10EEvPKT_PS2_T2_,"axG",@progbits,_Z17sort_pairs_kernelIhLj64ELj3EN10test_utils4lessELj10EEvPKT_PS2_T2_,comdat
	.protected	_Z17sort_pairs_kernelIhLj64ELj3EN10test_utils4lessELj10EEvPKT_PS2_T2_ ; -- Begin function _Z17sort_pairs_kernelIhLj64ELj3EN10test_utils4lessELj10EEvPKT_PS2_T2_
	.globl	_Z17sort_pairs_kernelIhLj64ELj3EN10test_utils4lessELj10EEvPKT_PS2_T2_
	.p2align	8
	.type	_Z17sort_pairs_kernelIhLj64ELj3EN10test_utils4lessELj10EEvPKT_PS2_T2_,@function
_Z17sort_pairs_kernelIhLj64ELj3EN10test_utils4lessELj10EEvPKT_PS2_T2_: ; @_Z17sort_pairs_kernelIhLj64ELj3EN10test_utils4lessELj10EEvPKT_PS2_T2_
; %bb.0:
	s_load_b128 s[12:15], s[0:1], 0x0
	s_mul_i32 s16, ttmp9, 0xc0
	s_mov_b32 s17, 0
	v_and_b32_e32 v3, 62, v0
	v_and_b32_e32 v5, 60, v0
	;; [unrolled: 1-line block ×5, first 2 shown]
	v_mul_u32_u24_e32 v9, 3, v3
	v_and_b32_e32 v8, 32, v0
	v_mul_u32_u24_e32 v10, 3, v5
	v_mul_u32_u24_e32 v11, 3, v6
	v_cmp_eq_u32_e32 vcc_lo, 1, v4
	v_min_u32_e32 v20, 0xbd, v9
	v_min_u32_e32 v14, 0xba, v9
	v_mul_u32_u24_e32 v12, 3, v7
	v_mul_u32_u24_e32 v13, 3, v8
	v_min_u32_e32 v6, 0xc0, v10
	v_min_u32_e32 v21, 0xba, v10
	;; [unrolled: 1-line block ×3, first 2 shown]
	s_wait_kmcnt 0x0
	s_add_nc_u64 s[0:1], s[12:13], s[16:17]
	v_min_u32_e32 v7, 0xc0, v11
	s_clause 0x2
	global_load_u8 v39, v0, s[0:1]
	global_load_u8 v40, v0, s[0:1] offset:64
	global_load_u8 v43, v0, s[0:1] offset:128
	v_min_u32_e32 v22, 0xb4, v11
	v_min_u32_e32 v16, 0xa8, v11
	v_add_nc_u32_e32 v10, 3, v20
	v_add_nc_u32_e32 v11, 6, v14
	v_and_b32_e32 v25, 3, v0
	v_cndmask_b32_e64 v34, 0, 3, vcc_lo
	v_min_u32_e32 v5, 0xc0, v9
	v_min_u32_e32 v8, 0xc0, v12
	;; [unrolled: 1-line block ×7, first 2 shown]
	v_add_nc_u32_e32 v12, 6, v21
	v_add_nc_u32_e32 v13, 12, v15
	v_sub_nc_u32_e32 v41, v11, v10
	v_and_b32_e32 v26, 7, v0
	v_mul_u32_u24_e32 v35, 3, v25
	v_add_nc_u32_e32 v14, 12, v22
	v_add_nc_u32_e32 v15, 24, v16
	v_sub_nc_u32_e32 v29, v10, v5
	v_sub_nc_u32_e32 v42, v13, v12
	;; [unrolled: 1-line block ×3, first 2 shown]
	v_cmp_ge_i32_e64 s0, v34, v41
	v_and_b32_e32 v27, 15, v0
	v_mul_u32_u24_e32 v36, 3, v26
	v_add_nc_u32_e32 v16, 24, v23
	v_add_nc_u32_e32 v17, 48, v17
	;; [unrolled: 1-line block ×4, first 2 shown]
	v_sub_nc_u32_e32 v30, v12, v6
	v_sub_nc_u32_e32 v44, v15, v14
	v_min_i32_e32 v29, v34, v29
	v_sub_nc_u32_e32 v50, v35, v42
	v_cndmask_b32_e64 v34, 0, v49, s0
	v_cmp_ge_i32_e64 s0, v35, v42
	v_and_b32_e32 v45, 31, v0
	v_mul_u32_u24_e32 v37, 3, v27
	v_add_nc_u32_e32 v18, 48, v46
	v_add_nc_u32_e32 v19, 0x60, v19
	v_sub_nc_u32_e32 v31, v14, v7
	v_sub_nc_u32_e32 v47, v17, v16
	v_min_i32_e32 v30, v35, v30
	v_sub_nc_u32_e32 v51, v36, v44
	s_wait_alu 0xf1ff
	v_cndmask_b32_e64 v35, 0, v50, s0
	v_cmp_ge_i32_e64 s0, v36, v44
	v_mul_u32_u24_e32 v38, 3, v45
	v_sub_nc_u32_e32 v32, v16, v8
	v_sub_nc_u32_e32 v48, v19, v18
	v_min_i32_e32 v31, v36, v31
	v_sub_nc_u32_e32 v52, v37, v47
	s_wait_alu 0xf1ff
	v_cndmask_b32_e64 v36, 0, v51, s0
	v_cmp_ge_i32_e64 s0, v37, v47
	v_sub_nc_u32_e32 v33, v18, v9
	v_min_i32_e32 v32, v37, v32
	v_sub_nc_u32_e32 v53, v38, v48
	v_mul_u32_u24_e32 v1, 3, v0
	s_wait_alu 0xf1ff
	v_cndmask_b32_e64 v37, 0, v52, s0
	v_cmp_ge_i32_e64 s0, v38, v48
	v_min_i32_e32 v33, v38, v33
	v_mad_u32_u24 v2, v0, 3, 0x60
	v_subrev_nc_u32_e64 v3, 0x60, v1 clamp
	v_min_i32_e32 v4, 0x60, v1
	s_wait_alu 0xf1ff
	v_cndmask_b32_e64 v38, 0, v53, s0
	v_mad_u32_u24 v21, v25, 3, v21
	v_mad_u32_u24 v22, v26, 3, v22
	;; [unrolled: 1-line block ×7, first 2 shown]
	v_cmp_lt_i32_e64 s0, v34, v29
	v_cmp_lt_i32_e64 s1, v35, v30
	;; [unrolled: 1-line block ×5, first 2 shown]
	s_mov_b32 s12, s17
	v_cmp_lt_i32_e32 vcc_lo, v3, v4
	s_wait_loadcnt 0x2
	v_add_nc_u16 v42, v39, 1
	s_wait_loadcnt 0x1
	v_perm_b32 v44, v39, v40, 0xc0c0004
	s_wait_loadcnt 0x0
	v_lshlrev_b32_e32 v47, 16, v43
	v_add_nc_u16 v41, v40, 1
	v_add_nc_u16 v40, v43, 1
	v_mad_u32_u24 v39, v45, 3, v46
	s_delay_alu instid0(VALU_DEP_4)
	v_or_b32_e32 v44, v44, v47
	s_branch .LBB85_2
.LBB85_1:                               ;   in Loop: Header=BB85_2 Depth=1
	s_or_b32 exec_lo, exec_lo, s7
	s_wait_dscnt 0x0
	s_delay_alu instid0(VALU_DEP_1)
	v_and_b32_e32 v54, 0xff, v52
	v_and_b32_e32 v55, 0xff, v53
	v_cndmask_b32_e64 v46, v45, v46, s5
	v_cndmask_b32_e64 v45, v47, v48, s6
	v_cmp_le_i32_e64 s6, 0x60, v50
	v_cndmask_b32_e64 v44, v43, v44, s5
	v_cmp_lt_u16_e64 s7, v55, v54
	v_cmp_gt_i32_e64 s5, 0xc0, v49
	s_wait_loadcnt 0x0
	s_barrier_signal -1
	s_barrier_wait -1
	s_or_b32 s6, s6, s7
	global_inv scope:SCOPE_SE
	s_wait_alu 0xfffe
	s_and_b32 s5, s5, s6
	ds_store_b8 v1, v40
	ds_store_b8 v1, v42 offset:1
	ds_store_b8 v1, v41 offset:2
	s_wait_alu 0xfffe
	v_cndmask_b32_e64 v49, v50, v49, s5
	s_wait_loadcnt_dscnt 0x0
	s_barrier_signal -1
	s_barrier_wait -1
	global_inv scope:SCOPE_SE
	ds_load_u8 v42, v44
	ds_load_u8 v41, v51
	;; [unrolled: 1-line block ×3, first 2 shown]
	v_lshlrev_b16 v47, 8, v45
	v_and_b32_e32 v48, 0xff, v46
	v_cndmask_b32_e64 v43, v52, v53, s5
	s_add_co_i32 s12, s12, 1
	s_delay_alu instid0(SALU_CYCLE_1) | instskip(NEXT) | instid1(VALU_DEP_2)
	s_cmp_eq_u32 s12, 10
	v_or_b32_e32 v44, v48, v47
	s_delay_alu instid0(VALU_DEP_2) | instskip(NEXT) | instid1(VALU_DEP_2)
	v_and_b32_e32 v47, 0xff, v43
	v_and_b32_e32 v44, 0xffff, v44
	s_delay_alu instid0(VALU_DEP_2) | instskip(NEXT) | instid1(VALU_DEP_1)
	v_lshlrev_b32_e32 v47, 16, v47
	v_or_b32_e32 v44, v44, v47
	s_cbranch_scc1 .LBB85_74
.LBB85_2:                               ; =>This Loop Header: Depth=1
                                        ;     Child Loop BB85_4 Depth 2
                                        ;     Child Loop BB85_16 Depth 2
	;; [unrolled: 1-line block ×6, first 2 shown]
	s_delay_alu instid0(VALU_DEP_1) | instskip(SKIP_3) | instid1(VALU_DEP_3)
	v_lshrrev_b32_e32 v43, 8, v44
	v_and_b32_e32 v45, 0xff, v44
	v_perm_b32 v46, v44, v44, 0x7060405
	s_barrier_signal -1
	v_and_b32_e32 v43, 0xff, v43
	s_barrier_wait -1
	global_inv scope:SCOPE_SE
	v_cmp_lt_u16_e64 s6, v43, v45
	v_max_u16 v43, v43, v45
	s_wait_alu 0xf1ff
	s_delay_alu instid0(VALU_DEP_2) | instskip(NEXT) | instid1(VALU_DEP_1)
	v_cndmask_b32_e64 v44, v44, v46, s6
	v_lshrrev_b32_e32 v46, 16, v44
	v_and_b32_e32 v45, 0xff, v44
	s_delay_alu instid0(VALU_DEP_2) | instskip(SKIP_2) | instid1(VALU_DEP_3)
	v_lshlrev_b16 v47, 8, v46
	v_and_b32_e32 v48, 0xffffff00, v46
	v_and_b32_e32 v46, 0xff, v46
	v_or_b32_e32 v45, v45, v47
	s_delay_alu instid0(VALU_DEP_3) | instskip(NEXT) | instid1(VALU_DEP_3)
	v_or_b32_e32 v47, v43, v48
	v_cmp_lt_u16_e64 s7, v46, v43
	v_min_u16 v43, v46, v43
	s_delay_alu instid0(VALU_DEP_4) | instskip(NEXT) | instid1(VALU_DEP_4)
	v_and_b32_e32 v45, 0xffff, v45
	v_lshlrev_b32_e32 v47, 16, v47
	s_delay_alu instid0(VALU_DEP_1) | instskip(SKIP_1) | instid1(VALU_DEP_1)
	v_or_b32_e32 v45, v45, v47
	s_wait_alu 0xf1ff
	v_cndmask_b32_e64 v44, v44, v45, s7
	s_delay_alu instid0(VALU_DEP_1) | instskip(SKIP_1) | instid1(VALU_DEP_2)
	v_lshlrev_b16 v45, 8, v44
	v_and_b32_e32 v46, 0xff, v44
	v_or_b32_e32 v45, v43, v45
	s_delay_alu instid0(VALU_DEP_2) | instskip(NEXT) | instid1(VALU_DEP_2)
	v_cmp_lt_u16_e64 s5, v43, v46
	v_and_b32_e32 v45, 0xffff, v45
	s_delay_alu instid0(VALU_DEP_1) | instskip(SKIP_1) | instid1(VALU_DEP_1)
	v_and_or_b32 v45, 0xffff0000, v44, v45
	s_wait_alu 0xf1ff
	v_cndmask_b32_e64 v43, v44, v45, s5
	v_mov_b32_e32 v45, v34
	s_delay_alu instid0(VALU_DEP_2)
	v_lshrrev_b32_e32 v44, 8, v43
	ds_store_b8 v1, v43
	ds_store_b8 v1, v44 offset:1
	ds_store_b8_d16_hi v1, v43 offset:2
	s_wait_loadcnt_dscnt 0x0
	s_barrier_signal -1
	s_barrier_wait -1
	global_inv scope:SCOPE_SE
	s_and_saveexec_b32 s9, s0
	s_cbranch_execz .LBB85_6
; %bb.3:                                ;   in Loop: Header=BB85_2 Depth=1
	v_mov_b32_e32 v45, v34
	v_mov_b32_e32 v43, v29
	s_mov_b32 s10, 0
.LBB85_4:                               ;   Parent Loop BB85_2 Depth=1
                                        ; =>  This Inner Loop Header: Depth=2
	s_delay_alu instid0(VALU_DEP_1) | instskip(NEXT) | instid1(VALU_DEP_1)
	v_sub_nc_u32_e32 v44, v43, v45
	v_lshrrev_b32_e32 v44, 1, v44
	s_delay_alu instid0(VALU_DEP_1) | instskip(NEXT) | instid1(VALU_DEP_1)
	v_add_nc_u32_e32 v44, v44, v45
	v_add_nc_u32_e32 v46, v5, v44
	v_xad_u32 v47, v44, -1, v20
	v_add_nc_u32_e32 v48, 1, v44
	ds_load_u8 v46, v46
	ds_load_u8 v47, v47 offset:3
	s_wait_dscnt 0x0
	v_cmp_lt_u16_e64 s8, v47, v46
	s_wait_alu 0xf1ff
	s_delay_alu instid0(VALU_DEP_1) | instskip(SKIP_1) | instid1(VALU_DEP_1)
	v_cndmask_b32_e64 v43, v43, v44, s8
	v_cndmask_b32_e64 v45, v48, v45, s8
	v_cmp_ge_i32_e64 s8, v45, v43
	s_or_b32 s10, s8, s10
	s_delay_alu instid0(SALU_CYCLE_1)
	s_and_not1_b32 exec_lo, exec_lo, s10
	s_cbranch_execnz .LBB85_4
; %bb.5:                                ;   in Loop: Header=BB85_2 Depth=1
	s_or_b32 exec_lo, exec_lo, s10
.LBB85_6:                               ;   in Loop: Header=BB85_2 Depth=1
	s_wait_alu 0xfffe
	s_or_b32 exec_lo, exec_lo, s9
	v_add_nc_u32_e32 v47, v45, v5
	v_sub_nc_u32_e32 v49, v20, v45
	v_sub_nc_u32_e32 v48, v24, v45
                                        ; implicit-def: $vgpr45
	ds_load_u8 v43, v47
	ds_load_u8 v44, v49 offset:3
	v_cmp_le_i32_e64 s8, v10, v47
	v_cmp_gt_i32_e64 s10, v11, v48
	s_wait_dscnt 0x1
	v_and_b32_e32 v46, 0xff, v43
	s_wait_dscnt 0x0
	v_and_b32_e32 v50, 0xff, v44
	s_delay_alu instid0(VALU_DEP_1)
	v_cmp_lt_u16_e64 s9, v50, v46
	s_or_b32 s8, s8, s9
	s_wait_alu 0xfffe
	s_and_b32 s8, s10, s8
	s_wait_alu 0xfffe
	s_xor_b32 s9, s8, -1
	s_wait_alu 0xfffe
	s_and_saveexec_b32 s10, s9
	s_delay_alu instid0(SALU_CYCLE_1)
	s_xor_b32 s9, exec_lo, s10
; %bb.7:                                ;   in Loop: Header=BB85_2 Depth=1
	ds_load_u8 v45, v47 offset:1
                                        ; implicit-def: $vgpr49
; %bb.8:                                ;   in Loop: Header=BB85_2 Depth=1
	s_wait_alu 0xfffe
	s_or_saveexec_b32 s9, s9
	v_mov_b32_e32 v46, v44
	s_wait_alu 0xfffe
	s_xor_b32 exec_lo, exec_lo, s9
	s_cbranch_execz .LBB85_10
; %bb.9:                                ;   in Loop: Header=BB85_2 Depth=1
	ds_load_u8 v46, v49 offset:4
	s_wait_dscnt 0x1
	v_mov_b32_e32 v45, v43
.LBB85_10:                              ;   in Loop: Header=BB85_2 Depth=1
	s_or_b32 exec_lo, exec_lo, s9
	v_add_nc_u32_e32 v49, 1, v47
	v_add_nc_u32_e32 v50, 1, v48
	s_wait_dscnt 0x0
	v_and_b32_e32 v52, 0xff, v45
	s_delay_alu instid0(VALU_DEP_3) | instskip(SKIP_2) | instid1(VALU_DEP_3)
	v_cndmask_b32_e64 v51, v49, v47, s8
	v_and_b32_e32 v49, 0xff, v46
	v_cndmask_b32_e64 v50, v48, v50, s8
	v_cmp_ge_i32_e64 s9, v51, v10
	s_delay_alu instid0(VALU_DEP_3) | instskip(NEXT) | instid1(VALU_DEP_3)
	v_cmp_lt_u16_e64 s10, v49, v52
	v_cmp_lt_i32_e64 s11, v50, v11
                                        ; implicit-def: $vgpr49
	s_or_b32 s9, s9, s10
	s_wait_alu 0xfffe
	s_and_b32 s9, s11, s9
	s_wait_alu 0xfffe
	s_xor_b32 s10, s9, -1
	s_delay_alu instid0(SALU_CYCLE_1) | instskip(NEXT) | instid1(SALU_CYCLE_1)
	s_and_saveexec_b32 s11, s10
	s_xor_b32 s10, exec_lo, s11
; %bb.11:                               ;   in Loop: Header=BB85_2 Depth=1
	ds_load_u8 v49, v51 offset:1
; %bb.12:                               ;   in Loop: Header=BB85_2 Depth=1
	s_or_saveexec_b32 s10, s10
	v_mov_b32_e32 v52, v46
	s_xor_b32 exec_lo, exec_lo, s10
	s_cbranch_execz .LBB85_14
; %bb.13:                               ;   in Loop: Header=BB85_2 Depth=1
	ds_load_u8 v52, v50 offset:1
	s_wait_dscnt 0x1
	v_mov_b32_e32 v49, v45
.LBB85_14:                              ;   in Loop: Header=BB85_2 Depth=1
	s_or_b32 exec_lo, exec_lo, s10
	v_perm_b32 v53, v41, v42, 0xc0c0004
	v_perm_b32 v41, v42, v41, 0xc0c0004
	v_and_b32_e32 v42, 0xff, v40
	v_cndmask_b32_e64 v47, v47, v48, s8
	s_wait_dscnt 0x0
	v_and_b32_e32 v54, 0xff, v49
	v_and_b32_e32 v55, 0xff, v52
	v_cndmask_b32_e64 v41, v41, v53, s6
	v_lshlrev_b32_e32 v42, 16, v42
	s_wait_loadcnt 0x0
	s_barrier_signal -1
	v_cmp_lt_u16_e64 s6, v55, v54
	v_lshrrev_b16 v53, 8, v41
	v_perm_b32 v40, v41, v40, 0xc0c0004
	v_or_b32_e32 v41, v41, v42
	v_add_nc_u32_e32 v42, 1, v51
	s_barrier_wait -1
	v_lshlrev_b32_e32 v53, 16, v53
	global_inv scope:SCOPE_SE
	v_cndmask_b32_e64 v43, v43, v44, s8
	v_cndmask_b32_e64 v42, v42, v51, s9
	;; [unrolled: 1-line block ×3, first 2 shown]
	v_or_b32_e32 v40, v40, v53
	v_cndmask_b32_e64 v53, v51, v50, s9
	s_delay_alu instid0(VALU_DEP_2) | instskip(SKIP_2) | instid1(VALU_DEP_3)
	v_cndmask_b32_e64 v40, v41, v40, s7
	v_add_nc_u32_e32 v41, 1, v50
	v_cmp_ge_i32_e64 s7, v42, v10
	v_perm_b32 v48, 0, v40, 0xc0c0001
	s_delay_alu instid0(VALU_DEP_3) | instskip(SKIP_1) | instid1(VALU_DEP_2)
	v_cndmask_b32_e64 v41, v50, v41, s9
	s_or_b32 s6, s7, s6
	v_and_or_b32 v48, 0xff0000, v40, v48
	s_delay_alu instid0(VALU_DEP_1) | instskip(NEXT) | instid1(VALU_DEP_3)
	v_cndmask_b32_e64 v40, v40, v48, s5
	v_cmp_lt_i32_e64 s5, v41, v11
	s_delay_alu instid0(VALU_DEP_2)
	v_lshrrev_b32_e32 v48, 8, v40
	s_wait_alu 0xfffe
	s_and_b32 s5, s5, s6
	ds_store_b8 v1, v40
	ds_store_b8 v1, v48 offset:1
	ds_store_b8_d16_hi v1, v40 offset:2
	s_wait_alu 0xfffe
	v_cndmask_b32_e64 v41, v42, v41, s5
	s_wait_loadcnt_dscnt 0x0
	s_barrier_signal -1
	s_barrier_wait -1
	global_inv scope:SCOPE_SE
	ds_load_u8 v40, v47
	ds_load_u8 v41, v41
	;; [unrolled: 1-line block ×3, first 2 shown]
	v_cndmask_b32_e64 v49, v49, v52, s5
	s_wait_loadcnt_dscnt 0x0
	s_barrier_signal -1
	s_barrier_wait -1
	global_inv scope:SCOPE_SE
	ds_store_b8 v1, v43
	ds_store_b8 v1, v45 offset:1
	ds_store_b8 v1, v49 offset:2
	v_mov_b32_e32 v45, v35
	s_wait_loadcnt_dscnt 0x0
	s_barrier_signal -1
	s_barrier_wait -1
	global_inv scope:SCOPE_SE
	s_and_saveexec_b32 s6, s1
	s_cbranch_execz .LBB85_18
; %bb.15:                               ;   in Loop: Header=BB85_2 Depth=1
	v_mov_b32_e32 v45, v35
	v_mov_b32_e32 v43, v30
	s_mov_b32 s7, 0
.LBB85_16:                              ;   Parent Loop BB85_2 Depth=1
                                        ; =>  This Inner Loop Header: Depth=2
	s_delay_alu instid0(VALU_DEP_1) | instskip(NEXT) | instid1(VALU_DEP_1)
	v_sub_nc_u32_e32 v44, v43, v45
	v_lshrrev_b32_e32 v44, 1, v44
	s_delay_alu instid0(VALU_DEP_1) | instskip(NEXT) | instid1(VALU_DEP_1)
	v_add_nc_u32_e32 v44, v44, v45
	v_add_nc_u32_e32 v46, v6, v44
	v_xad_u32 v47, v44, -1, v21
	v_add_nc_u32_e32 v48, 1, v44
	ds_load_u8 v46, v46
	ds_load_u8 v47, v47 offset:6
	s_wait_dscnt 0x0
	v_cmp_lt_u16_e64 s5, v47, v46
	s_wait_alu 0xf1ff
	s_delay_alu instid0(VALU_DEP_1) | instskip(SKIP_1) | instid1(VALU_DEP_1)
	v_cndmask_b32_e64 v43, v43, v44, s5
	v_cndmask_b32_e64 v45, v48, v45, s5
	v_cmp_ge_i32_e64 s5, v45, v43
	s_wait_alu 0xfffe
	s_or_b32 s7, s5, s7
	s_wait_alu 0xfffe
	s_and_not1_b32 exec_lo, exec_lo, s7
	s_cbranch_execnz .LBB85_16
; %bb.17:                               ;   in Loop: Header=BB85_2 Depth=1
	s_or_b32 exec_lo, exec_lo, s7
.LBB85_18:                              ;   in Loop: Header=BB85_2 Depth=1
	s_wait_alu 0xfffe
	s_or_b32 exec_lo, exec_lo, s6
	v_add_nc_u32_e32 v46, v45, v6
	v_sub_nc_u32_e32 v49, v21, v45
	v_sub_nc_u32_e32 v47, v25, v45
                                        ; implicit-def: $vgpr45
	ds_load_u8 v43, v46
	ds_load_u8 v44, v49 offset:6
	v_cmp_le_i32_e64 s5, v12, v46
	v_cmp_gt_i32_e64 s7, v13, v47
	s_wait_dscnt 0x1
	v_and_b32_e32 v48, 0xff, v43
	s_wait_dscnt 0x0
	v_and_b32_e32 v50, 0xff, v44
	s_delay_alu instid0(VALU_DEP_1)
	v_cmp_lt_u16_e64 s6, v50, v48
	s_or_b32 s5, s5, s6
	s_wait_alu 0xfffe
	s_and_b32 s5, s7, s5
	s_wait_alu 0xfffe
	s_xor_b32 s6, s5, -1
	s_wait_alu 0xfffe
	s_and_saveexec_b32 s7, s6
	s_wait_alu 0xfffe
	s_xor_b32 s6, exec_lo, s7
; %bb.19:                               ;   in Loop: Header=BB85_2 Depth=1
	ds_load_u8 v45, v46 offset:1
                                        ; implicit-def: $vgpr49
; %bb.20:                               ;   in Loop: Header=BB85_2 Depth=1
	s_wait_alu 0xfffe
	s_or_saveexec_b32 s6, s6
	v_mov_b32_e32 v48, v44
	s_wait_alu 0xfffe
	s_xor_b32 exec_lo, exec_lo, s6
	s_cbranch_execz .LBB85_22
; %bb.21:                               ;   in Loop: Header=BB85_2 Depth=1
	ds_load_u8 v48, v49 offset:7
	s_wait_dscnt 0x1
	v_mov_b32_e32 v45, v43
.LBB85_22:                              ;   in Loop: Header=BB85_2 Depth=1
	s_or_b32 exec_lo, exec_lo, s6
	v_add_nc_u32_e32 v49, 1, v46
	v_add_nc_u32_e32 v51, 1, v47
	s_wait_dscnt 0x0
	v_and_b32_e32 v52, 0xff, v45
	s_delay_alu instid0(VALU_DEP_3) | instskip(SKIP_2) | instid1(VALU_DEP_3)
	v_cndmask_b32_e64 v50, v49, v46, s5
	v_and_b32_e32 v49, 0xff, v48
	v_cndmask_b32_e64 v51, v47, v51, s5
	v_cmp_ge_i32_e64 s6, v50, v12
	s_delay_alu instid0(VALU_DEP_3) | instskip(NEXT) | instid1(VALU_DEP_3)
	v_cmp_lt_u16_e64 s7, v49, v52
	v_cmp_lt_i32_e64 s8, v51, v13
                                        ; implicit-def: $vgpr49
	s_or_b32 s6, s6, s7
	s_wait_alu 0xfffe
	s_and_b32 s6, s8, s6
	s_wait_alu 0xfffe
	s_xor_b32 s7, s6, -1
	s_wait_alu 0xfffe
	s_and_saveexec_b32 s8, s7
	s_wait_alu 0xfffe
	s_xor_b32 s7, exec_lo, s8
; %bb.23:                               ;   in Loop: Header=BB85_2 Depth=1
	ds_load_u8 v49, v50 offset:1
; %bb.24:                               ;   in Loop: Header=BB85_2 Depth=1
	s_wait_alu 0xfffe
	s_or_saveexec_b32 s7, s7
	v_mov_b32_e32 v52, v48
	s_wait_alu 0xfffe
	s_xor_b32 exec_lo, exec_lo, s7
	s_cbranch_execz .LBB85_26
; %bb.25:                               ;   in Loop: Header=BB85_2 Depth=1
	ds_load_u8 v52, v51 offset:1
	s_wait_dscnt 0x1
	v_mov_b32_e32 v49, v45
.LBB85_26:                              ;   in Loop: Header=BB85_2 Depth=1
	s_or_b32 exec_lo, exec_lo, s7
	v_add_nc_u32_e32 v53, 1, v50
	v_add_nc_u32_e32 v54, 1, v51
	s_wait_dscnt 0x0
	v_and_b32_e32 v55, 0xff, v49
	v_and_b32_e32 v56, 0xff, v52
	v_cndmask_b32_e64 v46, v46, v47, s5
	v_cndmask_b32_e64 v53, v53, v50, s6
	;; [unrolled: 1-line block ×4, first 2 shown]
	v_cmp_lt_u16_e64 s7, v56, v55
	s_wait_loadcnt 0x0
	v_cmp_ge_i32_e64 s8, v53, v12
	s_barrier_signal -1
	v_cmp_lt_i32_e64 s9, v51, v13
	s_barrier_wait -1
	global_inv scope:SCOPE_SE
	s_or_b32 s7, s8, s7
	ds_store_b8 v1, v40
	ds_store_b8 v1, v42 offset:1
	ds_store_b8 v1, v41 offset:2
	s_wait_alu 0xfffe
	s_and_b32 s7, s9, s7
	s_wait_loadcnt_dscnt 0x0
	s_wait_alu 0xfffe
	v_cndmask_b32_e64 v47, v49, v52, s7
	v_cndmask_b32_e64 v49, v53, v51, s7
	s_barrier_signal -1
	s_barrier_wait -1
	global_inv scope:SCOPE_SE
	ds_load_u8 v40, v46
	ds_load_u8 v41, v49
	;; [unrolled: 1-line block ×3, first 2 shown]
	v_cndmask_b32_e64 v43, v43, v44, s5
	v_cndmask_b32_e64 v45, v45, v48, s6
	s_wait_loadcnt_dscnt 0x0
	s_barrier_signal -1
	s_barrier_wait -1
	global_inv scope:SCOPE_SE
	ds_store_b8 v1, v43
	ds_store_b8 v1, v45 offset:1
	ds_store_b8 v1, v47 offset:2
	v_mov_b32_e32 v45, v36
	s_wait_loadcnt_dscnt 0x0
	s_barrier_signal -1
	s_barrier_wait -1
	global_inv scope:SCOPE_SE
	s_and_saveexec_b32 s6, s2
	s_cbranch_execz .LBB85_30
; %bb.27:                               ;   in Loop: Header=BB85_2 Depth=1
	v_mov_b32_e32 v45, v36
	v_mov_b32_e32 v43, v31
	s_mov_b32 s7, 0
.LBB85_28:                              ;   Parent Loop BB85_2 Depth=1
                                        ; =>  This Inner Loop Header: Depth=2
	s_delay_alu instid0(VALU_DEP_1) | instskip(NEXT) | instid1(VALU_DEP_1)
	v_sub_nc_u32_e32 v44, v43, v45
	v_lshrrev_b32_e32 v44, 1, v44
	s_delay_alu instid0(VALU_DEP_1) | instskip(NEXT) | instid1(VALU_DEP_1)
	v_add_nc_u32_e32 v44, v44, v45
	v_add_nc_u32_e32 v46, v7, v44
	v_xad_u32 v47, v44, -1, v22
	v_add_nc_u32_e32 v48, 1, v44
	ds_load_u8 v46, v46
	ds_load_u8 v47, v47 offset:12
	s_wait_dscnt 0x0
	v_cmp_lt_u16_e64 s5, v47, v46
	s_wait_alu 0xf1ff
	s_delay_alu instid0(VALU_DEP_1) | instskip(SKIP_1) | instid1(VALU_DEP_1)
	v_cndmask_b32_e64 v43, v43, v44, s5
	v_cndmask_b32_e64 v45, v48, v45, s5
	v_cmp_ge_i32_e64 s5, v45, v43
	s_wait_alu 0xfffe
	s_or_b32 s7, s5, s7
	s_wait_alu 0xfffe
	s_and_not1_b32 exec_lo, exec_lo, s7
	s_cbranch_execnz .LBB85_28
; %bb.29:                               ;   in Loop: Header=BB85_2 Depth=1
	s_or_b32 exec_lo, exec_lo, s7
.LBB85_30:                              ;   in Loop: Header=BB85_2 Depth=1
	s_wait_alu 0xfffe
	s_or_b32 exec_lo, exec_lo, s6
	v_add_nc_u32_e32 v46, v45, v7
	v_sub_nc_u32_e32 v49, v22, v45
	v_sub_nc_u32_e32 v47, v26, v45
                                        ; implicit-def: $vgpr45
	ds_load_u8 v43, v46
	ds_load_u8 v44, v49 offset:12
	v_cmp_le_i32_e64 s5, v14, v46
	v_cmp_gt_i32_e64 s7, v15, v47
	s_wait_dscnt 0x1
	v_and_b32_e32 v48, 0xff, v43
	s_wait_dscnt 0x0
	v_and_b32_e32 v50, 0xff, v44
	s_delay_alu instid0(VALU_DEP_1)
	v_cmp_lt_u16_e64 s6, v50, v48
	s_or_b32 s5, s5, s6
	s_wait_alu 0xfffe
	s_and_b32 s5, s7, s5
	s_wait_alu 0xfffe
	s_xor_b32 s6, s5, -1
	s_wait_alu 0xfffe
	s_and_saveexec_b32 s7, s6
	s_wait_alu 0xfffe
	s_xor_b32 s6, exec_lo, s7
; %bb.31:                               ;   in Loop: Header=BB85_2 Depth=1
	ds_load_u8 v45, v46 offset:1
                                        ; implicit-def: $vgpr49
; %bb.32:                               ;   in Loop: Header=BB85_2 Depth=1
	s_wait_alu 0xfffe
	s_or_saveexec_b32 s6, s6
	v_mov_b32_e32 v48, v44
	s_wait_alu 0xfffe
	s_xor_b32 exec_lo, exec_lo, s6
	s_cbranch_execz .LBB85_34
; %bb.33:                               ;   in Loop: Header=BB85_2 Depth=1
	ds_load_u8 v48, v49 offset:13
	s_wait_dscnt 0x1
	v_mov_b32_e32 v45, v43
.LBB85_34:                              ;   in Loop: Header=BB85_2 Depth=1
	s_or_b32 exec_lo, exec_lo, s6
	v_add_nc_u32_e32 v49, 1, v46
	v_add_nc_u32_e32 v51, 1, v47
	s_wait_dscnt 0x0
	v_and_b32_e32 v52, 0xff, v45
	s_delay_alu instid0(VALU_DEP_3) | instskip(SKIP_2) | instid1(VALU_DEP_3)
	v_cndmask_b32_e64 v50, v49, v46, s5
	v_and_b32_e32 v49, 0xff, v48
	v_cndmask_b32_e64 v51, v47, v51, s5
	v_cmp_ge_i32_e64 s6, v50, v14
	s_delay_alu instid0(VALU_DEP_3) | instskip(NEXT) | instid1(VALU_DEP_3)
	v_cmp_lt_u16_e64 s7, v49, v52
	v_cmp_lt_i32_e64 s8, v51, v15
                                        ; implicit-def: $vgpr49
	s_or_b32 s6, s6, s7
	s_wait_alu 0xfffe
	s_and_b32 s6, s8, s6
	s_wait_alu 0xfffe
	s_xor_b32 s7, s6, -1
	s_wait_alu 0xfffe
	s_and_saveexec_b32 s8, s7
	s_wait_alu 0xfffe
	s_xor_b32 s7, exec_lo, s8
; %bb.35:                               ;   in Loop: Header=BB85_2 Depth=1
	ds_load_u8 v49, v50 offset:1
; %bb.36:                               ;   in Loop: Header=BB85_2 Depth=1
	s_wait_alu 0xfffe
	s_or_saveexec_b32 s7, s7
	v_mov_b32_e32 v52, v48
	s_wait_alu 0xfffe
	s_xor_b32 exec_lo, exec_lo, s7
	s_cbranch_execz .LBB85_38
; %bb.37:                               ;   in Loop: Header=BB85_2 Depth=1
	ds_load_u8 v52, v51 offset:1
	s_wait_dscnt 0x1
	v_mov_b32_e32 v49, v45
.LBB85_38:                              ;   in Loop: Header=BB85_2 Depth=1
	s_or_b32 exec_lo, exec_lo, s7
	v_add_nc_u32_e32 v53, 1, v50
	v_add_nc_u32_e32 v54, 1, v51
	s_wait_dscnt 0x0
	v_and_b32_e32 v55, 0xff, v49
	v_and_b32_e32 v56, 0xff, v52
	v_cndmask_b32_e64 v46, v46, v47, s5
	v_cndmask_b32_e64 v53, v53, v50, s6
	;; [unrolled: 1-line block ×4, first 2 shown]
	v_cmp_lt_u16_e64 s7, v56, v55
	s_wait_loadcnt 0x0
	v_cmp_ge_i32_e64 s8, v53, v14
	s_barrier_signal -1
	v_cmp_lt_i32_e64 s9, v51, v15
	s_barrier_wait -1
	global_inv scope:SCOPE_SE
	s_or_b32 s7, s8, s7
	ds_store_b8 v1, v40
	ds_store_b8 v1, v42 offset:1
	ds_store_b8 v1, v41 offset:2
	s_wait_alu 0xfffe
	s_and_b32 s7, s9, s7
	s_wait_loadcnt_dscnt 0x0
	s_wait_alu 0xfffe
	v_cndmask_b32_e64 v47, v49, v52, s7
	v_cndmask_b32_e64 v49, v53, v51, s7
	s_barrier_signal -1
	s_barrier_wait -1
	global_inv scope:SCOPE_SE
	ds_load_u8 v40, v46
	ds_load_u8 v41, v49
	;; [unrolled: 1-line block ×3, first 2 shown]
	v_cndmask_b32_e64 v43, v43, v44, s5
	v_cndmask_b32_e64 v45, v45, v48, s6
	s_wait_loadcnt_dscnt 0x0
	s_barrier_signal -1
	s_barrier_wait -1
	global_inv scope:SCOPE_SE
	ds_store_b8 v1, v43
	ds_store_b8 v1, v45 offset:1
	ds_store_b8 v1, v47 offset:2
	v_mov_b32_e32 v45, v37
	s_wait_loadcnt_dscnt 0x0
	s_barrier_signal -1
	s_barrier_wait -1
	global_inv scope:SCOPE_SE
	s_and_saveexec_b32 s6, s3
	s_cbranch_execz .LBB85_42
; %bb.39:                               ;   in Loop: Header=BB85_2 Depth=1
	v_mov_b32_e32 v45, v37
	v_mov_b32_e32 v43, v32
	s_mov_b32 s7, 0
.LBB85_40:                              ;   Parent Loop BB85_2 Depth=1
                                        ; =>  This Inner Loop Header: Depth=2
	s_delay_alu instid0(VALU_DEP_1) | instskip(NEXT) | instid1(VALU_DEP_1)
	v_sub_nc_u32_e32 v44, v43, v45
	v_lshrrev_b32_e32 v44, 1, v44
	s_delay_alu instid0(VALU_DEP_1) | instskip(NEXT) | instid1(VALU_DEP_1)
	v_add_nc_u32_e32 v44, v44, v45
	v_add_nc_u32_e32 v46, v8, v44
	v_xad_u32 v47, v44, -1, v23
	v_add_nc_u32_e32 v48, 1, v44
	ds_load_u8 v46, v46
	ds_load_u8 v47, v47 offset:24
	s_wait_dscnt 0x0
	v_cmp_lt_u16_e64 s5, v47, v46
	s_wait_alu 0xf1ff
	s_delay_alu instid0(VALU_DEP_1) | instskip(SKIP_1) | instid1(VALU_DEP_1)
	v_cndmask_b32_e64 v43, v43, v44, s5
	v_cndmask_b32_e64 v45, v48, v45, s5
	v_cmp_ge_i32_e64 s5, v45, v43
	s_wait_alu 0xfffe
	s_or_b32 s7, s5, s7
	s_wait_alu 0xfffe
	s_and_not1_b32 exec_lo, exec_lo, s7
	s_cbranch_execnz .LBB85_40
; %bb.41:                               ;   in Loop: Header=BB85_2 Depth=1
	s_or_b32 exec_lo, exec_lo, s7
.LBB85_42:                              ;   in Loop: Header=BB85_2 Depth=1
	s_wait_alu 0xfffe
	s_or_b32 exec_lo, exec_lo, s6
	v_add_nc_u32_e32 v46, v45, v8
	v_sub_nc_u32_e32 v49, v23, v45
	v_sub_nc_u32_e32 v47, v27, v45
                                        ; implicit-def: $vgpr45
	ds_load_u8 v43, v46
	ds_load_u8 v44, v49 offset:24
	v_cmp_le_i32_e64 s5, v16, v46
	v_cmp_gt_i32_e64 s7, v17, v47
	s_wait_dscnt 0x1
	v_and_b32_e32 v48, 0xff, v43
	s_wait_dscnt 0x0
	v_and_b32_e32 v50, 0xff, v44
	s_delay_alu instid0(VALU_DEP_1)
	v_cmp_lt_u16_e64 s6, v50, v48
	s_or_b32 s5, s5, s6
	s_wait_alu 0xfffe
	s_and_b32 s5, s7, s5
	s_wait_alu 0xfffe
	s_xor_b32 s6, s5, -1
	s_wait_alu 0xfffe
	s_and_saveexec_b32 s7, s6
	s_wait_alu 0xfffe
	s_xor_b32 s6, exec_lo, s7
; %bb.43:                               ;   in Loop: Header=BB85_2 Depth=1
	ds_load_u8 v45, v46 offset:1
                                        ; implicit-def: $vgpr49
; %bb.44:                               ;   in Loop: Header=BB85_2 Depth=1
	s_wait_alu 0xfffe
	s_or_saveexec_b32 s6, s6
	v_mov_b32_e32 v48, v44
	s_wait_alu 0xfffe
	s_xor_b32 exec_lo, exec_lo, s6
	s_cbranch_execz .LBB85_46
; %bb.45:                               ;   in Loop: Header=BB85_2 Depth=1
	ds_load_u8 v48, v49 offset:25
	s_wait_dscnt 0x1
	v_mov_b32_e32 v45, v43
.LBB85_46:                              ;   in Loop: Header=BB85_2 Depth=1
	s_or_b32 exec_lo, exec_lo, s6
	v_add_nc_u32_e32 v49, 1, v46
	v_add_nc_u32_e32 v51, 1, v47
	s_wait_dscnt 0x0
	v_and_b32_e32 v52, 0xff, v45
	s_delay_alu instid0(VALU_DEP_3) | instskip(SKIP_2) | instid1(VALU_DEP_3)
	v_cndmask_b32_e64 v50, v49, v46, s5
	v_and_b32_e32 v49, 0xff, v48
	v_cndmask_b32_e64 v51, v47, v51, s5
	v_cmp_ge_i32_e64 s6, v50, v16
	s_delay_alu instid0(VALU_DEP_3) | instskip(NEXT) | instid1(VALU_DEP_3)
	v_cmp_lt_u16_e64 s7, v49, v52
	v_cmp_lt_i32_e64 s8, v51, v17
                                        ; implicit-def: $vgpr49
	s_or_b32 s6, s6, s7
	s_wait_alu 0xfffe
	s_and_b32 s6, s8, s6
	s_wait_alu 0xfffe
	s_xor_b32 s7, s6, -1
	s_wait_alu 0xfffe
	s_and_saveexec_b32 s8, s7
	s_wait_alu 0xfffe
	s_xor_b32 s7, exec_lo, s8
; %bb.47:                               ;   in Loop: Header=BB85_2 Depth=1
	ds_load_u8 v49, v50 offset:1
; %bb.48:                               ;   in Loop: Header=BB85_2 Depth=1
	s_wait_alu 0xfffe
	s_or_saveexec_b32 s7, s7
	v_mov_b32_e32 v52, v48
	s_wait_alu 0xfffe
	s_xor_b32 exec_lo, exec_lo, s7
	s_cbranch_execz .LBB85_50
; %bb.49:                               ;   in Loop: Header=BB85_2 Depth=1
	ds_load_u8 v52, v51 offset:1
	s_wait_dscnt 0x1
	v_mov_b32_e32 v49, v45
.LBB85_50:                              ;   in Loop: Header=BB85_2 Depth=1
	s_or_b32 exec_lo, exec_lo, s7
	v_add_nc_u32_e32 v53, 1, v50
	v_add_nc_u32_e32 v54, 1, v51
	s_wait_dscnt 0x0
	v_and_b32_e32 v55, 0xff, v49
	v_and_b32_e32 v56, 0xff, v52
	v_cndmask_b32_e64 v46, v46, v47, s5
	v_cndmask_b32_e64 v53, v53, v50, s6
	v_cndmask_b32_e64 v50, v50, v51, s6
	v_cndmask_b32_e64 v51, v51, v54, s6
	v_cmp_lt_u16_e64 s7, v56, v55
	s_wait_loadcnt 0x0
	v_cmp_ge_i32_e64 s8, v53, v16
	s_barrier_signal -1
	v_cmp_lt_i32_e64 s9, v51, v17
	s_barrier_wait -1
	global_inv scope:SCOPE_SE
	s_or_b32 s7, s8, s7
	ds_store_b8 v1, v40
	ds_store_b8 v1, v42 offset:1
	ds_store_b8 v1, v41 offset:2
	s_wait_alu 0xfffe
	s_and_b32 s7, s9, s7
	s_wait_loadcnt_dscnt 0x0
	s_wait_alu 0xfffe
	v_cndmask_b32_e64 v47, v49, v52, s7
	v_cndmask_b32_e64 v49, v53, v51, s7
	s_barrier_signal -1
	s_barrier_wait -1
	global_inv scope:SCOPE_SE
	ds_load_u8 v40, v46
	ds_load_u8 v41, v49
	;; [unrolled: 1-line block ×3, first 2 shown]
	v_cndmask_b32_e64 v43, v43, v44, s5
	v_cndmask_b32_e64 v45, v45, v48, s6
	s_wait_loadcnt_dscnt 0x0
	s_barrier_signal -1
	s_barrier_wait -1
	global_inv scope:SCOPE_SE
	ds_store_b8 v1, v43
	ds_store_b8 v1, v45 offset:1
	ds_store_b8 v1, v47 offset:2
	v_mov_b32_e32 v45, v38
	s_wait_loadcnt_dscnt 0x0
	s_barrier_signal -1
	s_barrier_wait -1
	global_inv scope:SCOPE_SE
	s_and_saveexec_b32 s6, s4
	s_cbranch_execz .LBB85_54
; %bb.51:                               ;   in Loop: Header=BB85_2 Depth=1
	v_mov_b32_e32 v45, v38
	v_mov_b32_e32 v43, v33
	s_mov_b32 s7, 0
.LBB85_52:                              ;   Parent Loop BB85_2 Depth=1
                                        ; =>  This Inner Loop Header: Depth=2
	s_delay_alu instid0(VALU_DEP_1) | instskip(NEXT) | instid1(VALU_DEP_1)
	v_sub_nc_u32_e32 v44, v43, v45
	v_lshrrev_b32_e32 v44, 1, v44
	s_delay_alu instid0(VALU_DEP_1) | instskip(NEXT) | instid1(VALU_DEP_1)
	v_add_nc_u32_e32 v44, v44, v45
	v_add_nc_u32_e32 v46, v9, v44
	v_xad_u32 v47, v44, -1, v39
	v_add_nc_u32_e32 v48, 1, v44
	ds_load_u8 v46, v46
	ds_load_u8 v47, v47 offset:48
	s_wait_dscnt 0x0
	v_cmp_lt_u16_e64 s5, v47, v46
	s_wait_alu 0xf1ff
	s_delay_alu instid0(VALU_DEP_1) | instskip(SKIP_1) | instid1(VALU_DEP_1)
	v_cndmask_b32_e64 v43, v43, v44, s5
	v_cndmask_b32_e64 v45, v48, v45, s5
	v_cmp_ge_i32_e64 s5, v45, v43
	s_wait_alu 0xfffe
	s_or_b32 s7, s5, s7
	s_wait_alu 0xfffe
	s_and_not1_b32 exec_lo, exec_lo, s7
	s_cbranch_execnz .LBB85_52
; %bb.53:                               ;   in Loop: Header=BB85_2 Depth=1
	s_or_b32 exec_lo, exec_lo, s7
.LBB85_54:                              ;   in Loop: Header=BB85_2 Depth=1
	s_wait_alu 0xfffe
	s_or_b32 exec_lo, exec_lo, s6
	v_add_nc_u32_e32 v46, v45, v9
	v_sub_nc_u32_e32 v49, v39, v45
	v_sub_nc_u32_e32 v47, v28, v45
                                        ; implicit-def: $vgpr45
	ds_load_u8 v43, v46
	ds_load_u8 v44, v49 offset:48
	v_cmp_le_i32_e64 s5, v18, v46
	v_cmp_gt_i32_e64 s7, v19, v47
	s_wait_dscnt 0x1
	v_and_b32_e32 v48, 0xff, v43
	s_wait_dscnt 0x0
	v_and_b32_e32 v50, 0xff, v44
	s_delay_alu instid0(VALU_DEP_1)
	v_cmp_lt_u16_e64 s6, v50, v48
	s_or_b32 s5, s5, s6
	s_wait_alu 0xfffe
	s_and_b32 s5, s7, s5
	s_wait_alu 0xfffe
	s_xor_b32 s6, s5, -1
	s_wait_alu 0xfffe
	s_and_saveexec_b32 s7, s6
	s_wait_alu 0xfffe
	s_xor_b32 s6, exec_lo, s7
; %bb.55:                               ;   in Loop: Header=BB85_2 Depth=1
	ds_load_u8 v45, v46 offset:1
                                        ; implicit-def: $vgpr49
; %bb.56:                               ;   in Loop: Header=BB85_2 Depth=1
	s_wait_alu 0xfffe
	s_or_saveexec_b32 s6, s6
	v_mov_b32_e32 v48, v44
	s_wait_alu 0xfffe
	s_xor_b32 exec_lo, exec_lo, s6
	s_cbranch_execz .LBB85_58
; %bb.57:                               ;   in Loop: Header=BB85_2 Depth=1
	ds_load_u8 v48, v49 offset:49
	s_wait_dscnt 0x1
	v_mov_b32_e32 v45, v43
.LBB85_58:                              ;   in Loop: Header=BB85_2 Depth=1
	s_or_b32 exec_lo, exec_lo, s6
	v_add_nc_u32_e32 v49, 1, v46
	v_add_nc_u32_e32 v51, 1, v47
	s_wait_dscnt 0x0
	v_and_b32_e32 v52, 0xff, v45
	s_delay_alu instid0(VALU_DEP_3) | instskip(SKIP_2) | instid1(VALU_DEP_3)
	v_cndmask_b32_e64 v50, v49, v46, s5
	v_and_b32_e32 v49, 0xff, v48
	v_cndmask_b32_e64 v51, v47, v51, s5
	v_cmp_ge_i32_e64 s6, v50, v18
	s_delay_alu instid0(VALU_DEP_3) | instskip(NEXT) | instid1(VALU_DEP_3)
	v_cmp_lt_u16_e64 s7, v49, v52
	v_cmp_lt_i32_e64 s8, v51, v19
                                        ; implicit-def: $vgpr49
	s_or_b32 s6, s6, s7
	s_wait_alu 0xfffe
	s_and_b32 s6, s8, s6
	s_wait_alu 0xfffe
	s_xor_b32 s7, s6, -1
	s_wait_alu 0xfffe
	s_and_saveexec_b32 s8, s7
	s_wait_alu 0xfffe
	s_xor_b32 s7, exec_lo, s8
; %bb.59:                               ;   in Loop: Header=BB85_2 Depth=1
	ds_load_u8 v49, v50 offset:1
; %bb.60:                               ;   in Loop: Header=BB85_2 Depth=1
	s_wait_alu 0xfffe
	s_or_saveexec_b32 s7, s7
	v_mov_b32_e32 v52, v48
	s_wait_alu 0xfffe
	s_xor_b32 exec_lo, exec_lo, s7
	s_cbranch_execz .LBB85_62
; %bb.61:                               ;   in Loop: Header=BB85_2 Depth=1
	ds_load_u8 v52, v51 offset:1
	s_wait_dscnt 0x1
	v_mov_b32_e32 v49, v45
.LBB85_62:                              ;   in Loop: Header=BB85_2 Depth=1
	s_or_b32 exec_lo, exec_lo, s7
	v_add_nc_u32_e32 v53, 1, v50
	v_add_nc_u32_e32 v54, 1, v51
	s_wait_dscnt 0x0
	v_and_b32_e32 v55, 0xff, v49
	v_and_b32_e32 v56, 0xff, v52
	v_cndmask_b32_e64 v46, v46, v47, s5
	v_cndmask_b32_e64 v53, v53, v50, s6
	;; [unrolled: 1-line block ×4, first 2 shown]
	v_cmp_lt_u16_e64 s7, v56, v55
	s_wait_loadcnt 0x0
	v_cmp_ge_i32_e64 s8, v53, v18
	s_barrier_signal -1
	v_cmp_lt_i32_e64 s9, v51, v19
	s_barrier_wait -1
	global_inv scope:SCOPE_SE
	s_or_b32 s7, s8, s7
	ds_store_b8 v1, v40
	ds_store_b8 v1, v42 offset:1
	ds_store_b8 v1, v41 offset:2
	s_wait_alu 0xfffe
	s_and_b32 s7, s9, s7
	s_wait_loadcnt_dscnt 0x0
	s_wait_alu 0xfffe
	v_cndmask_b32_e64 v47, v49, v52, s7
	v_cndmask_b32_e64 v49, v53, v51, s7
	s_barrier_signal -1
	s_barrier_wait -1
	global_inv scope:SCOPE_SE
	ds_load_u8 v40, v46
	ds_load_u8 v41, v49
	;; [unrolled: 1-line block ×3, first 2 shown]
	v_cndmask_b32_e64 v43, v43, v44, s5
	v_cndmask_b32_e64 v45, v45, v48, s6
	s_wait_loadcnt_dscnt 0x0
	s_barrier_signal -1
	s_barrier_wait -1
	global_inv scope:SCOPE_SE
	ds_store_b8 v1, v43
	ds_store_b8 v1, v45 offset:1
	ds_store_b8 v1, v47 offset:2
	v_mov_b32_e32 v43, v3
	s_wait_loadcnt_dscnt 0x0
	s_barrier_signal -1
	s_barrier_wait -1
	global_inv scope:SCOPE_SE
	s_and_saveexec_b32 s6, vcc_lo
	s_cbranch_execz .LBB85_66
; %bb.63:                               ;   in Loop: Header=BB85_2 Depth=1
	v_dual_mov_b32 v43, v3 :: v_dual_mov_b32 v44, v4
	s_mov_b32 s7, 0
.LBB85_64:                              ;   Parent Loop BB85_2 Depth=1
                                        ; =>  This Inner Loop Header: Depth=2
	s_delay_alu instid0(VALU_DEP_1) | instskip(NEXT) | instid1(VALU_DEP_1)
	v_sub_nc_u32_e32 v45, v44, v43
	v_lshrrev_b32_e32 v45, 1, v45
	s_delay_alu instid0(VALU_DEP_1) | instskip(NEXT) | instid1(VALU_DEP_1)
	v_add_nc_u32_e32 v45, v45, v43
	v_xad_u32 v46, v45, -1, v1
	v_add_nc_u32_e32 v48, 1, v45
	ds_load_u8 v47, v45
	ds_load_u8 v46, v46 offset:96
	s_wait_dscnt 0x0
	v_cmp_lt_u16_e64 s5, v46, v47
	s_wait_alu 0xf1ff
	s_delay_alu instid0(VALU_DEP_1) | instskip(SKIP_1) | instid1(VALU_DEP_1)
	v_cndmask_b32_e64 v44, v44, v45, s5
	v_cndmask_b32_e64 v43, v48, v43, s5
	v_cmp_ge_i32_e64 s5, v43, v44
	s_wait_alu 0xfffe
	s_or_b32 s7, s5, s7
	s_wait_alu 0xfffe
	s_and_not1_b32 exec_lo, exec_lo, s7
	s_cbranch_execnz .LBB85_64
; %bb.65:                               ;   in Loop: Header=BB85_2 Depth=1
	s_or_b32 exec_lo, exec_lo, s7
.LBB85_66:                              ;   in Loop: Header=BB85_2 Depth=1
	s_wait_alu 0xfffe
	s_or_b32 exec_lo, exec_lo, s6
	v_sub_nc_u32_e32 v49, v1, v43
	v_sub_nc_u32_e32 v44, v2, v43
	v_cmp_le_i32_e64 s5, 0x60, v43
	ds_load_u8 v45, v43
	ds_load_u8 v46, v49 offset:96
	v_cmp_gt_i32_e64 s7, 0xc0, v44
	s_wait_dscnt 0x1
	v_and_b32_e32 v47, 0xff, v45
	s_wait_dscnt 0x0
	v_and_b32_e32 v48, 0xff, v46
	s_delay_alu instid0(VALU_DEP_1)
	v_cmp_lt_u16_e64 s6, v48, v47
                                        ; implicit-def: $vgpr47
	s_or_b32 s5, s5, s6
	s_wait_alu 0xfffe
	s_and_b32 s5, s7, s5
	s_wait_alu 0xfffe
	s_xor_b32 s6, s5, -1
	s_wait_alu 0xfffe
	s_and_saveexec_b32 s7, s6
	s_wait_alu 0xfffe
	s_xor_b32 s6, exec_lo, s7
; %bb.67:                               ;   in Loop: Header=BB85_2 Depth=1
	ds_load_u8 v47, v43 offset:1
                                        ; implicit-def: $vgpr49
; %bb.68:                               ;   in Loop: Header=BB85_2 Depth=1
	s_wait_alu 0xfffe
	s_or_saveexec_b32 s6, s6
	v_mov_b32_e32 v48, v46
	s_wait_alu 0xfffe
	s_xor_b32 exec_lo, exec_lo, s6
	s_cbranch_execz .LBB85_70
; %bb.69:                               ;   in Loop: Header=BB85_2 Depth=1
	ds_load_u8 v48, v49 offset:97
	s_wait_dscnt 0x1
	v_mov_b32_e32 v47, v45
.LBB85_70:                              ;   in Loop: Header=BB85_2 Depth=1
	s_or_b32 exec_lo, exec_lo, s6
	v_add_nc_u32_e32 v49, 1, v43
	v_add_nc_u32_e32 v50, 1, v44
	s_wait_dscnt 0x0
	v_and_b32_e32 v51, 0xff, v47
	v_and_b32_e32 v52, 0xff, v48
	v_cndmask_b32_e64 v54, v49, v43, s5
	v_cndmask_b32_e64 v49, v44, v50, s5
                                        ; implicit-def: $vgpr50
	s_delay_alu instid0(VALU_DEP_3) | instskip(NEXT) | instid1(VALU_DEP_3)
	v_cmp_lt_u16_e64 s7, v52, v51
                                        ; implicit-def: $vgpr52
	v_cmp_le_i32_e64 s6, 0x60, v54
	s_delay_alu instid0(VALU_DEP_3)
	v_cmp_gt_i32_e64 s8, 0xc0, v49
	s_or_b32 s6, s6, s7
	s_wait_alu 0xfffe
	s_and_b32 s6, s8, s6
	s_wait_alu 0xfffe
	s_xor_b32 s7, s6, -1
	s_wait_alu 0xfffe
	s_and_saveexec_b32 s8, s7
	s_wait_alu 0xfffe
	s_xor_b32 s7, exec_lo, s8
; %bb.71:                               ;   in Loop: Header=BB85_2 Depth=1
	ds_load_u8 v52, v54 offset:1
	v_add_nc_u32_e32 v50, 1, v54
; %bb.72:                               ;   in Loop: Header=BB85_2 Depth=1
	s_wait_alu 0xfffe
	s_or_saveexec_b32 s7, s7
	v_mov_b32_e32 v51, v54
	v_mov_b32_e32 v53, v48
	s_wait_alu 0xfffe
	s_xor_b32 exec_lo, exec_lo, s7
	s_cbranch_execz .LBB85_1
; %bb.73:                               ;   in Loop: Header=BB85_2 Depth=1
	ds_load_u8 v53, v49 offset:1
	s_wait_dscnt 0x1
	v_dual_mov_b32 v51, v49 :: v_dual_add_nc_u32 v52, 1, v49
	s_delay_alu instid0(VALU_DEP_1)
	v_dual_mov_b32 v50, v54 :: v_dual_mov_b32 v49, v52
	v_mov_b32_e32 v52, v47
	s_branch .LBB85_1
.LBB85_74:
	s_add_nc_u64 s[0:1], s[14:15], s[16:17]
	s_wait_dscnt 0x2
	v_add_nc_u16 v2, v46, v42
	s_wait_alu 0xfffe
	v_add_co_u32 v0, s0, s0, v0
	s_wait_alu 0xf1ff
	v_add_co_ci_u32_e64 v1, null, s1, 0, s0
	s_wait_dscnt 0x1
	v_add_nc_u16 v3, v45, v41
	s_wait_dscnt 0x0
	v_add_nc_u16 v4, v43, v40
	s_clause 0x2
	global_store_b8 v[0:1], v2, off
	global_store_b8 v[0:1], v3, off offset:64
	global_store_b8 v[0:1], v4, off offset:128
	s_endpgm
	.section	.rodata,"a",@progbits
	.p2align	6, 0x0
	.amdhsa_kernel _Z17sort_pairs_kernelIhLj64ELj3EN10test_utils4lessELj10EEvPKT_PS2_T2_
		.amdhsa_group_segment_fixed_size 193
		.amdhsa_private_segment_fixed_size 0
		.amdhsa_kernarg_size 20
		.amdhsa_user_sgpr_count 2
		.amdhsa_user_sgpr_dispatch_ptr 0
		.amdhsa_user_sgpr_queue_ptr 0
		.amdhsa_user_sgpr_kernarg_segment_ptr 1
		.amdhsa_user_sgpr_dispatch_id 0
		.amdhsa_user_sgpr_private_segment_size 0
		.amdhsa_wavefront_size32 1
		.amdhsa_uses_dynamic_stack 0
		.amdhsa_enable_private_segment 0
		.amdhsa_system_sgpr_workgroup_id_x 1
		.amdhsa_system_sgpr_workgroup_id_y 0
		.amdhsa_system_sgpr_workgroup_id_z 0
		.amdhsa_system_sgpr_workgroup_info 0
		.amdhsa_system_vgpr_workitem_id 0
		.amdhsa_next_free_vgpr 57
		.amdhsa_next_free_sgpr 18
		.amdhsa_reserve_vcc 1
		.amdhsa_float_round_mode_32 0
		.amdhsa_float_round_mode_16_64 0
		.amdhsa_float_denorm_mode_32 3
		.amdhsa_float_denorm_mode_16_64 3
		.amdhsa_fp16_overflow 0
		.amdhsa_workgroup_processor_mode 1
		.amdhsa_memory_ordered 1
		.amdhsa_forward_progress 1
		.amdhsa_inst_pref_size 47
		.amdhsa_round_robin_scheduling 0
		.amdhsa_exception_fp_ieee_invalid_op 0
		.amdhsa_exception_fp_denorm_src 0
		.amdhsa_exception_fp_ieee_div_zero 0
		.amdhsa_exception_fp_ieee_overflow 0
		.amdhsa_exception_fp_ieee_underflow 0
		.amdhsa_exception_fp_ieee_inexact 0
		.amdhsa_exception_int_div_zero 0
	.end_amdhsa_kernel
	.section	.text._Z17sort_pairs_kernelIhLj64ELj3EN10test_utils4lessELj10EEvPKT_PS2_T2_,"axG",@progbits,_Z17sort_pairs_kernelIhLj64ELj3EN10test_utils4lessELj10EEvPKT_PS2_T2_,comdat
.Lfunc_end85:
	.size	_Z17sort_pairs_kernelIhLj64ELj3EN10test_utils4lessELj10EEvPKT_PS2_T2_, .Lfunc_end85-_Z17sort_pairs_kernelIhLj64ELj3EN10test_utils4lessELj10EEvPKT_PS2_T2_
                                        ; -- End function
	.set _Z17sort_pairs_kernelIhLj64ELj3EN10test_utils4lessELj10EEvPKT_PS2_T2_.num_vgpr, 57
	.set _Z17sort_pairs_kernelIhLj64ELj3EN10test_utils4lessELj10EEvPKT_PS2_T2_.num_agpr, 0
	.set _Z17sort_pairs_kernelIhLj64ELj3EN10test_utils4lessELj10EEvPKT_PS2_T2_.numbered_sgpr, 18
	.set _Z17sort_pairs_kernelIhLj64ELj3EN10test_utils4lessELj10EEvPKT_PS2_T2_.num_named_barrier, 0
	.set _Z17sort_pairs_kernelIhLj64ELj3EN10test_utils4lessELj10EEvPKT_PS2_T2_.private_seg_size, 0
	.set _Z17sort_pairs_kernelIhLj64ELj3EN10test_utils4lessELj10EEvPKT_PS2_T2_.uses_vcc, 1
	.set _Z17sort_pairs_kernelIhLj64ELj3EN10test_utils4lessELj10EEvPKT_PS2_T2_.uses_flat_scratch, 0
	.set _Z17sort_pairs_kernelIhLj64ELj3EN10test_utils4lessELj10EEvPKT_PS2_T2_.has_dyn_sized_stack, 0
	.set _Z17sort_pairs_kernelIhLj64ELj3EN10test_utils4lessELj10EEvPKT_PS2_T2_.has_recursion, 0
	.set _Z17sort_pairs_kernelIhLj64ELj3EN10test_utils4lessELj10EEvPKT_PS2_T2_.has_indirect_call, 0
	.section	.AMDGPU.csdata,"",@progbits
; Kernel info:
; codeLenInByte = 5984
; TotalNumSgprs: 20
; NumVgprs: 57
; ScratchSize: 0
; MemoryBound: 0
; FloatMode: 240
; IeeeMode: 1
; LDSByteSize: 193 bytes/workgroup (compile time only)
; SGPRBlocks: 0
; VGPRBlocks: 7
; NumSGPRsForWavesPerEU: 20
; NumVGPRsForWavesPerEU: 57
; Occupancy: 16
; WaveLimiterHint : 0
; COMPUTE_PGM_RSRC2:SCRATCH_EN: 0
; COMPUTE_PGM_RSRC2:USER_SGPR: 2
; COMPUTE_PGM_RSRC2:TRAP_HANDLER: 0
; COMPUTE_PGM_RSRC2:TGID_X_EN: 1
; COMPUTE_PGM_RSRC2:TGID_Y_EN: 0
; COMPUTE_PGM_RSRC2:TGID_Z_EN: 0
; COMPUTE_PGM_RSRC2:TIDIG_COMP_CNT: 0
	.section	.text._Z16sort_keys_kernelIhLj64ELj4EN10test_utils4lessELj10EEvPKT_PS2_T2_,"axG",@progbits,_Z16sort_keys_kernelIhLj64ELj4EN10test_utils4lessELj10EEvPKT_PS2_T2_,comdat
	.protected	_Z16sort_keys_kernelIhLj64ELj4EN10test_utils4lessELj10EEvPKT_PS2_T2_ ; -- Begin function _Z16sort_keys_kernelIhLj64ELj4EN10test_utils4lessELj10EEvPKT_PS2_T2_
	.globl	_Z16sort_keys_kernelIhLj64ELj4EN10test_utils4lessELj10EEvPKT_PS2_T2_
	.p2align	8
	.type	_Z16sort_keys_kernelIhLj64ELj4EN10test_utils4lessELj10EEvPKT_PS2_T2_,@function
_Z16sort_keys_kernelIhLj64ELj4EN10test_utils4lessELj10EEvPKT_PS2_T2_: ; @_Z16sort_keys_kernelIhLj64ELj4EN10test_utils4lessELj10EEvPKT_PS2_T2_
; %bb.0:
	s_load_b128 s[12:15], s[0:1], 0x0
	s_lshl_b32 s16, ttmp9, 8
	s_mov_b32 s17, 0
	v_lshlrev_b32_e32 v1, 2, v0
	s_mov_b32 s11, s17
	s_delay_alu instid0(VALU_DEP_1)
	v_and_b32_e32 v2, 0xf8, v1
	v_and_b32_e32 v3, 0xf0, v1
	;; [unrolled: 1-line block ×5, first 2 shown]
	v_or_b32_e32 v9, 4, v2
	v_add_nc_u32_e32 v10, 8, v2
	v_or_b32_e32 v11, 8, v3
	v_add_nc_u32_e32 v12, 16, v3
	v_and_b32_e32 v5, 0xc0, v1
	v_or_b32_e32 v13, 16, v4
	v_sub_nc_u32_e32 v38, v10, v9
	s_wait_kmcnt 0x0
	s_add_nc_u64 s[0:1], s[12:13], s[16:17]
	v_add_nc_u32_e32 v14, 32, v4
	s_clause 0x3
	global_load_u8 v34, v0, s[0:1] offset:64
	global_load_u8 v35, v0, s[0:1] offset:128
	global_load_u8 v36, v0, s[0:1]
	global_load_u8 v37, v0, s[0:1] offset:192
	v_sub_nc_u32_e32 v24, v9, v2
	v_sub_nc_u32_e32 v39, v12, v11
	;; [unrolled: 1-line block ×3, first 2 shown]
	v_cmp_ge_i32_e64 s0, v29, v38
	v_and_b32_e32 v31, 28, v1
	v_and_b32_e32 v6, 0x80, v1
	v_or_b32_e32 v15, 32, v5
	v_add_nc_u32_e32 v16, 64, v5
	v_add_nc_u32_e32 v19, v9, v29
	v_sub_nc_u32_e32 v25, v11, v3
	v_sub_nc_u32_e32 v40, v14, v13
	v_min_i32_e32 v24, v29, v24
	v_sub_nc_u32_e32 v44, v30, v39
	v_cndmask_b32_e64 v29, 0, v43, s0
	v_cmp_ge_i32_e64 s0, v30, v39
	v_and_b32_e32 v32, 60, v1
	v_or_b32_e32 v17, 64, v6
	v_add_nc_u32_e32 v18, 0x80, v6
	v_add_nc_u32_e32 v20, v11, v30
	v_sub_nc_u32_e32 v26, v13, v4
	v_sub_nc_u32_e32 v41, v16, v15
	v_min_i32_e32 v25, v30, v25
	v_sub_nc_u32_e32 v45, v31, v40
	s_wait_alu 0xf1ff
	v_cndmask_b32_e64 v30, 0, v44, s0
	v_cmp_ge_i32_e64 s0, v31, v40
	v_and_b32_e32 v33, 0x7c, v1
	v_add_nc_u32_e32 v21, v13, v31
	v_sub_nc_u32_e32 v27, v15, v5
	v_sub_nc_u32_e32 v42, v18, v17
	v_min_i32_e32 v26, v31, v26
	v_sub_nc_u32_e32 v46, v32, v41
	s_wait_alu 0xf1ff
	v_cndmask_b32_e64 v31, 0, v45, s0
	v_cmp_ge_i32_e64 s0, v32, v41
	v_add_nc_u32_e32 v22, v15, v32
	v_sub_nc_u32_e32 v28, v17, v6
	v_min_i32_e32 v27, v32, v27
	v_sub_nc_u32_e32 v47, v33, v42
	s_wait_alu 0xf1ff
	v_cndmask_b32_e64 v32, 0, v46, s0
	v_cmp_ge_i32_e64 s0, v33, v42
	v_add_nc_u32_e32 v23, v17, v33
	v_min_i32_e32 v28, v33, v28
	v_subrev_nc_u32_e64 v7, 0x80, v1 clamp
	v_min_i32_e32 v8, 0x80, v1
	s_wait_alu 0xf1ff
	v_cndmask_b32_e64 v33, 0, v47, s0
	v_cmp_lt_i32_e64 s0, v29, v24
	v_cmp_lt_i32_e64 s1, v30, v25
	;; [unrolled: 1-line block ×5, first 2 shown]
	v_cmp_lt_i32_e32 vcc_lo, v7, v8
	s_wait_loadcnt 0x1
	v_perm_b32 v34, v36, v34, 0xc0c0004
	s_wait_loadcnt 0x0
	v_perm_b32 v35, v35, v37, 0xc0c0004
	s_delay_alu instid0(VALU_DEP_1)
	v_lshl_or_b32 v39, v35, 16, v34
	v_add_nc_u32_e32 v34, 0x80, v1
	s_branch .LBB86_2
.LBB86_1:                               ;   in Loop: Header=BB86_2 Depth=1
	s_or_b32 exec_lo, exec_lo, s8
	s_wait_dscnt 0x0
	v_and_b32_e32 v44, 0xff, v42
	v_and_b32_e32 v46, 0xff, v45
	v_cmp_le_i32_e64 s8, 0x80, v43
	v_cmp_gt_i32_e64 s10, 0x100, v41
	v_cndmask_b32_e64 v35, v35, v36, s5
	v_cndmask_b32_e64 v36, v37, v38, s6
	v_cmp_lt_u16_e64 s9, v46, v44
	v_cndmask_b32_e64 v37, v39, v40, s7
	s_add_co_i32 s11, s11, 1
	v_and_b32_e32 v40, 0xff, v35
	v_lshlrev_b16 v39, 8, v36
	s_or_b32 s5, s8, s9
	v_and_b32_e32 v41, 0xff, v37
	s_wait_alu 0xfffe
	s_and_b32 s5, s10, s5
	s_cmp_eq_u32 s11, 10
	s_wait_alu 0xfffe
	v_cndmask_b32_e64 v38, v42, v45, s5
	v_or_b32_e32 v39, v40, v39
	s_delay_alu instid0(VALU_DEP_2) | instskip(NEXT) | instid1(VALU_DEP_2)
	v_lshlrev_b16 v42, 8, v38
	v_and_b32_e32 v39, 0xffff, v39
	s_delay_alu instid0(VALU_DEP_2) | instskip(NEXT) | instid1(VALU_DEP_1)
	v_or_b32_e32 v40, v41, v42
	v_lshlrev_b32_e32 v40, 16, v40
	s_delay_alu instid0(VALU_DEP_1)
	v_or_b32_e32 v39, v39, v40
	s_cbranch_scc1 .LBB86_98
.LBB86_2:                               ; =>This Loop Header: Depth=1
                                        ;     Child Loop BB86_4 Depth 2
                                        ;     Child Loop BB86_20 Depth 2
                                        ;     Child Loop BB86_36 Depth 2
                                        ;     Child Loop BB86_52 Depth 2
                                        ;     Child Loop BB86_68 Depth 2
                                        ;     Child Loop BB86_84 Depth 2
	s_delay_alu instid0(VALU_DEP_1) | instskip(SKIP_3) | instid1(VALU_DEP_3)
	v_lshrrev_b32_e32 v35, 8, v39
	v_and_b32_e32 v36, 0xff, v39
	v_perm_b32 v37, v39, v39, 0x7060405
	s_barrier_signal -1
	v_and_b32_e32 v35, 0xff, v35
	s_barrier_wait -1
	global_inv scope:SCOPE_SE
	v_cmp_lt_u16_e64 s5, v35, v36
	v_max_u16 v42, v35, v36
	v_min_u16 v35, v35, v36
	s_wait_alu 0xf1ff
	s_delay_alu instid0(VALU_DEP_3) | instskip(NEXT) | instid1(VALU_DEP_1)
	v_cndmask_b32_e64 v37, v39, v37, s5
	v_lshrrev_b32_e32 v38, 16, v37
	v_lshrrev_b32_e32 v40, 24, v37
	s_delay_alu instid0(VALU_DEP_2) | instskip(SKIP_1) | instid1(VALU_DEP_2)
	v_perm_b32 v39, 0, v38, 0xc0c0001
	v_and_b32_e32 v38, 0xff, v38
	v_lshlrev_b32_e32 v39, 16, v39
	s_delay_alu instid0(VALU_DEP_2) | instskip(NEXT) | instid1(VALU_DEP_2)
	v_cmp_lt_u16_e64 s5, v40, v38
	v_and_or_b32 v39, 0xffff, v37, v39
	s_wait_alu 0xf1ff
	s_delay_alu instid0(VALU_DEP_1) | instskip(SKIP_2) | instid1(VALU_DEP_3)
	v_cndmask_b32_e64 v37, v37, v39, s5
	v_min_u16 v39, v40, v38
	v_max_u16 v38, v40, v38
	v_lshrrev_b32_e32 v41, 16, v37
	s_delay_alu instid0(VALU_DEP_3)
	v_lshlrev_b16 v43, 8, v39
	v_and_b32_e32 v44, 0xff, v37
	v_max_u16 v45, v39, v42
	v_cmp_lt_u16_e64 s5, v39, v42
	v_and_b32_e32 v41, 0xffffff00, v41
	v_cmp_gt_u16_e64 s6, v42, v38
	v_or_b32_e32 v36, v44, v43
	v_lshlrev_b16 v43, 8, v35
	v_min_u16 v44, v39, v42
	v_or_b32_e32 v41, v42, v41
	v_lshlrev_b16 v40, 8, v45
	v_and_b32_e32 v36, 0xffff, v36
	s_delay_alu instid0(VALU_DEP_4) | instskip(NEXT) | instid1(VALU_DEP_4)
	v_or_b32_e32 v43, v44, v43
	v_lshlrev_b32_e32 v41, 16, v41
	s_delay_alu instid0(VALU_DEP_1) | instskip(NEXT) | instid1(VALU_DEP_3)
	v_or_b32_e32 v36, v36, v41
	v_and_b32_e32 v41, 0xffff, v43
	s_wait_alu 0xf1ff
	s_delay_alu instid0(VALU_DEP_2) | instskip(SKIP_2) | instid1(VALU_DEP_3)
	v_cndmask_b32_e64 v36, v37, v36, s5
	v_or_b32_e32 v37, v38, v40
	v_cmp_lt_u16_e64 s5, v39, v35
	v_and_or_b32 v40, 0xffff0000, v36, v41
	s_delay_alu instid0(VALU_DEP_3) | instskip(SKIP_1) | instid1(VALU_DEP_3)
	v_lshlrev_b32_e32 v37, 16, v37
	s_wait_alu 0xf1ff
	v_cndmask_b32_e64 v35, v44, v35, s5
	s_delay_alu instid0(VALU_DEP_3) | instskip(NEXT) | instid1(VALU_DEP_1)
	v_cndmask_b32_e64 v36, v36, v40, s5
	v_and_or_b32 v37, 0xffff, v36, v37
	s_delay_alu instid0(VALU_DEP_1) | instskip(SKIP_1) | instid1(VALU_DEP_2)
	v_cndmask_b32_e64 v36, v36, v37, s6
	v_cndmask_b32_e64 v37, v45, v38, s6
	v_lshrrev_b32_e32 v38, 16, v36
	v_and_b32_e32 v39, 0xff, v36
	s_delay_alu instid0(VALU_DEP_3) | instskip(SKIP_1) | instid1(VALU_DEP_4)
	v_lshlrev_b16 v40, 8, v37
	v_cmp_lt_u16_e64 s5, v37, v35
	v_and_b32_e32 v38, 0xffffff00, v38
	s_delay_alu instid0(VALU_DEP_3) | instskip(NEXT) | instid1(VALU_DEP_2)
	v_or_b32_e32 v39, v39, v40
	v_or_b32_e32 v38, v35, v38
	v_mov_b32_e32 v35, v29
	s_delay_alu instid0(VALU_DEP_3) | instskip(NEXT) | instid1(VALU_DEP_3)
	v_and_b32_e32 v39, 0xffff, v39
	v_lshlrev_b32_e32 v38, 16, v38
	s_delay_alu instid0(VALU_DEP_1) | instskip(SKIP_1) | instid1(VALU_DEP_1)
	v_or_b32_e32 v38, v39, v38
	s_wait_alu 0xf1ff
	v_cndmask_b32_e64 v36, v36, v38, s5
	ds_store_b32 v1, v36
	s_wait_loadcnt_dscnt 0x0
	s_barrier_signal -1
	s_barrier_wait -1
	global_inv scope:SCOPE_SE
	s_and_saveexec_b32 s6, s0
	s_cbranch_execz .LBB86_6
; %bb.3:                                ;   in Loop: Header=BB86_2 Depth=1
	v_dual_mov_b32 v35, v29 :: v_dual_mov_b32 v36, v24
	s_mov_b32 s7, 0
.LBB86_4:                               ;   Parent Loop BB86_2 Depth=1
                                        ; =>  This Inner Loop Header: Depth=2
	s_delay_alu instid0(VALU_DEP_1) | instskip(NEXT) | instid1(VALU_DEP_1)
	v_sub_nc_u32_e32 v37, v36, v35
	v_lshrrev_b32_e32 v37, 1, v37
	s_delay_alu instid0(VALU_DEP_1) | instskip(NEXT) | instid1(VALU_DEP_1)
	v_add_nc_u32_e32 v37, v37, v35
	v_add_nc_u32_e32 v38, v2, v37
	v_xad_u32 v39, v37, -1, v19
	v_add_nc_u32_e32 v40, 1, v37
	ds_load_u8 v38, v38
	ds_load_u8 v39, v39
	s_wait_dscnt 0x0
	v_cmp_lt_u16_e64 s5, v39, v38
	s_wait_alu 0xf1ff
	s_delay_alu instid0(VALU_DEP_1) | instskip(SKIP_1) | instid1(VALU_DEP_1)
	v_cndmask_b32_e64 v36, v36, v37, s5
	v_cndmask_b32_e64 v35, v40, v35, s5
	v_cmp_ge_i32_e64 s5, v35, v36
	s_wait_alu 0xfffe
	s_or_b32 s7, s5, s7
	s_wait_alu 0xfffe
	s_and_not1_b32 exec_lo, exec_lo, s7
	s_cbranch_execnz .LBB86_4
; %bb.5:                                ;   in Loop: Header=BB86_2 Depth=1
	s_or_b32 exec_lo, exec_lo, s7
.LBB86_6:                               ;   in Loop: Header=BB86_2 Depth=1
	s_wait_alu 0xfffe
	s_or_b32 exec_lo, exec_lo, s6
	v_add_nc_u32_e32 v40, v35, v2
	v_sub_nc_u32_e32 v39, v19, v35
	ds_load_u8 v35, v40
	ds_load_u8 v36, v39
	v_cmp_le_i32_e64 s5, v9, v40
	v_cmp_gt_i32_e64 s7, v10, v39
	s_wait_dscnt 0x1
	v_and_b32_e32 v37, 0xff, v35
	s_wait_dscnt 0x0
	v_and_b32_e32 v38, 0xff, v36
	s_delay_alu instid0(VALU_DEP_1)
	v_cmp_lt_u16_e64 s6, v38, v37
                                        ; implicit-def: $vgpr37
	s_or_b32 s5, s5, s6
	s_wait_alu 0xfffe
	s_and_b32 s5, s7, s5
	s_wait_alu 0xfffe
	s_xor_b32 s6, s5, -1
	s_wait_alu 0xfffe
	s_and_saveexec_b32 s7, s6
	s_wait_alu 0xfffe
	s_xor_b32 s6, exec_lo, s7
; %bb.7:                                ;   in Loop: Header=BB86_2 Depth=1
	ds_load_u8 v37, v40 offset:1
; %bb.8:                                ;   in Loop: Header=BB86_2 Depth=1
	s_wait_alu 0xfffe
	s_or_saveexec_b32 s6, s6
	v_mov_b32_e32 v38, v36
	s_wait_alu 0xfffe
	s_xor_b32 exec_lo, exec_lo, s6
	s_cbranch_execz .LBB86_10
; %bb.9:                                ;   in Loop: Header=BB86_2 Depth=1
	ds_load_u8 v38, v39 offset:1
	s_wait_dscnt 0x1
	v_mov_b32_e32 v37, v35
.LBB86_10:                              ;   in Loop: Header=BB86_2 Depth=1
	s_or_b32 exec_lo, exec_lo, s6
	v_add_nc_u32_e32 v41, 1, v40
	v_add_nc_u32_e32 v43, 1, v39
	s_wait_dscnt 0x0
	v_and_b32_e32 v44, 0xff, v37
	s_delay_alu instid0(VALU_DEP_3) | instskip(SKIP_2) | instid1(VALU_DEP_3)
	v_cndmask_b32_e64 v42, v41, v40, s5
	v_and_b32_e32 v40, 0xff, v38
	v_cndmask_b32_e64 v41, v39, v43, s5
                                        ; implicit-def: $vgpr39
	v_cmp_ge_i32_e64 s6, v42, v9
	s_delay_alu instid0(VALU_DEP_3) | instskip(NEXT) | instid1(VALU_DEP_3)
	v_cmp_lt_u16_e64 s7, v40, v44
	v_cmp_lt_i32_e64 s8, v41, v10
	s_or_b32 s6, s6, s7
	s_wait_alu 0xfffe
	s_and_b32 s6, s8, s6
	s_wait_alu 0xfffe
	s_xor_b32 s7, s6, -1
	s_wait_alu 0xfffe
	s_and_saveexec_b32 s8, s7
	s_delay_alu instid0(SALU_CYCLE_1)
	s_xor_b32 s7, exec_lo, s8
; %bb.11:                               ;   in Loop: Header=BB86_2 Depth=1
	ds_load_u8 v39, v42 offset:1
; %bb.12:                               ;   in Loop: Header=BB86_2 Depth=1
	s_wait_alu 0xfffe
	s_or_saveexec_b32 s7, s7
	v_mov_b32_e32 v40, v38
	s_wait_alu 0xfffe
	s_xor_b32 exec_lo, exec_lo, s7
	s_cbranch_execz .LBB86_14
; %bb.13:                               ;   in Loop: Header=BB86_2 Depth=1
	ds_load_u8 v40, v41 offset:1
	s_wait_dscnt 0x1
	v_mov_b32_e32 v39, v37
.LBB86_14:                              ;   in Loop: Header=BB86_2 Depth=1
	s_or_b32 exec_lo, exec_lo, s7
	v_add_nc_u32_e32 v43, 1, v42
	v_add_nc_u32_e32 v44, 1, v41
	s_wait_dscnt 0x0
	v_and_b32_e32 v45, 0xff, v39
	v_and_b32_e32 v46, 0xff, v40
	v_cndmask_b32_e64 v43, v43, v42, s6
	v_cndmask_b32_e64 v42, v41, v44, s6
                                        ; implicit-def: $vgpr41
	s_delay_alu instid0(VALU_DEP_3) | instskip(NEXT) | instid1(VALU_DEP_3)
	v_cmp_lt_u16_e64 s8, v46, v45
	v_cmp_ge_i32_e64 s7, v43, v9
	s_delay_alu instid0(VALU_DEP_3)
	v_cmp_lt_i32_e64 s9, v42, v10
	s_or_b32 s7, s7, s8
	s_wait_alu 0xfffe
	s_and_b32 s7, s9, s7
	s_wait_alu 0xfffe
	s_xor_b32 s8, s7, -1
	s_delay_alu instid0(SALU_CYCLE_1) | instskip(NEXT) | instid1(SALU_CYCLE_1)
	s_and_saveexec_b32 s9, s8
	s_xor_b32 s8, exec_lo, s9
; %bb.15:                               ;   in Loop: Header=BB86_2 Depth=1
	ds_load_u8 v41, v43 offset:1
; %bb.16:                               ;   in Loop: Header=BB86_2 Depth=1
	s_or_saveexec_b32 s8, s8
	v_mov_b32_e32 v44, v40
	s_xor_b32 exec_lo, exec_lo, s8
	s_cbranch_execz .LBB86_18
; %bb.17:                               ;   in Loop: Header=BB86_2 Depth=1
	ds_load_u8 v44, v42 offset:1
	s_wait_dscnt 0x1
	v_mov_b32_e32 v41, v39
.LBB86_18:                              ;   in Loop: Header=BB86_2 Depth=1
	s_or_b32 exec_lo, exec_lo, s8
	v_add_nc_u32_e32 v45, 1, v43
	v_add_nc_u32_e32 v46, 1, v42
	s_wait_dscnt 0x0
	v_and_b32_e32 v47, 0xff, v41
	v_and_b32_e32 v48, 0xff, v44
	v_cndmask_b32_e64 v39, v39, v40, s7
	v_cndmask_b32_e64 v43, v45, v43, s7
	;; [unrolled: 1-line block ×4, first 2 shown]
	v_cmp_lt_u16_e64 s6, v48, v47
	v_cndmask_b32_e64 v35, v35, v36, s5
	v_cmp_ge_i32_e64 s7, v43, v9
	v_cmp_lt_i32_e64 s5, v40, v10
	s_wait_loadcnt 0x0
	s_barrier_signal -1
	s_barrier_wait -1
	s_or_b32 s6, s7, s6
	global_inv scope:SCOPE_SE
	s_wait_alu 0xfffe
	s_and_b32 s5, s5, s6
	s_wait_alu 0xfffe
	v_cndmask_b32_e64 v36, v41, v44, s5
	ds_store_b8 v1, v35
	ds_store_b8 v1, v37 offset:1
	ds_store_b8 v1, v39 offset:2
	;; [unrolled: 1-line block ×3, first 2 shown]
	v_mov_b32_e32 v35, v30
	s_wait_loadcnt_dscnt 0x0
	s_barrier_signal -1
	s_barrier_wait -1
	global_inv scope:SCOPE_SE
	s_and_saveexec_b32 s6, s1
	s_cbranch_execz .LBB86_22
; %bb.19:                               ;   in Loop: Header=BB86_2 Depth=1
	v_dual_mov_b32 v35, v30 :: v_dual_mov_b32 v36, v25
	s_mov_b32 s7, 0
.LBB86_20:                              ;   Parent Loop BB86_2 Depth=1
                                        ; =>  This Inner Loop Header: Depth=2
	s_delay_alu instid0(VALU_DEP_1) | instskip(NEXT) | instid1(VALU_DEP_1)
	v_sub_nc_u32_e32 v37, v36, v35
	v_lshrrev_b32_e32 v37, 1, v37
	s_delay_alu instid0(VALU_DEP_1) | instskip(NEXT) | instid1(VALU_DEP_1)
	v_add_nc_u32_e32 v37, v37, v35
	v_add_nc_u32_e32 v38, v3, v37
	v_xad_u32 v39, v37, -1, v20
	v_add_nc_u32_e32 v40, 1, v37
	ds_load_u8 v38, v38
	ds_load_u8 v39, v39
	s_wait_dscnt 0x0
	v_cmp_lt_u16_e64 s5, v39, v38
	s_wait_alu 0xf1ff
	s_delay_alu instid0(VALU_DEP_1) | instskip(SKIP_1) | instid1(VALU_DEP_1)
	v_cndmask_b32_e64 v36, v36, v37, s5
	v_cndmask_b32_e64 v35, v40, v35, s5
	v_cmp_ge_i32_e64 s5, v35, v36
	s_wait_alu 0xfffe
	s_or_b32 s7, s5, s7
	s_wait_alu 0xfffe
	s_and_not1_b32 exec_lo, exec_lo, s7
	s_cbranch_execnz .LBB86_20
; %bb.21:                               ;   in Loop: Header=BB86_2 Depth=1
	s_or_b32 exec_lo, exec_lo, s7
.LBB86_22:                              ;   in Loop: Header=BB86_2 Depth=1
	s_wait_alu 0xfffe
	s_or_b32 exec_lo, exec_lo, s6
	v_add_nc_u32_e32 v40, v35, v3
	v_sub_nc_u32_e32 v39, v20, v35
	ds_load_u8 v35, v40
	ds_load_u8 v36, v39
	v_cmp_le_i32_e64 s5, v11, v40
	v_cmp_gt_i32_e64 s7, v12, v39
	s_wait_dscnt 0x1
	v_and_b32_e32 v37, 0xff, v35
	s_wait_dscnt 0x0
	v_and_b32_e32 v38, 0xff, v36
	s_delay_alu instid0(VALU_DEP_1)
	v_cmp_lt_u16_e64 s6, v38, v37
                                        ; implicit-def: $vgpr37
	s_or_b32 s5, s5, s6
	s_wait_alu 0xfffe
	s_and_b32 s5, s7, s5
	s_wait_alu 0xfffe
	s_xor_b32 s6, s5, -1
	s_wait_alu 0xfffe
	s_and_saveexec_b32 s7, s6
	s_wait_alu 0xfffe
	s_xor_b32 s6, exec_lo, s7
; %bb.23:                               ;   in Loop: Header=BB86_2 Depth=1
	ds_load_u8 v37, v40 offset:1
; %bb.24:                               ;   in Loop: Header=BB86_2 Depth=1
	s_wait_alu 0xfffe
	s_or_saveexec_b32 s6, s6
	v_mov_b32_e32 v38, v36
	s_wait_alu 0xfffe
	s_xor_b32 exec_lo, exec_lo, s6
	s_cbranch_execz .LBB86_26
; %bb.25:                               ;   in Loop: Header=BB86_2 Depth=1
	ds_load_u8 v38, v39 offset:1
	s_wait_dscnt 0x1
	v_mov_b32_e32 v37, v35
.LBB86_26:                              ;   in Loop: Header=BB86_2 Depth=1
	s_or_b32 exec_lo, exec_lo, s6
	v_add_nc_u32_e32 v41, 1, v40
	v_add_nc_u32_e32 v43, 1, v39
	s_wait_dscnt 0x0
	v_and_b32_e32 v44, 0xff, v37
	s_delay_alu instid0(VALU_DEP_3) | instskip(SKIP_2) | instid1(VALU_DEP_3)
	v_cndmask_b32_e64 v42, v41, v40, s5
	v_and_b32_e32 v40, 0xff, v38
	v_cndmask_b32_e64 v41, v39, v43, s5
                                        ; implicit-def: $vgpr39
	v_cmp_ge_i32_e64 s6, v42, v11
	s_delay_alu instid0(VALU_DEP_3) | instskip(NEXT) | instid1(VALU_DEP_3)
	v_cmp_lt_u16_e64 s7, v40, v44
	v_cmp_lt_i32_e64 s8, v41, v12
	s_or_b32 s6, s6, s7
	s_wait_alu 0xfffe
	s_and_b32 s6, s8, s6
	s_wait_alu 0xfffe
	s_xor_b32 s7, s6, -1
	s_wait_alu 0xfffe
	s_and_saveexec_b32 s8, s7
	s_delay_alu instid0(SALU_CYCLE_1)
	s_xor_b32 s7, exec_lo, s8
; %bb.27:                               ;   in Loop: Header=BB86_2 Depth=1
	ds_load_u8 v39, v42 offset:1
; %bb.28:                               ;   in Loop: Header=BB86_2 Depth=1
	s_wait_alu 0xfffe
	s_or_saveexec_b32 s7, s7
	v_mov_b32_e32 v40, v38
	s_wait_alu 0xfffe
	s_xor_b32 exec_lo, exec_lo, s7
	s_cbranch_execz .LBB86_30
; %bb.29:                               ;   in Loop: Header=BB86_2 Depth=1
	ds_load_u8 v40, v41 offset:1
	s_wait_dscnt 0x1
	v_mov_b32_e32 v39, v37
.LBB86_30:                              ;   in Loop: Header=BB86_2 Depth=1
	s_or_b32 exec_lo, exec_lo, s7
	v_add_nc_u32_e32 v43, 1, v42
	v_add_nc_u32_e32 v44, 1, v41
	s_wait_dscnt 0x0
	v_and_b32_e32 v45, 0xff, v39
	v_and_b32_e32 v46, 0xff, v40
	v_cndmask_b32_e64 v43, v43, v42, s6
	v_cndmask_b32_e64 v42, v41, v44, s6
                                        ; implicit-def: $vgpr41
	s_delay_alu instid0(VALU_DEP_3) | instskip(NEXT) | instid1(VALU_DEP_3)
	v_cmp_lt_u16_e64 s8, v46, v45
	v_cmp_ge_i32_e64 s7, v43, v11
	s_delay_alu instid0(VALU_DEP_3)
	v_cmp_lt_i32_e64 s9, v42, v12
	s_or_b32 s7, s7, s8
	s_wait_alu 0xfffe
	s_and_b32 s7, s9, s7
	s_wait_alu 0xfffe
	s_xor_b32 s8, s7, -1
	s_delay_alu instid0(SALU_CYCLE_1) | instskip(NEXT) | instid1(SALU_CYCLE_1)
	s_and_saveexec_b32 s9, s8
	s_xor_b32 s8, exec_lo, s9
; %bb.31:                               ;   in Loop: Header=BB86_2 Depth=1
	ds_load_u8 v41, v43 offset:1
; %bb.32:                               ;   in Loop: Header=BB86_2 Depth=1
	s_or_saveexec_b32 s8, s8
	v_mov_b32_e32 v44, v40
	s_xor_b32 exec_lo, exec_lo, s8
	s_cbranch_execz .LBB86_34
; %bb.33:                               ;   in Loop: Header=BB86_2 Depth=1
	ds_load_u8 v44, v42 offset:1
	s_wait_dscnt 0x1
	v_mov_b32_e32 v41, v39
.LBB86_34:                              ;   in Loop: Header=BB86_2 Depth=1
	s_or_b32 exec_lo, exec_lo, s8
	v_add_nc_u32_e32 v45, 1, v43
	v_add_nc_u32_e32 v46, 1, v42
	s_wait_dscnt 0x0
	v_and_b32_e32 v47, 0xff, v41
	v_and_b32_e32 v48, 0xff, v44
	v_cndmask_b32_e64 v39, v39, v40, s7
	v_cndmask_b32_e64 v43, v45, v43, s7
	;; [unrolled: 1-line block ×4, first 2 shown]
	v_cmp_lt_u16_e64 s6, v48, v47
	v_cndmask_b32_e64 v35, v35, v36, s5
	v_cmp_ge_i32_e64 s7, v43, v11
	v_cmp_lt_i32_e64 s5, v40, v12
	s_wait_loadcnt 0x0
	s_barrier_signal -1
	s_barrier_wait -1
	s_or_b32 s6, s7, s6
	global_inv scope:SCOPE_SE
	s_wait_alu 0xfffe
	s_and_b32 s5, s5, s6
	s_wait_alu 0xfffe
	v_cndmask_b32_e64 v36, v41, v44, s5
	ds_store_b8 v1, v35
	ds_store_b8 v1, v37 offset:1
	ds_store_b8 v1, v39 offset:2
	;; [unrolled: 1-line block ×3, first 2 shown]
	v_mov_b32_e32 v35, v31
	s_wait_loadcnt_dscnt 0x0
	s_barrier_signal -1
	s_barrier_wait -1
	global_inv scope:SCOPE_SE
	s_and_saveexec_b32 s6, s2
	s_cbranch_execz .LBB86_38
; %bb.35:                               ;   in Loop: Header=BB86_2 Depth=1
	v_dual_mov_b32 v35, v31 :: v_dual_mov_b32 v36, v26
	s_mov_b32 s7, 0
.LBB86_36:                              ;   Parent Loop BB86_2 Depth=1
                                        ; =>  This Inner Loop Header: Depth=2
	s_delay_alu instid0(VALU_DEP_1) | instskip(NEXT) | instid1(VALU_DEP_1)
	v_sub_nc_u32_e32 v37, v36, v35
	v_lshrrev_b32_e32 v37, 1, v37
	s_delay_alu instid0(VALU_DEP_1) | instskip(NEXT) | instid1(VALU_DEP_1)
	v_add_nc_u32_e32 v37, v37, v35
	v_add_nc_u32_e32 v38, v4, v37
	v_xad_u32 v39, v37, -1, v21
	v_add_nc_u32_e32 v40, 1, v37
	ds_load_u8 v38, v38
	ds_load_u8 v39, v39
	s_wait_dscnt 0x0
	v_cmp_lt_u16_e64 s5, v39, v38
	s_wait_alu 0xf1ff
	s_delay_alu instid0(VALU_DEP_1) | instskip(SKIP_1) | instid1(VALU_DEP_1)
	v_cndmask_b32_e64 v36, v36, v37, s5
	v_cndmask_b32_e64 v35, v40, v35, s5
	v_cmp_ge_i32_e64 s5, v35, v36
	s_wait_alu 0xfffe
	s_or_b32 s7, s5, s7
	s_wait_alu 0xfffe
	s_and_not1_b32 exec_lo, exec_lo, s7
	s_cbranch_execnz .LBB86_36
; %bb.37:                               ;   in Loop: Header=BB86_2 Depth=1
	s_or_b32 exec_lo, exec_lo, s7
.LBB86_38:                              ;   in Loop: Header=BB86_2 Depth=1
	s_wait_alu 0xfffe
	s_or_b32 exec_lo, exec_lo, s6
	v_add_nc_u32_e32 v40, v35, v4
	v_sub_nc_u32_e32 v39, v21, v35
	ds_load_u8 v35, v40
	ds_load_u8 v36, v39
	v_cmp_le_i32_e64 s5, v13, v40
	v_cmp_gt_i32_e64 s7, v14, v39
	s_wait_dscnt 0x1
	v_and_b32_e32 v37, 0xff, v35
	s_wait_dscnt 0x0
	v_and_b32_e32 v38, 0xff, v36
	s_delay_alu instid0(VALU_DEP_1)
	v_cmp_lt_u16_e64 s6, v38, v37
                                        ; implicit-def: $vgpr37
	s_or_b32 s5, s5, s6
	s_wait_alu 0xfffe
	s_and_b32 s5, s7, s5
	s_wait_alu 0xfffe
	s_xor_b32 s6, s5, -1
	s_wait_alu 0xfffe
	s_and_saveexec_b32 s7, s6
	s_wait_alu 0xfffe
	s_xor_b32 s6, exec_lo, s7
; %bb.39:                               ;   in Loop: Header=BB86_2 Depth=1
	ds_load_u8 v37, v40 offset:1
; %bb.40:                               ;   in Loop: Header=BB86_2 Depth=1
	s_wait_alu 0xfffe
	s_or_saveexec_b32 s6, s6
	v_mov_b32_e32 v38, v36
	s_wait_alu 0xfffe
	s_xor_b32 exec_lo, exec_lo, s6
	s_cbranch_execz .LBB86_42
; %bb.41:                               ;   in Loop: Header=BB86_2 Depth=1
	ds_load_u8 v38, v39 offset:1
	s_wait_dscnt 0x1
	v_mov_b32_e32 v37, v35
.LBB86_42:                              ;   in Loop: Header=BB86_2 Depth=1
	s_or_b32 exec_lo, exec_lo, s6
	v_add_nc_u32_e32 v41, 1, v40
	v_add_nc_u32_e32 v43, 1, v39
	s_wait_dscnt 0x0
	v_and_b32_e32 v44, 0xff, v37
	s_delay_alu instid0(VALU_DEP_3) | instskip(SKIP_2) | instid1(VALU_DEP_3)
	v_cndmask_b32_e64 v42, v41, v40, s5
	v_and_b32_e32 v40, 0xff, v38
	v_cndmask_b32_e64 v41, v39, v43, s5
                                        ; implicit-def: $vgpr39
	v_cmp_ge_i32_e64 s6, v42, v13
	s_delay_alu instid0(VALU_DEP_3) | instskip(NEXT) | instid1(VALU_DEP_3)
	v_cmp_lt_u16_e64 s7, v40, v44
	v_cmp_lt_i32_e64 s8, v41, v14
	s_or_b32 s6, s6, s7
	s_wait_alu 0xfffe
	s_and_b32 s6, s8, s6
	s_wait_alu 0xfffe
	s_xor_b32 s7, s6, -1
	s_wait_alu 0xfffe
	s_and_saveexec_b32 s8, s7
	s_delay_alu instid0(SALU_CYCLE_1)
	s_xor_b32 s7, exec_lo, s8
; %bb.43:                               ;   in Loop: Header=BB86_2 Depth=1
	ds_load_u8 v39, v42 offset:1
; %bb.44:                               ;   in Loop: Header=BB86_2 Depth=1
	s_wait_alu 0xfffe
	s_or_saveexec_b32 s7, s7
	v_mov_b32_e32 v40, v38
	s_wait_alu 0xfffe
	s_xor_b32 exec_lo, exec_lo, s7
	s_cbranch_execz .LBB86_46
; %bb.45:                               ;   in Loop: Header=BB86_2 Depth=1
	ds_load_u8 v40, v41 offset:1
	s_wait_dscnt 0x1
	v_mov_b32_e32 v39, v37
.LBB86_46:                              ;   in Loop: Header=BB86_2 Depth=1
	s_or_b32 exec_lo, exec_lo, s7
	v_add_nc_u32_e32 v43, 1, v42
	v_add_nc_u32_e32 v44, 1, v41
	s_wait_dscnt 0x0
	v_and_b32_e32 v45, 0xff, v39
	v_and_b32_e32 v46, 0xff, v40
	v_cndmask_b32_e64 v43, v43, v42, s6
	v_cndmask_b32_e64 v42, v41, v44, s6
                                        ; implicit-def: $vgpr41
	s_delay_alu instid0(VALU_DEP_3) | instskip(NEXT) | instid1(VALU_DEP_3)
	v_cmp_lt_u16_e64 s8, v46, v45
	v_cmp_ge_i32_e64 s7, v43, v13
	s_delay_alu instid0(VALU_DEP_3)
	v_cmp_lt_i32_e64 s9, v42, v14
	s_or_b32 s7, s7, s8
	s_wait_alu 0xfffe
	s_and_b32 s7, s9, s7
	s_wait_alu 0xfffe
	s_xor_b32 s8, s7, -1
	s_delay_alu instid0(SALU_CYCLE_1) | instskip(NEXT) | instid1(SALU_CYCLE_1)
	s_and_saveexec_b32 s9, s8
	s_xor_b32 s8, exec_lo, s9
; %bb.47:                               ;   in Loop: Header=BB86_2 Depth=1
	ds_load_u8 v41, v43 offset:1
; %bb.48:                               ;   in Loop: Header=BB86_2 Depth=1
	s_or_saveexec_b32 s8, s8
	v_mov_b32_e32 v44, v40
	s_xor_b32 exec_lo, exec_lo, s8
	s_cbranch_execz .LBB86_50
; %bb.49:                               ;   in Loop: Header=BB86_2 Depth=1
	ds_load_u8 v44, v42 offset:1
	s_wait_dscnt 0x1
	v_mov_b32_e32 v41, v39
.LBB86_50:                              ;   in Loop: Header=BB86_2 Depth=1
	s_or_b32 exec_lo, exec_lo, s8
	v_add_nc_u32_e32 v45, 1, v43
	v_add_nc_u32_e32 v46, 1, v42
	s_wait_dscnt 0x0
	v_and_b32_e32 v47, 0xff, v41
	v_and_b32_e32 v48, 0xff, v44
	v_cndmask_b32_e64 v39, v39, v40, s7
	v_cndmask_b32_e64 v43, v45, v43, s7
	;; [unrolled: 1-line block ×4, first 2 shown]
	v_cmp_lt_u16_e64 s6, v48, v47
	v_cndmask_b32_e64 v35, v35, v36, s5
	v_cmp_ge_i32_e64 s7, v43, v13
	v_cmp_lt_i32_e64 s5, v40, v14
	s_wait_loadcnt 0x0
	s_barrier_signal -1
	s_barrier_wait -1
	s_or_b32 s6, s7, s6
	global_inv scope:SCOPE_SE
	s_wait_alu 0xfffe
	s_and_b32 s5, s5, s6
	s_wait_alu 0xfffe
	v_cndmask_b32_e64 v36, v41, v44, s5
	ds_store_b8 v1, v35
	ds_store_b8 v1, v37 offset:1
	ds_store_b8 v1, v39 offset:2
	;; [unrolled: 1-line block ×3, first 2 shown]
	v_mov_b32_e32 v35, v32
	s_wait_loadcnt_dscnt 0x0
	s_barrier_signal -1
	s_barrier_wait -1
	global_inv scope:SCOPE_SE
	s_and_saveexec_b32 s6, s3
	s_cbranch_execz .LBB86_54
; %bb.51:                               ;   in Loop: Header=BB86_2 Depth=1
	v_dual_mov_b32 v35, v32 :: v_dual_mov_b32 v36, v27
	s_mov_b32 s7, 0
.LBB86_52:                              ;   Parent Loop BB86_2 Depth=1
                                        ; =>  This Inner Loop Header: Depth=2
	s_delay_alu instid0(VALU_DEP_1) | instskip(NEXT) | instid1(VALU_DEP_1)
	v_sub_nc_u32_e32 v37, v36, v35
	v_lshrrev_b32_e32 v37, 1, v37
	s_delay_alu instid0(VALU_DEP_1) | instskip(NEXT) | instid1(VALU_DEP_1)
	v_add_nc_u32_e32 v37, v37, v35
	v_add_nc_u32_e32 v38, v5, v37
	v_xad_u32 v39, v37, -1, v22
	v_add_nc_u32_e32 v40, 1, v37
	ds_load_u8 v38, v38
	ds_load_u8 v39, v39
	s_wait_dscnt 0x0
	v_cmp_lt_u16_e64 s5, v39, v38
	s_wait_alu 0xf1ff
	s_delay_alu instid0(VALU_DEP_1) | instskip(SKIP_1) | instid1(VALU_DEP_1)
	v_cndmask_b32_e64 v36, v36, v37, s5
	v_cndmask_b32_e64 v35, v40, v35, s5
	v_cmp_ge_i32_e64 s5, v35, v36
	s_wait_alu 0xfffe
	s_or_b32 s7, s5, s7
	s_wait_alu 0xfffe
	s_and_not1_b32 exec_lo, exec_lo, s7
	s_cbranch_execnz .LBB86_52
; %bb.53:                               ;   in Loop: Header=BB86_2 Depth=1
	s_or_b32 exec_lo, exec_lo, s7
.LBB86_54:                              ;   in Loop: Header=BB86_2 Depth=1
	s_wait_alu 0xfffe
	s_or_b32 exec_lo, exec_lo, s6
	v_add_nc_u32_e32 v40, v35, v5
	v_sub_nc_u32_e32 v39, v22, v35
	ds_load_u8 v35, v40
	ds_load_u8 v36, v39
	v_cmp_le_i32_e64 s5, v15, v40
	v_cmp_gt_i32_e64 s7, v16, v39
	s_wait_dscnt 0x1
	v_and_b32_e32 v37, 0xff, v35
	s_wait_dscnt 0x0
	v_and_b32_e32 v38, 0xff, v36
	s_delay_alu instid0(VALU_DEP_1)
	v_cmp_lt_u16_e64 s6, v38, v37
                                        ; implicit-def: $vgpr37
	s_or_b32 s5, s5, s6
	s_wait_alu 0xfffe
	s_and_b32 s5, s7, s5
	s_wait_alu 0xfffe
	s_xor_b32 s6, s5, -1
	s_wait_alu 0xfffe
	s_and_saveexec_b32 s7, s6
	s_wait_alu 0xfffe
	s_xor_b32 s6, exec_lo, s7
; %bb.55:                               ;   in Loop: Header=BB86_2 Depth=1
	ds_load_u8 v37, v40 offset:1
; %bb.56:                               ;   in Loop: Header=BB86_2 Depth=1
	s_wait_alu 0xfffe
	s_or_saveexec_b32 s6, s6
	v_mov_b32_e32 v38, v36
	s_wait_alu 0xfffe
	s_xor_b32 exec_lo, exec_lo, s6
	s_cbranch_execz .LBB86_58
; %bb.57:                               ;   in Loop: Header=BB86_2 Depth=1
	ds_load_u8 v38, v39 offset:1
	s_wait_dscnt 0x1
	v_mov_b32_e32 v37, v35
.LBB86_58:                              ;   in Loop: Header=BB86_2 Depth=1
	s_or_b32 exec_lo, exec_lo, s6
	v_add_nc_u32_e32 v41, 1, v40
	v_add_nc_u32_e32 v43, 1, v39
	s_wait_dscnt 0x0
	v_and_b32_e32 v44, 0xff, v37
	s_delay_alu instid0(VALU_DEP_3) | instskip(SKIP_2) | instid1(VALU_DEP_3)
	v_cndmask_b32_e64 v42, v41, v40, s5
	v_and_b32_e32 v40, 0xff, v38
	v_cndmask_b32_e64 v41, v39, v43, s5
                                        ; implicit-def: $vgpr39
	v_cmp_ge_i32_e64 s6, v42, v15
	s_delay_alu instid0(VALU_DEP_3) | instskip(NEXT) | instid1(VALU_DEP_3)
	v_cmp_lt_u16_e64 s7, v40, v44
	v_cmp_lt_i32_e64 s8, v41, v16
	s_or_b32 s6, s6, s7
	s_wait_alu 0xfffe
	s_and_b32 s6, s8, s6
	s_wait_alu 0xfffe
	s_xor_b32 s7, s6, -1
	s_wait_alu 0xfffe
	s_and_saveexec_b32 s8, s7
	s_delay_alu instid0(SALU_CYCLE_1)
	s_xor_b32 s7, exec_lo, s8
; %bb.59:                               ;   in Loop: Header=BB86_2 Depth=1
	ds_load_u8 v39, v42 offset:1
; %bb.60:                               ;   in Loop: Header=BB86_2 Depth=1
	s_wait_alu 0xfffe
	s_or_saveexec_b32 s7, s7
	v_mov_b32_e32 v40, v38
	s_wait_alu 0xfffe
	s_xor_b32 exec_lo, exec_lo, s7
	s_cbranch_execz .LBB86_62
; %bb.61:                               ;   in Loop: Header=BB86_2 Depth=1
	ds_load_u8 v40, v41 offset:1
	s_wait_dscnt 0x1
	v_mov_b32_e32 v39, v37
.LBB86_62:                              ;   in Loop: Header=BB86_2 Depth=1
	s_or_b32 exec_lo, exec_lo, s7
	v_add_nc_u32_e32 v43, 1, v42
	v_add_nc_u32_e32 v44, 1, v41
	s_wait_dscnt 0x0
	v_and_b32_e32 v45, 0xff, v39
	v_and_b32_e32 v46, 0xff, v40
	v_cndmask_b32_e64 v43, v43, v42, s6
	v_cndmask_b32_e64 v42, v41, v44, s6
                                        ; implicit-def: $vgpr41
	s_delay_alu instid0(VALU_DEP_3) | instskip(NEXT) | instid1(VALU_DEP_3)
	v_cmp_lt_u16_e64 s8, v46, v45
	v_cmp_ge_i32_e64 s7, v43, v15
	s_delay_alu instid0(VALU_DEP_3)
	v_cmp_lt_i32_e64 s9, v42, v16
	s_or_b32 s7, s7, s8
	s_wait_alu 0xfffe
	s_and_b32 s7, s9, s7
	s_wait_alu 0xfffe
	s_xor_b32 s8, s7, -1
	s_delay_alu instid0(SALU_CYCLE_1) | instskip(NEXT) | instid1(SALU_CYCLE_1)
	s_and_saveexec_b32 s9, s8
	s_xor_b32 s8, exec_lo, s9
; %bb.63:                               ;   in Loop: Header=BB86_2 Depth=1
	ds_load_u8 v41, v43 offset:1
; %bb.64:                               ;   in Loop: Header=BB86_2 Depth=1
	s_or_saveexec_b32 s8, s8
	v_mov_b32_e32 v44, v40
	s_xor_b32 exec_lo, exec_lo, s8
	s_cbranch_execz .LBB86_66
; %bb.65:                               ;   in Loop: Header=BB86_2 Depth=1
	ds_load_u8 v44, v42 offset:1
	s_wait_dscnt 0x1
	v_mov_b32_e32 v41, v39
.LBB86_66:                              ;   in Loop: Header=BB86_2 Depth=1
	s_or_b32 exec_lo, exec_lo, s8
	v_add_nc_u32_e32 v45, 1, v43
	v_add_nc_u32_e32 v46, 1, v42
	s_wait_dscnt 0x0
	v_and_b32_e32 v47, 0xff, v41
	v_and_b32_e32 v48, 0xff, v44
	v_cndmask_b32_e64 v39, v39, v40, s7
	v_cndmask_b32_e64 v43, v45, v43, s7
	;; [unrolled: 1-line block ×4, first 2 shown]
	v_cmp_lt_u16_e64 s6, v48, v47
	v_cndmask_b32_e64 v35, v35, v36, s5
	v_cmp_ge_i32_e64 s7, v43, v15
	v_cmp_lt_i32_e64 s5, v40, v16
	s_wait_loadcnt 0x0
	s_barrier_signal -1
	s_barrier_wait -1
	s_or_b32 s6, s7, s6
	global_inv scope:SCOPE_SE
	s_wait_alu 0xfffe
	s_and_b32 s5, s5, s6
	s_wait_alu 0xfffe
	v_cndmask_b32_e64 v36, v41, v44, s5
	ds_store_b8 v1, v35
	ds_store_b8 v1, v37 offset:1
	ds_store_b8 v1, v39 offset:2
	;; [unrolled: 1-line block ×3, first 2 shown]
	v_mov_b32_e32 v35, v33
	s_wait_loadcnt_dscnt 0x0
	s_barrier_signal -1
	s_barrier_wait -1
	global_inv scope:SCOPE_SE
	s_and_saveexec_b32 s6, s4
	s_cbranch_execz .LBB86_70
; %bb.67:                               ;   in Loop: Header=BB86_2 Depth=1
	v_dual_mov_b32 v35, v33 :: v_dual_mov_b32 v36, v28
	s_mov_b32 s7, 0
.LBB86_68:                              ;   Parent Loop BB86_2 Depth=1
                                        ; =>  This Inner Loop Header: Depth=2
	s_delay_alu instid0(VALU_DEP_1) | instskip(NEXT) | instid1(VALU_DEP_1)
	v_sub_nc_u32_e32 v37, v36, v35
	v_lshrrev_b32_e32 v37, 1, v37
	s_delay_alu instid0(VALU_DEP_1) | instskip(NEXT) | instid1(VALU_DEP_1)
	v_add_nc_u32_e32 v37, v37, v35
	v_add_nc_u32_e32 v38, v6, v37
	v_xad_u32 v39, v37, -1, v23
	v_add_nc_u32_e32 v40, 1, v37
	ds_load_u8 v38, v38
	ds_load_u8 v39, v39
	s_wait_dscnt 0x0
	v_cmp_lt_u16_e64 s5, v39, v38
	s_wait_alu 0xf1ff
	s_delay_alu instid0(VALU_DEP_1) | instskip(SKIP_1) | instid1(VALU_DEP_1)
	v_cndmask_b32_e64 v36, v36, v37, s5
	v_cndmask_b32_e64 v35, v40, v35, s5
	v_cmp_ge_i32_e64 s5, v35, v36
	s_wait_alu 0xfffe
	s_or_b32 s7, s5, s7
	s_wait_alu 0xfffe
	s_and_not1_b32 exec_lo, exec_lo, s7
	s_cbranch_execnz .LBB86_68
; %bb.69:                               ;   in Loop: Header=BB86_2 Depth=1
	s_or_b32 exec_lo, exec_lo, s7
.LBB86_70:                              ;   in Loop: Header=BB86_2 Depth=1
	s_wait_alu 0xfffe
	s_or_b32 exec_lo, exec_lo, s6
	v_add_nc_u32_e32 v40, v35, v6
	v_sub_nc_u32_e32 v39, v23, v35
	ds_load_u8 v35, v40
	ds_load_u8 v36, v39
	v_cmp_le_i32_e64 s5, v17, v40
	v_cmp_gt_i32_e64 s7, v18, v39
	s_wait_dscnt 0x1
	v_and_b32_e32 v37, 0xff, v35
	s_wait_dscnt 0x0
	v_and_b32_e32 v38, 0xff, v36
	s_delay_alu instid0(VALU_DEP_1)
	v_cmp_lt_u16_e64 s6, v38, v37
                                        ; implicit-def: $vgpr37
	s_or_b32 s5, s5, s6
	s_wait_alu 0xfffe
	s_and_b32 s5, s7, s5
	s_wait_alu 0xfffe
	s_xor_b32 s6, s5, -1
	s_wait_alu 0xfffe
	s_and_saveexec_b32 s7, s6
	s_wait_alu 0xfffe
	s_xor_b32 s6, exec_lo, s7
; %bb.71:                               ;   in Loop: Header=BB86_2 Depth=1
	ds_load_u8 v37, v40 offset:1
; %bb.72:                               ;   in Loop: Header=BB86_2 Depth=1
	s_wait_alu 0xfffe
	s_or_saveexec_b32 s6, s6
	v_mov_b32_e32 v38, v36
	s_wait_alu 0xfffe
	s_xor_b32 exec_lo, exec_lo, s6
	s_cbranch_execz .LBB86_74
; %bb.73:                               ;   in Loop: Header=BB86_2 Depth=1
	ds_load_u8 v38, v39 offset:1
	s_wait_dscnt 0x1
	v_mov_b32_e32 v37, v35
.LBB86_74:                              ;   in Loop: Header=BB86_2 Depth=1
	s_or_b32 exec_lo, exec_lo, s6
	v_add_nc_u32_e32 v41, 1, v40
	v_add_nc_u32_e32 v43, 1, v39
	s_wait_dscnt 0x0
	v_and_b32_e32 v44, 0xff, v37
	s_delay_alu instid0(VALU_DEP_3) | instskip(SKIP_2) | instid1(VALU_DEP_3)
	v_cndmask_b32_e64 v42, v41, v40, s5
	v_and_b32_e32 v40, 0xff, v38
	v_cndmask_b32_e64 v41, v39, v43, s5
                                        ; implicit-def: $vgpr39
	v_cmp_ge_i32_e64 s6, v42, v17
	s_delay_alu instid0(VALU_DEP_3) | instskip(NEXT) | instid1(VALU_DEP_3)
	v_cmp_lt_u16_e64 s7, v40, v44
	v_cmp_lt_i32_e64 s8, v41, v18
	s_or_b32 s6, s6, s7
	s_wait_alu 0xfffe
	s_and_b32 s6, s8, s6
	s_wait_alu 0xfffe
	s_xor_b32 s7, s6, -1
	s_wait_alu 0xfffe
	s_and_saveexec_b32 s8, s7
	s_delay_alu instid0(SALU_CYCLE_1)
	s_xor_b32 s7, exec_lo, s8
; %bb.75:                               ;   in Loop: Header=BB86_2 Depth=1
	ds_load_u8 v39, v42 offset:1
; %bb.76:                               ;   in Loop: Header=BB86_2 Depth=1
	s_wait_alu 0xfffe
	s_or_saveexec_b32 s7, s7
	v_mov_b32_e32 v40, v38
	s_wait_alu 0xfffe
	s_xor_b32 exec_lo, exec_lo, s7
	s_cbranch_execz .LBB86_78
; %bb.77:                               ;   in Loop: Header=BB86_2 Depth=1
	ds_load_u8 v40, v41 offset:1
	s_wait_dscnt 0x1
	v_mov_b32_e32 v39, v37
.LBB86_78:                              ;   in Loop: Header=BB86_2 Depth=1
	s_or_b32 exec_lo, exec_lo, s7
	v_add_nc_u32_e32 v43, 1, v42
	v_add_nc_u32_e32 v44, 1, v41
	s_wait_dscnt 0x0
	v_and_b32_e32 v45, 0xff, v39
	v_and_b32_e32 v46, 0xff, v40
	v_cndmask_b32_e64 v43, v43, v42, s6
	v_cndmask_b32_e64 v42, v41, v44, s6
                                        ; implicit-def: $vgpr41
	s_delay_alu instid0(VALU_DEP_3) | instskip(NEXT) | instid1(VALU_DEP_3)
	v_cmp_lt_u16_e64 s8, v46, v45
	v_cmp_ge_i32_e64 s7, v43, v17
	s_delay_alu instid0(VALU_DEP_3)
	v_cmp_lt_i32_e64 s9, v42, v18
	s_or_b32 s7, s7, s8
	s_wait_alu 0xfffe
	s_and_b32 s7, s9, s7
	s_wait_alu 0xfffe
	s_xor_b32 s8, s7, -1
	s_delay_alu instid0(SALU_CYCLE_1) | instskip(NEXT) | instid1(SALU_CYCLE_1)
	s_and_saveexec_b32 s9, s8
	s_xor_b32 s8, exec_lo, s9
; %bb.79:                               ;   in Loop: Header=BB86_2 Depth=1
	ds_load_u8 v41, v43 offset:1
; %bb.80:                               ;   in Loop: Header=BB86_2 Depth=1
	s_or_saveexec_b32 s8, s8
	v_mov_b32_e32 v44, v40
	s_xor_b32 exec_lo, exec_lo, s8
	s_cbranch_execz .LBB86_82
; %bb.81:                               ;   in Loop: Header=BB86_2 Depth=1
	ds_load_u8 v44, v42 offset:1
	s_wait_dscnt 0x1
	v_mov_b32_e32 v41, v39
.LBB86_82:                              ;   in Loop: Header=BB86_2 Depth=1
	s_or_b32 exec_lo, exec_lo, s8
	v_add_nc_u32_e32 v45, 1, v43
	v_add_nc_u32_e32 v46, 1, v42
	s_wait_dscnt 0x0
	v_and_b32_e32 v47, 0xff, v41
	v_and_b32_e32 v48, 0xff, v44
	v_cndmask_b32_e64 v39, v39, v40, s7
	v_cndmask_b32_e64 v43, v45, v43, s7
	;; [unrolled: 1-line block ×4, first 2 shown]
	v_cmp_lt_u16_e64 s6, v48, v47
	v_cndmask_b32_e64 v35, v35, v36, s5
	v_cmp_ge_i32_e64 s7, v43, v17
	v_cmp_lt_i32_e64 s5, v40, v18
	s_wait_loadcnt 0x0
	s_barrier_signal -1
	s_barrier_wait -1
	s_or_b32 s6, s7, s6
	global_inv scope:SCOPE_SE
	s_wait_alu 0xfffe
	s_and_b32 s5, s5, s6
	s_wait_alu 0xfffe
	v_cndmask_b32_e64 v36, v41, v44, s5
	ds_store_b8 v1, v35
	ds_store_b8 v1, v37 offset:1
	ds_store_b8 v1, v39 offset:2
	;; [unrolled: 1-line block ×3, first 2 shown]
	v_mov_b32_e32 v39, v7
	s_wait_loadcnt_dscnt 0x0
	s_barrier_signal -1
	s_barrier_wait -1
	global_inv scope:SCOPE_SE
	s_and_saveexec_b32 s6, vcc_lo
	s_cbranch_execz .LBB86_86
; %bb.83:                               ;   in Loop: Header=BB86_2 Depth=1
	v_mov_b32_e32 v39, v7
	v_mov_b32_e32 v35, v8
	s_mov_b32 s7, 0
.LBB86_84:                              ;   Parent Loop BB86_2 Depth=1
                                        ; =>  This Inner Loop Header: Depth=2
	s_delay_alu instid0(VALU_DEP_1) | instskip(NEXT) | instid1(VALU_DEP_1)
	v_sub_nc_u32_e32 v36, v35, v39
	v_lshrrev_b32_e32 v36, 1, v36
	s_delay_alu instid0(VALU_DEP_1) | instskip(NEXT) | instid1(VALU_DEP_1)
	v_add_nc_u32_e32 v36, v36, v39
	v_xad_u32 v37, v36, -1, v34
	v_add_nc_u32_e32 v40, 1, v36
	ds_load_u8 v38, v36
	ds_load_u8 v37, v37
	s_wait_dscnt 0x0
	v_cmp_lt_u16_e64 s5, v37, v38
	s_wait_alu 0xf1ff
	s_delay_alu instid0(VALU_DEP_1) | instskip(SKIP_1) | instid1(VALU_DEP_1)
	v_cndmask_b32_e64 v35, v35, v36, s5
	v_cndmask_b32_e64 v39, v40, v39, s5
	v_cmp_ge_i32_e64 s5, v39, v35
	s_wait_alu 0xfffe
	s_or_b32 s7, s5, s7
	s_wait_alu 0xfffe
	s_and_not1_b32 exec_lo, exec_lo, s7
	s_cbranch_execnz .LBB86_84
; %bb.85:                               ;   in Loop: Header=BB86_2 Depth=1
	s_or_b32 exec_lo, exec_lo, s7
.LBB86_86:                              ;   in Loop: Header=BB86_2 Depth=1
	s_wait_alu 0xfffe
	s_or_b32 exec_lo, exec_lo, s6
	v_sub_nc_u32_e32 v40, v34, v39
	v_cmp_le_i32_e64 s5, 0x80, v39
	ds_load_u8 v35, v39
	ds_load_u8 v36, v40
	v_cmp_gt_i32_e64 s7, 0x100, v40
	s_wait_dscnt 0x1
	v_and_b32_e32 v37, 0xff, v35
	s_wait_dscnt 0x0
	v_and_b32_e32 v38, 0xff, v36
	s_delay_alu instid0(VALU_DEP_1)
	v_cmp_lt_u16_e64 s6, v38, v37
                                        ; implicit-def: $vgpr37
	s_or_b32 s5, s5, s6
	s_wait_alu 0xfffe
	s_and_b32 s5, s7, s5
	s_wait_alu 0xfffe
	s_xor_b32 s6, s5, -1
	s_wait_alu 0xfffe
	s_and_saveexec_b32 s7, s6
	s_wait_alu 0xfffe
	s_xor_b32 s6, exec_lo, s7
; %bb.87:                               ;   in Loop: Header=BB86_2 Depth=1
	ds_load_u8 v37, v39 offset:1
; %bb.88:                               ;   in Loop: Header=BB86_2 Depth=1
	s_wait_alu 0xfffe
	s_or_saveexec_b32 s6, s6
	v_mov_b32_e32 v38, v36
	s_wait_alu 0xfffe
	s_xor_b32 exec_lo, exec_lo, s6
	s_cbranch_execz .LBB86_90
; %bb.89:                               ;   in Loop: Header=BB86_2 Depth=1
	ds_load_u8 v38, v40 offset:1
	s_wait_dscnt 0x1
	v_mov_b32_e32 v37, v35
.LBB86_90:                              ;   in Loop: Header=BB86_2 Depth=1
	s_or_b32 exec_lo, exec_lo, s6
	v_add_nc_u32_e32 v41, 1, v39
	v_add_nc_u32_e32 v43, 1, v40
	s_wait_dscnt 0x0
	v_and_b32_e32 v44, 0xff, v37
	s_delay_alu instid0(VALU_DEP_3) | instskip(SKIP_2) | instid1(VALU_DEP_3)
	v_cndmask_b32_e64 v42, v41, v39, s5
	v_and_b32_e32 v39, 0xff, v38
	v_cndmask_b32_e64 v41, v40, v43, s5
	v_cmp_le_i32_e64 s6, 0x80, v42
	s_delay_alu instid0(VALU_DEP_3) | instskip(NEXT) | instid1(VALU_DEP_3)
	v_cmp_lt_u16_e64 s7, v39, v44
	v_cmp_gt_i32_e64 s8, 0x100, v41
                                        ; implicit-def: $vgpr39
	s_or_b32 s6, s6, s7
	s_wait_alu 0xfffe
	s_and_b32 s6, s8, s6
	s_wait_alu 0xfffe
	s_xor_b32 s7, s6, -1
	s_wait_alu 0xfffe
	s_and_saveexec_b32 s8, s7
	s_delay_alu instid0(SALU_CYCLE_1)
	s_xor_b32 s7, exec_lo, s8
; %bb.91:                               ;   in Loop: Header=BB86_2 Depth=1
	ds_load_u8 v39, v42 offset:1
; %bb.92:                               ;   in Loop: Header=BB86_2 Depth=1
	s_wait_alu 0xfffe
	s_or_saveexec_b32 s7, s7
	v_mov_b32_e32 v40, v38
	s_wait_alu 0xfffe
	s_xor_b32 exec_lo, exec_lo, s7
	s_cbranch_execz .LBB86_94
; %bb.93:                               ;   in Loop: Header=BB86_2 Depth=1
	ds_load_u8 v40, v41 offset:1
	s_wait_dscnt 0x1
	v_mov_b32_e32 v39, v37
.LBB86_94:                              ;   in Loop: Header=BB86_2 Depth=1
	s_or_b32 exec_lo, exec_lo, s7
	v_add_nc_u32_e32 v43, 1, v42
	v_add_nc_u32_e32 v45, 1, v41
	s_wait_dscnt 0x0
	v_and_b32_e32 v46, 0xff, v39
	s_delay_alu instid0(VALU_DEP_3) | instskip(SKIP_2) | instid1(VALU_DEP_3)
	v_cndmask_b32_e64 v44, v43, v42, s6
	v_and_b32_e32 v42, 0xff, v40
	v_cndmask_b32_e64 v41, v41, v45, s6
                                        ; implicit-def: $vgpr43
	v_cmp_le_i32_e64 s7, 0x80, v44
	s_delay_alu instid0(VALU_DEP_3) | instskip(NEXT) | instid1(VALU_DEP_3)
	v_cmp_lt_u16_e64 s8, v42, v46
	v_cmp_gt_i32_e64 s9, 0x100, v41
                                        ; implicit-def: $vgpr42
	s_or_b32 s7, s7, s8
	s_wait_alu 0xfffe
	s_and_b32 s7, s9, s7
	s_wait_alu 0xfffe
	s_xor_b32 s8, s7, -1
	s_delay_alu instid0(SALU_CYCLE_1) | instskip(NEXT) | instid1(SALU_CYCLE_1)
	s_and_saveexec_b32 s9, s8
	s_xor_b32 s8, exec_lo, s9
; %bb.95:                               ;   in Loop: Header=BB86_2 Depth=1
	ds_load_u8 v42, v44 offset:1
	v_add_nc_u32_e32 v43, 1, v44
                                        ; implicit-def: $vgpr44
; %bb.96:                               ;   in Loop: Header=BB86_2 Depth=1
	s_or_saveexec_b32 s8, s8
	v_mov_b32_e32 v45, v40
	s_xor_b32 exec_lo, exec_lo, s8
	s_cbranch_execz .LBB86_1
; %bb.97:                               ;   in Loop: Header=BB86_2 Depth=1
	ds_load_u8 v45, v41 offset:1
	s_wait_dscnt 0x1
	v_dual_mov_b32 v42, v39 :: v_dual_add_nc_u32 v41, 1, v41
	v_mov_b32_e32 v43, v44
	s_branch .LBB86_1
.LBB86_98:
	s_add_nc_u64 s[0:1], s[14:15], s[16:17]
	s_wait_alu 0xfffe
	v_add_co_u32 v0, s0, s0, v0
	s_wait_alu 0xf1ff
	v_add_co_ci_u32_e64 v1, null, s1, 0, s0
	s_clause 0x3
	global_store_b8 v[0:1], v35, off
	global_store_b8 v[0:1], v36, off offset:64
	global_store_b8 v[0:1], v37, off offset:128
	;; [unrolled: 1-line block ×3, first 2 shown]
	s_endpgm
	.section	.rodata,"a",@progbits
	.p2align	6, 0x0
	.amdhsa_kernel _Z16sort_keys_kernelIhLj64ELj4EN10test_utils4lessELj10EEvPKT_PS2_T2_
		.amdhsa_group_segment_fixed_size 257
		.amdhsa_private_segment_fixed_size 0
		.amdhsa_kernarg_size 20
		.amdhsa_user_sgpr_count 2
		.amdhsa_user_sgpr_dispatch_ptr 0
		.amdhsa_user_sgpr_queue_ptr 0
		.amdhsa_user_sgpr_kernarg_segment_ptr 1
		.amdhsa_user_sgpr_dispatch_id 0
		.amdhsa_user_sgpr_private_segment_size 0
		.amdhsa_wavefront_size32 1
		.amdhsa_uses_dynamic_stack 0
		.amdhsa_enable_private_segment 0
		.amdhsa_system_sgpr_workgroup_id_x 1
		.amdhsa_system_sgpr_workgroup_id_y 0
		.amdhsa_system_sgpr_workgroup_id_z 0
		.amdhsa_system_sgpr_workgroup_info 0
		.amdhsa_system_vgpr_workitem_id 0
		.amdhsa_next_free_vgpr 49
		.amdhsa_next_free_sgpr 18
		.amdhsa_reserve_vcc 1
		.amdhsa_float_round_mode_32 0
		.amdhsa_float_round_mode_16_64 0
		.amdhsa_float_denorm_mode_32 3
		.amdhsa_float_denorm_mode_16_64 3
		.amdhsa_fp16_overflow 0
		.amdhsa_workgroup_processor_mode 1
		.amdhsa_memory_ordered 1
		.amdhsa_forward_progress 1
		.amdhsa_inst_pref_size 48
		.amdhsa_round_robin_scheduling 0
		.amdhsa_exception_fp_ieee_invalid_op 0
		.amdhsa_exception_fp_denorm_src 0
		.amdhsa_exception_fp_ieee_div_zero 0
		.amdhsa_exception_fp_ieee_overflow 0
		.amdhsa_exception_fp_ieee_underflow 0
		.amdhsa_exception_fp_ieee_inexact 0
		.amdhsa_exception_int_div_zero 0
	.end_amdhsa_kernel
	.section	.text._Z16sort_keys_kernelIhLj64ELj4EN10test_utils4lessELj10EEvPKT_PS2_T2_,"axG",@progbits,_Z16sort_keys_kernelIhLj64ELj4EN10test_utils4lessELj10EEvPKT_PS2_T2_,comdat
.Lfunc_end86:
	.size	_Z16sort_keys_kernelIhLj64ELj4EN10test_utils4lessELj10EEvPKT_PS2_T2_, .Lfunc_end86-_Z16sort_keys_kernelIhLj64ELj4EN10test_utils4lessELj10EEvPKT_PS2_T2_
                                        ; -- End function
	.set _Z16sort_keys_kernelIhLj64ELj4EN10test_utils4lessELj10EEvPKT_PS2_T2_.num_vgpr, 49
	.set _Z16sort_keys_kernelIhLj64ELj4EN10test_utils4lessELj10EEvPKT_PS2_T2_.num_agpr, 0
	.set _Z16sort_keys_kernelIhLj64ELj4EN10test_utils4lessELj10EEvPKT_PS2_T2_.numbered_sgpr, 18
	.set _Z16sort_keys_kernelIhLj64ELj4EN10test_utils4lessELj10EEvPKT_PS2_T2_.num_named_barrier, 0
	.set _Z16sort_keys_kernelIhLj64ELj4EN10test_utils4lessELj10EEvPKT_PS2_T2_.private_seg_size, 0
	.set _Z16sort_keys_kernelIhLj64ELj4EN10test_utils4lessELj10EEvPKT_PS2_T2_.uses_vcc, 1
	.set _Z16sort_keys_kernelIhLj64ELj4EN10test_utils4lessELj10EEvPKT_PS2_T2_.uses_flat_scratch, 0
	.set _Z16sort_keys_kernelIhLj64ELj4EN10test_utils4lessELj10EEvPKT_PS2_T2_.has_dyn_sized_stack, 0
	.set _Z16sort_keys_kernelIhLj64ELj4EN10test_utils4lessELj10EEvPKT_PS2_T2_.has_recursion, 0
	.set _Z16sort_keys_kernelIhLj64ELj4EN10test_utils4lessELj10EEvPKT_PS2_T2_.has_indirect_call, 0
	.section	.AMDGPU.csdata,"",@progbits
; Kernel info:
; codeLenInByte = 6116
; TotalNumSgprs: 20
; NumVgprs: 49
; ScratchSize: 0
; MemoryBound: 0
; FloatMode: 240
; IeeeMode: 1
; LDSByteSize: 257 bytes/workgroup (compile time only)
; SGPRBlocks: 0
; VGPRBlocks: 6
; NumSGPRsForWavesPerEU: 20
; NumVGPRsForWavesPerEU: 49
; Occupancy: 16
; WaveLimiterHint : 0
; COMPUTE_PGM_RSRC2:SCRATCH_EN: 0
; COMPUTE_PGM_RSRC2:USER_SGPR: 2
; COMPUTE_PGM_RSRC2:TRAP_HANDLER: 0
; COMPUTE_PGM_RSRC2:TGID_X_EN: 1
; COMPUTE_PGM_RSRC2:TGID_Y_EN: 0
; COMPUTE_PGM_RSRC2:TGID_Z_EN: 0
; COMPUTE_PGM_RSRC2:TIDIG_COMP_CNT: 0
	.section	.text._Z17sort_pairs_kernelIhLj64ELj4EN10test_utils4lessELj10EEvPKT_PS2_T2_,"axG",@progbits,_Z17sort_pairs_kernelIhLj64ELj4EN10test_utils4lessELj10EEvPKT_PS2_T2_,comdat
	.protected	_Z17sort_pairs_kernelIhLj64ELj4EN10test_utils4lessELj10EEvPKT_PS2_T2_ ; -- Begin function _Z17sort_pairs_kernelIhLj64ELj4EN10test_utils4lessELj10EEvPKT_PS2_T2_
	.globl	_Z17sort_pairs_kernelIhLj64ELj4EN10test_utils4lessELj10EEvPKT_PS2_T2_
	.p2align	8
	.type	_Z17sort_pairs_kernelIhLj64ELj4EN10test_utils4lessELj10EEvPKT_PS2_T2_,@function
_Z17sort_pairs_kernelIhLj64ELj4EN10test_utils4lessELj10EEvPKT_PS2_T2_: ; @_Z17sort_pairs_kernelIhLj64ELj4EN10test_utils4lessELj10EEvPKT_PS2_T2_
; %bb.0:
	s_load_b128 s[16:19], s[0:1], 0x0
	s_lshl_b32 s20, ttmp9, 8
	s_mov_b32 s21, 0
	v_lshlrev_b32_e32 v1, 2, v0
	s_delay_alu instid0(VALU_DEP_1)
	v_and_b32_e32 v2, 0xf8, v1
	v_and_b32_e32 v3, 0xf0, v1
	;; [unrolled: 1-line block ×5, first 2 shown]
	v_or_b32_e32 v9, 4, v2
	v_add_nc_u32_e32 v10, 8, v2
	v_or_b32_e32 v11, 8, v3
	v_add_nc_u32_e32 v12, 16, v3
	v_and_b32_e32 v5, 0xc0, v1
	v_or_b32_e32 v13, 16, v4
	v_sub_nc_u32_e32 v34, v10, v9
	s_wait_kmcnt 0x0
	s_add_nc_u64 s[0:1], s[16:17], s[20:21]
	v_add_nc_u32_e32 v14, 32, v4
	s_clause 0x3
	global_load_u8 v41, v0, s[0:1]
	global_load_u8 v40, v0, s[0:1] offset:64
	global_load_u8 v42, v0, s[0:1] offset:128
	;; [unrolled: 1-line block ×3, first 2 shown]
	v_sub_nc_u32_e32 v24, v9, v2
	v_sub_nc_u32_e32 v35, v12, v11
	;; [unrolled: 1-line block ×3, first 2 shown]
	v_cmp_ge_i32_e64 s0, v29, v34
	v_and_b32_e32 v31, 28, v1
	v_and_b32_e32 v6, 0x80, v1
	v_or_b32_e32 v15, 32, v5
	v_add_nc_u32_e32 v16, 64, v5
	v_add_nc_u32_e32 v19, v9, v29
	v_sub_nc_u32_e32 v25, v11, v3
	v_sub_nc_u32_e32 v36, v14, v13
	v_min_i32_e32 v24, v29, v24
	v_sub_nc_u32_e32 v44, v30, v35
	v_cndmask_b32_e64 v29, 0, v43, s0
	v_cmp_ge_i32_e64 s0, v30, v35
	v_and_b32_e32 v32, 60, v1
	v_or_b32_e32 v17, 64, v6
	v_add_nc_u32_e32 v18, 0x80, v6
	v_add_nc_u32_e32 v20, v11, v30
	v_sub_nc_u32_e32 v26, v13, v4
	v_sub_nc_u32_e32 v37, v16, v15
	v_min_i32_e32 v25, v30, v25
	v_sub_nc_u32_e32 v45, v31, v36
	s_wait_alu 0xf1ff
	v_cndmask_b32_e64 v30, 0, v44, s0
	v_cmp_ge_i32_e64 s0, v31, v36
	v_and_b32_e32 v33, 0x7c, v1
	v_add_nc_u32_e32 v21, v13, v31
	v_sub_nc_u32_e32 v27, v15, v5
	v_sub_nc_u32_e32 v38, v18, v17
	v_min_i32_e32 v26, v31, v26
	v_sub_nc_u32_e32 v46, v32, v37
	s_wait_alu 0xf1ff
	v_cndmask_b32_e64 v31, 0, v45, s0
	v_cmp_ge_i32_e64 s0, v32, v37
	v_add_nc_u32_e32 v22, v15, v32
	v_sub_nc_u32_e32 v28, v17, v6
	v_min_i32_e32 v27, v32, v27
	v_sub_nc_u32_e32 v47, v33, v38
	s_wait_alu 0xf1ff
	v_cndmask_b32_e64 v32, 0, v46, s0
	v_cmp_ge_i32_e64 s0, v33, v38
	v_add_nc_u32_e32 v23, v17, v33
	v_min_i32_e32 v28, v33, v28
	v_subrev_nc_u32_e64 v7, 0x80, v1 clamp
	v_min_i32_e32 v8, 0x80, v1
	s_wait_alu 0xf1ff
	v_cndmask_b32_e64 v33, 0, v47, s0
	v_cmp_lt_i32_e64 s0, v29, v24
	v_cmp_lt_i32_e64 s1, v30, v25
	;; [unrolled: 1-line block ×5, first 2 shown]
	v_add_nc_u32_e32 v34, 0x80, v1
	s_mov_b32 s16, s21
	v_cmp_lt_i32_e32 vcc_lo, v7, v8
	s_wait_loadcnt 0x3
	v_add_nc_u16 v38, v41, 1
	s_wait_loadcnt 0x2
	v_add_nc_u16 v37, v40, 1
	;; [unrolled: 2-line block ×4, first 2 shown]
	s_branch .LBB87_2
.LBB87_1:                               ;   in Loop: Header=BB87_2 Depth=1
	s_or_b32 exec_lo, exec_lo, s8
	s_wait_dscnt 0x0
	s_delay_alu instid0(VALU_DEP_1)
	v_and_b32_e32 v54, 0xff, v51
	v_and_b32_e32 v55, 0xff, v53
	v_cmp_le_i32_e64 s8, 0x80, v50
	v_cmp_gt_i32_e64 s10, 0x100, v49
	v_cndmask_b32_e64 v44, v39, v44, s5
	v_cndmask_b32_e64 v47, v47, v48, s6
	v_cmp_lt_u16_e64 s9, v55, v54
	s_wait_loadcnt 0x0
	s_barrier_signal -1
	s_barrier_wait -1
	global_inv scope:SCOPE_SE
	s_or_b32 s8, s8, s9
	ds_store_b8 v1, v35
	ds_store_b8 v1, v37 offset:1
	ds_store_b8 v1, v38 offset:2
	;; [unrolled: 1-line block ×3, first 2 shown]
	s_wait_alu 0xfffe
	s_and_b32 s8, s10, s8
	s_wait_loadcnt_dscnt 0x0
	s_wait_alu 0xfffe
	v_cndmask_b32_e64 v48, v50, v49, s8
	s_barrier_signal -1
	s_barrier_wait -1
	global_inv scope:SCOPE_SE
	ds_load_u8 v38, v44
	ds_load_u8 v35, v52
	;; [unrolled: 1-line block ×4, first 2 shown]
	v_cndmask_b32_e64 v39, v51, v53, s8
	v_cndmask_b32_e64 v41, v40, v41, s5
	;; [unrolled: 1-line block ×4, first 2 shown]
	s_add_co_i32 s16, s16, 1
	s_delay_alu instid0(SALU_CYCLE_1)
	s_cmp_eq_u32 s16, 10
	s_cbranch_scc1 .LBB87_98
.LBB87_2:                               ; =>This Loop Header: Depth=1
                                        ;     Child Loop BB87_4 Depth 2
                                        ;     Child Loop BB87_20 Depth 2
	;; [unrolled: 1-line block ×6, first 2 shown]
	s_delay_alu instid0(VALU_DEP_1)
	v_perm_b32 v39, v42, v39, 0xc0c0004
	v_perm_b32 v42, v40, v41, 0xc0c0004
	;; [unrolled: 1-line block ×3, first 2 shown]
	v_and_b32_e32 v41, 0xff, v41
	v_and_b32_e32 v40, 0xff, v40
	v_lshlrev_b32_e32 v39, 16, v39
	s_barrier_signal -1
	s_barrier_wait -1
	s_delay_alu instid0(VALU_DEP_2) | instskip(NEXT) | instid1(VALU_DEP_2)
	v_cmp_lt_u16_e64 s5, v40, v41
	v_or_b32_e32 v42, v42, v39
	v_or_b32_e32 v39, v43, v39
	global_inv scope:SCOPE_SE
	s_wait_alu 0xf1ff
	v_cndmask_b32_e64 v39, v39, v42, s5
	s_delay_alu instid0(VALU_DEP_1) | instskip(SKIP_1) | instid1(VALU_DEP_2)
	v_lshrrev_b32_e32 v40, 16, v39
	v_lshrrev_b32_e32 v42, 24, v39
	v_perm_b32 v41, 0, v40, 0xc0c0001
	v_and_b32_e32 v40, 0xff, v40
	s_delay_alu instid0(VALU_DEP_2) | instskip(NEXT) | instid1(VALU_DEP_2)
	v_lshlrev_b32_e32 v41, 16, v41
	v_cmp_lt_u16_e64 s6, v42, v40
	v_min_u16 v40, v42, v40
	s_delay_alu instid0(VALU_DEP_3) | instskip(NEXT) | instid1(VALU_DEP_2)
	v_and_or_b32 v41, 0xffff, v39, v41
	v_lshlrev_b16 v42, 8, v40
	s_wait_alu 0xf1ff
	s_delay_alu instid0(VALU_DEP_2) | instskip(NEXT) | instid1(VALU_DEP_1)
	v_cndmask_b32_e64 v39, v39, v41, s6
	v_lshrrev_b32_e32 v41, 16, v39
	v_lshrrev_b16 v43, 8, v39
	v_and_b32_e32 v44, 0xff, v39
	s_delay_alu instid0(VALU_DEP_3) | instskip(NEXT) | instid1(VALU_DEP_2)
	v_and_b32_e32 v41, 0xffffff00, v41
	v_or_b32_e32 v42, v44, v42
	s_delay_alu instid0(VALU_DEP_2) | instskip(SKIP_1) | instid1(VALU_DEP_3)
	v_or_b32_e32 v41, v43, v41
	v_lshrrev_b32_e32 v43, 8, v39
	v_and_b32_e32 v42, 0xffff, v42
	s_delay_alu instid0(VALU_DEP_3) | instskip(NEXT) | instid1(VALU_DEP_3)
	v_lshlrev_b32_e32 v41, 16, v41
	v_and_b32_e32 v43, 0xff, v43
	s_delay_alu instid0(VALU_DEP_2) | instskip(NEXT) | instid1(VALU_DEP_2)
	v_or_b32_e32 v41, v42, v41
	v_cmp_lt_u16_e64 s7, v40, v43
	v_min_u16 v40, v40, v43
	s_wait_alu 0xf1ff
	s_delay_alu instid0(VALU_DEP_2) | instskip(NEXT) | instid1(VALU_DEP_1)
	v_cndmask_b32_e64 v39, v39, v41, s7
	v_lshlrev_b16 v41, 8, v39
	v_and_b32_e32 v42, 0xff, v39
	s_delay_alu instid0(VALU_DEP_2) | instskip(NEXT) | instid1(VALU_DEP_2)
	v_or_b32_e32 v41, v40, v41
	v_cmp_lt_u16_e64 s9, v40, v42
	s_delay_alu instid0(VALU_DEP_2) | instskip(NEXT) | instid1(VALU_DEP_1)
	v_and_b32_e32 v41, 0xffff, v41
	v_and_or_b32 v41, 0xffff0000, v39, v41
	s_wait_alu 0xf1ff
	s_delay_alu instid0(VALU_DEP_1) | instskip(NEXT) | instid1(VALU_DEP_1)
	v_cndmask_b32_e64 v39, v39, v41, s9
	v_lshrrev_b32_e32 v40, 16, v39
	v_lshrrev_b32_e32 v42, 24, v39
	s_delay_alu instid0(VALU_DEP_2) | instskip(SKIP_1) | instid1(VALU_DEP_2)
	v_perm_b32 v41, 0, v40, 0xc0c0001
	v_and_b32_e32 v40, 0xff, v40
	v_lshlrev_b32_e32 v41, 16, v41
	s_delay_alu instid0(VALU_DEP_2) | instskip(SKIP_1) | instid1(VALU_DEP_3)
	v_cmp_lt_u16_e64 s8, v42, v40
	v_min_u16 v40, v42, v40
	v_and_or_b32 v41, 0xffff, v39, v41
	s_delay_alu instid0(VALU_DEP_2) | instskip(SKIP_1) | instid1(VALU_DEP_2)
	v_lshlrev_b16 v42, 8, v40
	s_wait_alu 0xf1ff
	v_cndmask_b32_e64 v39, v39, v41, s8
	s_delay_alu instid0(VALU_DEP_1) | instskip(SKIP_2) | instid1(VALU_DEP_3)
	v_lshrrev_b32_e32 v41, 16, v39
	v_lshrrev_b16 v43, 8, v39
	v_and_b32_e32 v44, 0xff, v39
	v_and_b32_e32 v41, 0xffffff00, v41
	s_delay_alu instid0(VALU_DEP_2) | instskip(NEXT) | instid1(VALU_DEP_2)
	v_or_b32_e32 v42, v44, v42
	v_or_b32_e32 v41, v43, v41
	v_lshrrev_b32_e32 v43, 8, v39
	s_delay_alu instid0(VALU_DEP_3) | instskip(NEXT) | instid1(VALU_DEP_3)
	v_and_b32_e32 v42, 0xffff, v42
	v_lshlrev_b32_e32 v41, 16, v41
	s_delay_alu instid0(VALU_DEP_3) | instskip(NEXT) | instid1(VALU_DEP_2)
	v_and_b32_e32 v43, 0xff, v43
	v_or_b32_e32 v41, v42, v41
	s_delay_alu instid0(VALU_DEP_2) | instskip(SKIP_1) | instid1(VALU_DEP_1)
	v_cmp_lt_u16_e64 s10, v40, v43
	s_wait_alu 0xf1ff
	v_cndmask_b32_e64 v40, v39, v41, s10
	v_mov_b32_e32 v39, v29
	ds_store_b32 v1, v40
	s_wait_loadcnt_dscnt 0x0
	s_barrier_signal -1
	s_barrier_wait -1
	global_inv scope:SCOPE_SE
	s_and_saveexec_b32 s12, s0
	s_cbranch_execz .LBB87_6
; %bb.3:                                ;   in Loop: Header=BB87_2 Depth=1
	v_dual_mov_b32 v39, v29 :: v_dual_mov_b32 v40, v24
	s_mov_b32 s13, 0
.LBB87_4:                               ;   Parent Loop BB87_2 Depth=1
                                        ; =>  This Inner Loop Header: Depth=2
	s_delay_alu instid0(VALU_DEP_1) | instskip(NEXT) | instid1(VALU_DEP_1)
	v_sub_nc_u32_e32 v41, v40, v39
	v_lshrrev_b32_e32 v41, 1, v41
	s_delay_alu instid0(VALU_DEP_1) | instskip(NEXT) | instid1(VALU_DEP_1)
	v_add_nc_u32_e32 v41, v41, v39
	v_add_nc_u32_e32 v42, v2, v41
	v_xad_u32 v43, v41, -1, v19
	v_add_nc_u32_e32 v44, 1, v41
	ds_load_u8 v42, v42
	ds_load_u8 v43, v43
	s_wait_dscnt 0x0
	v_cmp_lt_u16_e64 s11, v43, v42
	s_wait_alu 0xf1ff
	s_delay_alu instid0(VALU_DEP_1) | instskip(SKIP_1) | instid1(VALU_DEP_1)
	v_cndmask_b32_e64 v40, v40, v41, s11
	v_cndmask_b32_e64 v39, v44, v39, s11
	v_cmp_ge_i32_e64 s11, v39, v40
	s_wait_alu 0xfffe
	s_or_b32 s13, s11, s13
	s_wait_alu 0xfffe
	s_and_not1_b32 exec_lo, exec_lo, s13
	s_cbranch_execnz .LBB87_4
; %bb.5:                                ;   in Loop: Header=BB87_2 Depth=1
	s_or_b32 exec_lo, exec_lo, s13
.LBB87_6:                               ;   in Loop: Header=BB87_2 Depth=1
	s_wait_alu 0xfffe
	s_or_b32 exec_lo, exec_lo, s12
	v_add_nc_u32_e32 v43, v39, v2
	v_sub_nc_u32_e32 v44, v19, v39
	ds_load_u8 v39, v43
	ds_load_u8 v40, v44
	v_cmp_le_i32_e64 s11, v9, v43
	v_cmp_gt_i32_e64 s13, v10, v44
	s_wait_dscnt 0x1
	v_and_b32_e32 v41, 0xff, v39
	s_wait_dscnt 0x0
	v_and_b32_e32 v42, 0xff, v40
	s_delay_alu instid0(VALU_DEP_1)
	v_cmp_lt_u16_e64 s12, v42, v41
                                        ; implicit-def: $vgpr41
	s_or_b32 s11, s11, s12
	s_wait_alu 0xfffe
	s_and_b32 s11, s13, s11
	s_wait_alu 0xfffe
	s_xor_b32 s12, s11, -1
	s_wait_alu 0xfffe
	s_and_saveexec_b32 s13, s12
	s_wait_alu 0xfffe
	s_xor_b32 s12, exec_lo, s13
; %bb.7:                                ;   in Loop: Header=BB87_2 Depth=1
	ds_load_u8 v41, v43 offset:1
; %bb.8:                                ;   in Loop: Header=BB87_2 Depth=1
	s_wait_alu 0xfffe
	s_or_saveexec_b32 s12, s12
	v_mov_b32_e32 v42, v40
	s_wait_alu 0xfffe
	s_xor_b32 exec_lo, exec_lo, s12
	s_cbranch_execz .LBB87_10
; %bb.9:                                ;   in Loop: Header=BB87_2 Depth=1
	ds_load_u8 v42, v44 offset:1
	s_wait_dscnt 0x1
	v_mov_b32_e32 v41, v39
.LBB87_10:                              ;   in Loop: Header=BB87_2 Depth=1
	s_or_b32 exec_lo, exec_lo, s12
	v_add_nc_u32_e32 v45, 1, v43
	v_add_nc_u32_e32 v46, 1, v44
	s_wait_dscnt 0x0
	v_and_b32_e32 v49, 0xff, v41
	s_delay_alu instid0(VALU_DEP_3) | instskip(SKIP_2) | instid1(VALU_DEP_3)
	v_cndmask_b32_e64 v47, v45, v43, s11
	v_and_b32_e32 v45, 0xff, v42
	v_cndmask_b32_e64 v48, v44, v46, s11
	v_cmp_ge_i32_e64 s12, v47, v9
	s_delay_alu instid0(VALU_DEP_3) | instskip(NEXT) | instid1(VALU_DEP_3)
	v_cmp_lt_u16_e64 s13, v45, v49
	v_cmp_lt_i32_e64 s14, v48, v10
                                        ; implicit-def: $vgpr45
	s_or_b32 s12, s12, s13
	s_wait_alu 0xfffe
	s_and_b32 s12, s14, s12
	s_wait_alu 0xfffe
	s_xor_b32 s13, s12, -1
	s_wait_alu 0xfffe
	s_and_saveexec_b32 s14, s13
	s_delay_alu instid0(SALU_CYCLE_1)
	s_xor_b32 s13, exec_lo, s14
; %bb.11:                               ;   in Loop: Header=BB87_2 Depth=1
	ds_load_u8 v45, v47 offset:1
; %bb.12:                               ;   in Loop: Header=BB87_2 Depth=1
	s_wait_alu 0xfffe
	s_or_saveexec_b32 s13, s13
	v_mov_b32_e32 v46, v42
	s_wait_alu 0xfffe
	s_xor_b32 exec_lo, exec_lo, s13
	s_cbranch_execz .LBB87_14
; %bb.13:                               ;   in Loop: Header=BB87_2 Depth=1
	ds_load_u8 v46, v48 offset:1
	s_wait_dscnt 0x1
	v_mov_b32_e32 v45, v41
.LBB87_14:                              ;   in Loop: Header=BB87_2 Depth=1
	s_or_b32 exec_lo, exec_lo, s13
	v_add_nc_u32_e32 v49, 1, v47
	v_add_nc_u32_e32 v50, 1, v48
	s_wait_dscnt 0x0
	v_and_b32_e32 v52, 0xff, v45
	s_delay_alu instid0(VALU_DEP_3) | instskip(SKIP_2) | instid1(VALU_DEP_3)
	v_cndmask_b32_e64 v51, v49, v47, s12
	v_and_b32_e32 v49, 0xff, v46
	v_cndmask_b32_e64 v50, v48, v50, s12
	v_cmp_ge_i32_e64 s13, v51, v9
	s_delay_alu instid0(VALU_DEP_3) | instskip(NEXT) | instid1(VALU_DEP_3)
	v_cmp_lt_u16_e64 s14, v49, v52
	v_cmp_lt_i32_e64 s15, v50, v10
                                        ; implicit-def: $vgpr49
	s_or_b32 s13, s13, s14
	s_wait_alu 0xfffe
	s_and_b32 s13, s15, s13
	s_wait_alu 0xfffe
	s_xor_b32 s14, s13, -1
	s_delay_alu instid0(SALU_CYCLE_1) | instskip(NEXT) | instid1(SALU_CYCLE_1)
	s_and_saveexec_b32 s15, s14
	s_xor_b32 s14, exec_lo, s15
; %bb.15:                               ;   in Loop: Header=BB87_2 Depth=1
	ds_load_u8 v49, v51 offset:1
; %bb.16:                               ;   in Loop: Header=BB87_2 Depth=1
	s_or_saveexec_b32 s14, s14
	v_mov_b32_e32 v52, v46
	s_xor_b32 exec_lo, exec_lo, s14
	s_cbranch_execz .LBB87_18
; %bb.17:                               ;   in Loop: Header=BB87_2 Depth=1
	ds_load_u8 v52, v50 offset:1
	s_wait_dscnt 0x1
	v_mov_b32_e32 v49, v45
.LBB87_18:                              ;   in Loop: Header=BB87_2 Depth=1
	s_or_b32 exec_lo, exec_lo, s14
	v_perm_b32 v53, v37, v38, 0xc0c0004
	v_perm_b32 v37, v38, v37, 0xc0c0004
	;; [unrolled: 1-line block ×3, first 2 shown]
	v_add_nc_u32_e32 v38, 1, v51
	v_cndmask_b32_e64 v47, v47, v48, s12
	v_cndmask_b32_e64 v43, v43, v44, s11
	;; [unrolled: 1-line block ×3, first 2 shown]
	v_perm_b32 v37, 0, v35, 0xc0c0001
	s_wait_dscnt 0x0
	v_and_b32_e32 v44, 0xff, v49
	v_and_b32_e32 v48, 0xff, v52
	v_cndmask_b32_e64 v38, v38, v51, s13
	v_lshl_or_b32 v35, v35, 16, v36
	v_lshlrev_b32_e32 v36, 16, v37
	v_add_nc_u32_e32 v37, 1, v50
	v_cmp_lt_u16_e64 s5, v48, v44
	v_cndmask_b32_e64 v53, v51, v50, s13
	s_wait_loadcnt 0x0
	v_and_or_b32 v36, 0xffff, v35, v36
	s_barrier_signal -1
	s_barrier_wait -1
	global_inv scope:SCOPE_SE
	v_cndmask_b32_e64 v39, v39, v40, s11
	v_cndmask_b32_e64 v35, v35, v36, s6
	v_cmp_ge_i32_e64 s6, v38, v9
	v_cndmask_b32_e64 v41, v41, v42, s12
	s_delay_alu instid0(VALU_DEP_3) | instskip(SKIP_1) | instid1(VALU_DEP_1)
	v_perm_b32 v36, v35, v35, 0x7050604
	s_or_b32 s5, s6, s5
	v_cndmask_b32_e64 v35, v35, v36, s7
	s_delay_alu instid0(VALU_DEP_1) | instskip(NEXT) | instid1(VALU_DEP_1)
	v_perm_b32 v36, 0, v35, 0xc0c0001
	v_and_or_b32 v36, 0xffff0000, v35, v36
	s_delay_alu instid0(VALU_DEP_1) | instskip(NEXT) | instid1(VALU_DEP_1)
	v_cndmask_b32_e64 v35, v35, v36, s9
	v_lshrrev_b32_e32 v36, 16, v35
	s_delay_alu instid0(VALU_DEP_1) | instskip(NEXT) | instid1(VALU_DEP_1)
	v_perm_b32 v36, 0, v36, 0xc0c0001
	v_lshlrev_b32_e32 v36, 16, v36
	s_delay_alu instid0(VALU_DEP_1) | instskip(NEXT) | instid1(VALU_DEP_1)
	v_and_or_b32 v36, 0xffff, v35, v36
	v_cndmask_b32_e64 v35, v35, v36, s8
	v_cndmask_b32_e64 v36, v50, v37, s13
	s_delay_alu instid0(VALU_DEP_2) | instskip(NEXT) | instid1(VALU_DEP_2)
	v_perm_b32 v37, v35, v35, 0x7050604
	v_cmp_lt_i32_e64 s7, v36, v10
	s_delay_alu instid0(VALU_DEP_2)
	v_cndmask_b32_e64 v35, v35, v37, s10
	s_wait_alu 0xfffe
	s_and_b32 s5, s7, s5
	s_wait_alu 0xfffe
	v_cndmask_b32_e64 v36, v38, v36, s5
	v_cndmask_b32_e64 v44, v49, v52, s5
	ds_store_b32 v1, v35
	s_wait_loadcnt_dscnt 0x0
	s_barrier_signal -1
	s_barrier_wait -1
	global_inv scope:SCOPE_SE
	ds_load_u8 v35, v43
	ds_load_u8 v36, v36
	;; [unrolled: 1-line block ×4, first 2 shown]
	v_cndmask_b32_e64 v43, v45, v46, s13
	s_wait_loadcnt_dscnt 0x0
	s_barrier_signal -1
	s_barrier_wait -1
	global_inv scope:SCOPE_SE
	ds_store_b8 v1, v39
	ds_store_b8 v1, v41 offset:1
	ds_store_b8 v1, v43 offset:2
	;; [unrolled: 1-line block ×3, first 2 shown]
	v_mov_b32_e32 v39, v30
	s_wait_loadcnt_dscnt 0x0
	s_barrier_signal -1
	s_barrier_wait -1
	global_inv scope:SCOPE_SE
	s_and_saveexec_b32 s6, s1
	s_cbranch_execz .LBB87_22
; %bb.19:                               ;   in Loop: Header=BB87_2 Depth=1
	v_dual_mov_b32 v39, v30 :: v_dual_mov_b32 v40, v25
	s_mov_b32 s7, 0
.LBB87_20:                              ;   Parent Loop BB87_2 Depth=1
                                        ; =>  This Inner Loop Header: Depth=2
	s_delay_alu instid0(VALU_DEP_1) | instskip(NEXT) | instid1(VALU_DEP_1)
	v_sub_nc_u32_e32 v41, v40, v39
	v_lshrrev_b32_e32 v41, 1, v41
	s_delay_alu instid0(VALU_DEP_1) | instskip(NEXT) | instid1(VALU_DEP_1)
	v_add_nc_u32_e32 v41, v41, v39
	v_add_nc_u32_e32 v42, v3, v41
	v_xad_u32 v43, v41, -1, v20
	v_add_nc_u32_e32 v44, 1, v41
	ds_load_u8 v42, v42
	ds_load_u8 v43, v43
	s_wait_dscnt 0x0
	v_cmp_lt_u16_e64 s5, v43, v42
	s_wait_alu 0xf1ff
	s_delay_alu instid0(VALU_DEP_1) | instskip(SKIP_1) | instid1(VALU_DEP_1)
	v_cndmask_b32_e64 v40, v40, v41, s5
	v_cndmask_b32_e64 v39, v44, v39, s5
	v_cmp_ge_i32_e64 s5, v39, v40
	s_wait_alu 0xfffe
	s_or_b32 s7, s5, s7
	s_wait_alu 0xfffe
	s_and_not1_b32 exec_lo, exec_lo, s7
	s_cbranch_execnz .LBB87_20
; %bb.21:                               ;   in Loop: Header=BB87_2 Depth=1
	s_or_b32 exec_lo, exec_lo, s7
.LBB87_22:                              ;   in Loop: Header=BB87_2 Depth=1
	s_wait_alu 0xfffe
	s_or_b32 exec_lo, exec_lo, s6
	v_add_nc_u32_e32 v42, v39, v3
	v_sub_nc_u32_e32 v44, v20, v39
	ds_load_u8 v39, v42
	ds_load_u8 v40, v44
	v_cmp_le_i32_e64 s5, v11, v42
	v_cmp_gt_i32_e64 s7, v12, v44
	s_wait_dscnt 0x1
	v_and_b32_e32 v41, 0xff, v39
	s_wait_dscnt 0x0
	v_and_b32_e32 v43, 0xff, v40
	s_delay_alu instid0(VALU_DEP_1)
	v_cmp_lt_u16_e64 s6, v43, v41
                                        ; implicit-def: $vgpr41
	s_or_b32 s5, s5, s6
	s_wait_alu 0xfffe
	s_and_b32 s5, s7, s5
	s_wait_alu 0xfffe
	s_xor_b32 s6, s5, -1
	s_wait_alu 0xfffe
	s_and_saveexec_b32 s7, s6
	s_wait_alu 0xfffe
	s_xor_b32 s6, exec_lo, s7
; %bb.23:                               ;   in Loop: Header=BB87_2 Depth=1
	ds_load_u8 v41, v42 offset:1
; %bb.24:                               ;   in Loop: Header=BB87_2 Depth=1
	s_wait_alu 0xfffe
	s_or_saveexec_b32 s6, s6
	v_mov_b32_e32 v43, v40
	s_wait_alu 0xfffe
	s_xor_b32 exec_lo, exec_lo, s6
	s_cbranch_execz .LBB87_26
; %bb.25:                               ;   in Loop: Header=BB87_2 Depth=1
	ds_load_u8 v43, v44 offset:1
	s_wait_dscnt 0x1
	v_mov_b32_e32 v41, v39
.LBB87_26:                              ;   in Loop: Header=BB87_2 Depth=1
	s_or_b32 exec_lo, exec_lo, s6
	v_add_nc_u32_e32 v45, 1, v42
	v_add_nc_u32_e32 v46, 1, v44
	s_wait_dscnt 0x0
	v_and_b32_e32 v49, 0xff, v41
	s_delay_alu instid0(VALU_DEP_3) | instskip(SKIP_2) | instid1(VALU_DEP_3)
	v_cndmask_b32_e64 v47, v45, v42, s5
	v_and_b32_e32 v45, 0xff, v43
	v_cndmask_b32_e64 v48, v44, v46, s5
	v_cmp_ge_i32_e64 s6, v47, v11
	s_delay_alu instid0(VALU_DEP_3) | instskip(NEXT) | instid1(VALU_DEP_3)
	v_cmp_lt_u16_e64 s7, v45, v49
	v_cmp_lt_i32_e64 s8, v48, v12
                                        ; implicit-def: $vgpr45
	s_or_b32 s6, s6, s7
	s_wait_alu 0xfffe
	s_and_b32 s6, s8, s6
	s_wait_alu 0xfffe
	s_xor_b32 s7, s6, -1
	s_wait_alu 0xfffe
	s_and_saveexec_b32 s8, s7
	s_wait_alu 0xfffe
	s_xor_b32 s7, exec_lo, s8
; %bb.27:                               ;   in Loop: Header=BB87_2 Depth=1
	ds_load_u8 v45, v47 offset:1
; %bb.28:                               ;   in Loop: Header=BB87_2 Depth=1
	s_wait_alu 0xfffe
	s_or_saveexec_b32 s7, s7
	v_mov_b32_e32 v46, v43
	s_wait_alu 0xfffe
	s_xor_b32 exec_lo, exec_lo, s7
	s_cbranch_execz .LBB87_30
; %bb.29:                               ;   in Loop: Header=BB87_2 Depth=1
	ds_load_u8 v46, v48 offset:1
	s_wait_dscnt 0x1
	v_mov_b32_e32 v45, v41
.LBB87_30:                              ;   in Loop: Header=BB87_2 Depth=1
	s_or_b32 exec_lo, exec_lo, s7
	v_add_nc_u32_e32 v49, 1, v47
	v_add_nc_u32_e32 v50, 1, v48
	s_wait_dscnt 0x0
	v_and_b32_e32 v52, 0xff, v45
	s_delay_alu instid0(VALU_DEP_3) | instskip(SKIP_2) | instid1(VALU_DEP_3)
	v_cndmask_b32_e64 v51, v49, v47, s6
	v_and_b32_e32 v49, 0xff, v46
	v_cndmask_b32_e64 v50, v48, v50, s6
	v_cmp_ge_i32_e64 s7, v51, v11
	s_delay_alu instid0(VALU_DEP_3) | instskip(NEXT) | instid1(VALU_DEP_3)
	v_cmp_lt_u16_e64 s8, v49, v52
	v_cmp_lt_i32_e64 s9, v50, v12
                                        ; implicit-def: $vgpr49
	s_or_b32 s7, s7, s8
	s_wait_alu 0xfffe
	s_and_b32 s7, s9, s7
	s_wait_alu 0xfffe
	s_xor_b32 s8, s7, -1
	s_wait_alu 0xfffe
	s_and_saveexec_b32 s9, s8
	s_wait_alu 0xfffe
	s_xor_b32 s8, exec_lo, s9
; %bb.31:                               ;   in Loop: Header=BB87_2 Depth=1
	ds_load_u8 v49, v51 offset:1
; %bb.32:                               ;   in Loop: Header=BB87_2 Depth=1
	s_wait_alu 0xfffe
	s_or_saveexec_b32 s8, s8
	v_mov_b32_e32 v52, v46
	s_wait_alu 0xfffe
	s_xor_b32 exec_lo, exec_lo, s8
	s_cbranch_execz .LBB87_34
; %bb.33:                               ;   in Loop: Header=BB87_2 Depth=1
	ds_load_u8 v52, v50 offset:1
	s_wait_dscnt 0x1
	v_mov_b32_e32 v49, v45
.LBB87_34:                              ;   in Loop: Header=BB87_2 Depth=1
	s_or_b32 exec_lo, exec_lo, s8
	v_add_nc_u32_e32 v53, 1, v51
	v_add_nc_u32_e32 v54, 1, v50
	v_cndmask_b32_e64 v55, v51, v50, s7
	s_wait_dscnt 0x0
	v_and_b32_e32 v56, 0xff, v49
	v_and_b32_e32 v57, 0xff, v52
	v_cndmask_b32_e64 v51, v53, v51, s7
	v_cndmask_b32_e64 v47, v47, v48, s6
	;; [unrolled: 1-line block ×4, first 2 shown]
	v_cmp_lt_u16_e64 s8, v57, v56
	v_cmp_ge_i32_e64 s9, v51, v11
	s_wait_loadcnt 0x0
	v_cmp_lt_i32_e64 s10, v48, v12
	s_barrier_signal -1
	s_barrier_wait -1
	s_or_b32 s8, s9, s8
	global_inv scope:SCOPE_SE
	s_wait_alu 0xfffe
	s_and_b32 s8, s10, s8
	ds_store_b8 v1, v35
	ds_store_b8 v1, v37 offset:1
	ds_store_b8 v1, v38 offset:2
	;; [unrolled: 1-line block ×3, first 2 shown]
	s_wait_alu 0xfffe
	v_cndmask_b32_e64 v48, v51, v48, s8
	s_wait_loadcnt_dscnt 0x0
	s_barrier_signal -1
	s_barrier_wait -1
	global_inv scope:SCOPE_SE
	ds_load_u8 v35, v42
	ds_load_u8 v36, v48
	;; [unrolled: 1-line block ×4, first 2 shown]
	v_cndmask_b32_e64 v39, v39, v40, s5
	v_cndmask_b32_e64 v41, v41, v43, s6
	;; [unrolled: 1-line block ×4, first 2 shown]
	s_wait_loadcnt_dscnt 0x0
	s_barrier_signal -1
	s_barrier_wait -1
	global_inv scope:SCOPE_SE
	ds_store_b8 v1, v39
	ds_store_b8 v1, v41 offset:1
	ds_store_b8 v1, v42 offset:2
	;; [unrolled: 1-line block ×3, first 2 shown]
	v_mov_b32_e32 v39, v31
	s_wait_loadcnt_dscnt 0x0
	s_barrier_signal -1
	s_barrier_wait -1
	global_inv scope:SCOPE_SE
	s_and_saveexec_b32 s6, s2
	s_cbranch_execz .LBB87_38
; %bb.35:                               ;   in Loop: Header=BB87_2 Depth=1
	v_dual_mov_b32 v39, v31 :: v_dual_mov_b32 v40, v26
	s_mov_b32 s7, 0
.LBB87_36:                              ;   Parent Loop BB87_2 Depth=1
                                        ; =>  This Inner Loop Header: Depth=2
	s_delay_alu instid0(VALU_DEP_1) | instskip(NEXT) | instid1(VALU_DEP_1)
	v_sub_nc_u32_e32 v41, v40, v39
	v_lshrrev_b32_e32 v41, 1, v41
	s_delay_alu instid0(VALU_DEP_1) | instskip(NEXT) | instid1(VALU_DEP_1)
	v_add_nc_u32_e32 v41, v41, v39
	v_add_nc_u32_e32 v42, v4, v41
	v_xad_u32 v43, v41, -1, v21
	v_add_nc_u32_e32 v44, 1, v41
	ds_load_u8 v42, v42
	ds_load_u8 v43, v43
	s_wait_dscnt 0x0
	v_cmp_lt_u16_e64 s5, v43, v42
	s_wait_alu 0xf1ff
	s_delay_alu instid0(VALU_DEP_1) | instskip(SKIP_1) | instid1(VALU_DEP_1)
	v_cndmask_b32_e64 v40, v40, v41, s5
	v_cndmask_b32_e64 v39, v44, v39, s5
	v_cmp_ge_i32_e64 s5, v39, v40
	s_wait_alu 0xfffe
	s_or_b32 s7, s5, s7
	s_wait_alu 0xfffe
	s_and_not1_b32 exec_lo, exec_lo, s7
	s_cbranch_execnz .LBB87_36
; %bb.37:                               ;   in Loop: Header=BB87_2 Depth=1
	s_or_b32 exec_lo, exec_lo, s7
.LBB87_38:                              ;   in Loop: Header=BB87_2 Depth=1
	s_wait_alu 0xfffe
	s_or_b32 exec_lo, exec_lo, s6
	v_add_nc_u32_e32 v42, v39, v4
	v_sub_nc_u32_e32 v44, v21, v39
	ds_load_u8 v39, v42
	ds_load_u8 v40, v44
	v_cmp_le_i32_e64 s5, v13, v42
	v_cmp_gt_i32_e64 s7, v14, v44
	s_wait_dscnt 0x1
	v_and_b32_e32 v41, 0xff, v39
	s_wait_dscnt 0x0
	v_and_b32_e32 v43, 0xff, v40
	s_delay_alu instid0(VALU_DEP_1)
	v_cmp_lt_u16_e64 s6, v43, v41
                                        ; implicit-def: $vgpr41
	s_or_b32 s5, s5, s6
	s_wait_alu 0xfffe
	s_and_b32 s5, s7, s5
	s_wait_alu 0xfffe
	s_xor_b32 s6, s5, -1
	s_wait_alu 0xfffe
	s_and_saveexec_b32 s7, s6
	s_wait_alu 0xfffe
	s_xor_b32 s6, exec_lo, s7
; %bb.39:                               ;   in Loop: Header=BB87_2 Depth=1
	ds_load_u8 v41, v42 offset:1
; %bb.40:                               ;   in Loop: Header=BB87_2 Depth=1
	s_wait_alu 0xfffe
	s_or_saveexec_b32 s6, s6
	v_mov_b32_e32 v43, v40
	s_wait_alu 0xfffe
	s_xor_b32 exec_lo, exec_lo, s6
	s_cbranch_execz .LBB87_42
; %bb.41:                               ;   in Loop: Header=BB87_2 Depth=1
	ds_load_u8 v43, v44 offset:1
	s_wait_dscnt 0x1
	v_mov_b32_e32 v41, v39
.LBB87_42:                              ;   in Loop: Header=BB87_2 Depth=1
	s_or_b32 exec_lo, exec_lo, s6
	v_add_nc_u32_e32 v45, 1, v42
	v_add_nc_u32_e32 v46, 1, v44
	s_wait_dscnt 0x0
	v_and_b32_e32 v49, 0xff, v41
	s_delay_alu instid0(VALU_DEP_3) | instskip(SKIP_2) | instid1(VALU_DEP_3)
	v_cndmask_b32_e64 v47, v45, v42, s5
	v_and_b32_e32 v45, 0xff, v43
	v_cndmask_b32_e64 v48, v44, v46, s5
	v_cmp_ge_i32_e64 s6, v47, v13
	s_delay_alu instid0(VALU_DEP_3) | instskip(NEXT) | instid1(VALU_DEP_3)
	v_cmp_lt_u16_e64 s7, v45, v49
	v_cmp_lt_i32_e64 s8, v48, v14
                                        ; implicit-def: $vgpr45
	s_or_b32 s6, s6, s7
	s_wait_alu 0xfffe
	s_and_b32 s6, s8, s6
	s_wait_alu 0xfffe
	s_xor_b32 s7, s6, -1
	s_wait_alu 0xfffe
	s_and_saveexec_b32 s8, s7
	s_wait_alu 0xfffe
	s_xor_b32 s7, exec_lo, s8
; %bb.43:                               ;   in Loop: Header=BB87_2 Depth=1
	ds_load_u8 v45, v47 offset:1
; %bb.44:                               ;   in Loop: Header=BB87_2 Depth=1
	s_wait_alu 0xfffe
	s_or_saveexec_b32 s7, s7
	v_mov_b32_e32 v46, v43
	s_wait_alu 0xfffe
	s_xor_b32 exec_lo, exec_lo, s7
	s_cbranch_execz .LBB87_46
; %bb.45:                               ;   in Loop: Header=BB87_2 Depth=1
	ds_load_u8 v46, v48 offset:1
	s_wait_dscnt 0x1
	v_mov_b32_e32 v45, v41
.LBB87_46:                              ;   in Loop: Header=BB87_2 Depth=1
	s_or_b32 exec_lo, exec_lo, s7
	v_add_nc_u32_e32 v49, 1, v47
	v_add_nc_u32_e32 v50, 1, v48
	s_wait_dscnt 0x0
	v_and_b32_e32 v52, 0xff, v45
	s_delay_alu instid0(VALU_DEP_3) | instskip(SKIP_2) | instid1(VALU_DEP_3)
	v_cndmask_b32_e64 v51, v49, v47, s6
	v_and_b32_e32 v49, 0xff, v46
	v_cndmask_b32_e64 v50, v48, v50, s6
	v_cmp_ge_i32_e64 s7, v51, v13
	s_delay_alu instid0(VALU_DEP_3) | instskip(NEXT) | instid1(VALU_DEP_3)
	v_cmp_lt_u16_e64 s8, v49, v52
	v_cmp_lt_i32_e64 s9, v50, v14
                                        ; implicit-def: $vgpr49
	s_or_b32 s7, s7, s8
	s_wait_alu 0xfffe
	s_and_b32 s7, s9, s7
	s_wait_alu 0xfffe
	s_xor_b32 s8, s7, -1
	s_wait_alu 0xfffe
	s_and_saveexec_b32 s9, s8
	s_wait_alu 0xfffe
	s_xor_b32 s8, exec_lo, s9
; %bb.47:                               ;   in Loop: Header=BB87_2 Depth=1
	ds_load_u8 v49, v51 offset:1
; %bb.48:                               ;   in Loop: Header=BB87_2 Depth=1
	s_wait_alu 0xfffe
	s_or_saveexec_b32 s8, s8
	v_mov_b32_e32 v52, v46
	s_wait_alu 0xfffe
	s_xor_b32 exec_lo, exec_lo, s8
	s_cbranch_execz .LBB87_50
; %bb.49:                               ;   in Loop: Header=BB87_2 Depth=1
	ds_load_u8 v52, v50 offset:1
	s_wait_dscnt 0x1
	v_mov_b32_e32 v49, v45
.LBB87_50:                              ;   in Loop: Header=BB87_2 Depth=1
	s_or_b32 exec_lo, exec_lo, s8
	v_add_nc_u32_e32 v53, 1, v51
	v_add_nc_u32_e32 v54, 1, v50
	v_cndmask_b32_e64 v55, v51, v50, s7
	s_wait_dscnt 0x0
	v_and_b32_e32 v56, 0xff, v49
	v_and_b32_e32 v57, 0xff, v52
	v_cndmask_b32_e64 v51, v53, v51, s7
	v_cndmask_b32_e64 v47, v47, v48, s6
	;; [unrolled: 1-line block ×4, first 2 shown]
	v_cmp_lt_u16_e64 s8, v57, v56
	v_cmp_ge_i32_e64 s9, v51, v13
	s_wait_loadcnt 0x0
	v_cmp_lt_i32_e64 s10, v48, v14
	s_barrier_signal -1
	s_barrier_wait -1
	s_or_b32 s8, s9, s8
	global_inv scope:SCOPE_SE
	s_wait_alu 0xfffe
	s_and_b32 s8, s10, s8
	ds_store_b8 v1, v35
	ds_store_b8 v1, v37 offset:1
	ds_store_b8 v1, v38 offset:2
	;; [unrolled: 1-line block ×3, first 2 shown]
	s_wait_alu 0xfffe
	v_cndmask_b32_e64 v48, v51, v48, s8
	s_wait_loadcnt_dscnt 0x0
	s_barrier_signal -1
	s_barrier_wait -1
	global_inv scope:SCOPE_SE
	ds_load_u8 v35, v42
	ds_load_u8 v36, v48
	;; [unrolled: 1-line block ×4, first 2 shown]
	v_cndmask_b32_e64 v39, v39, v40, s5
	v_cndmask_b32_e64 v41, v41, v43, s6
	v_cndmask_b32_e64 v42, v45, v46, s7
	v_cndmask_b32_e64 v44, v49, v52, s8
	s_wait_loadcnt_dscnt 0x0
	s_barrier_signal -1
	s_barrier_wait -1
	global_inv scope:SCOPE_SE
	ds_store_b8 v1, v39
	ds_store_b8 v1, v41 offset:1
	ds_store_b8 v1, v42 offset:2
	;; [unrolled: 1-line block ×3, first 2 shown]
	v_mov_b32_e32 v39, v32
	s_wait_loadcnt_dscnt 0x0
	s_barrier_signal -1
	s_barrier_wait -1
	global_inv scope:SCOPE_SE
	s_and_saveexec_b32 s6, s3
	s_cbranch_execz .LBB87_54
; %bb.51:                               ;   in Loop: Header=BB87_2 Depth=1
	v_dual_mov_b32 v39, v32 :: v_dual_mov_b32 v40, v27
	s_mov_b32 s7, 0
.LBB87_52:                              ;   Parent Loop BB87_2 Depth=1
                                        ; =>  This Inner Loop Header: Depth=2
	s_delay_alu instid0(VALU_DEP_1) | instskip(NEXT) | instid1(VALU_DEP_1)
	v_sub_nc_u32_e32 v41, v40, v39
	v_lshrrev_b32_e32 v41, 1, v41
	s_delay_alu instid0(VALU_DEP_1) | instskip(NEXT) | instid1(VALU_DEP_1)
	v_add_nc_u32_e32 v41, v41, v39
	v_add_nc_u32_e32 v42, v5, v41
	v_xad_u32 v43, v41, -1, v22
	v_add_nc_u32_e32 v44, 1, v41
	ds_load_u8 v42, v42
	ds_load_u8 v43, v43
	s_wait_dscnt 0x0
	v_cmp_lt_u16_e64 s5, v43, v42
	s_wait_alu 0xf1ff
	s_delay_alu instid0(VALU_DEP_1) | instskip(SKIP_1) | instid1(VALU_DEP_1)
	v_cndmask_b32_e64 v40, v40, v41, s5
	v_cndmask_b32_e64 v39, v44, v39, s5
	v_cmp_ge_i32_e64 s5, v39, v40
	s_wait_alu 0xfffe
	s_or_b32 s7, s5, s7
	s_wait_alu 0xfffe
	s_and_not1_b32 exec_lo, exec_lo, s7
	s_cbranch_execnz .LBB87_52
; %bb.53:                               ;   in Loop: Header=BB87_2 Depth=1
	s_or_b32 exec_lo, exec_lo, s7
.LBB87_54:                              ;   in Loop: Header=BB87_2 Depth=1
	s_wait_alu 0xfffe
	s_or_b32 exec_lo, exec_lo, s6
	v_add_nc_u32_e32 v42, v39, v5
	v_sub_nc_u32_e32 v44, v22, v39
	ds_load_u8 v39, v42
	ds_load_u8 v40, v44
	v_cmp_le_i32_e64 s5, v15, v42
	v_cmp_gt_i32_e64 s7, v16, v44
	s_wait_dscnt 0x1
	v_and_b32_e32 v41, 0xff, v39
	s_wait_dscnt 0x0
	v_and_b32_e32 v43, 0xff, v40
	s_delay_alu instid0(VALU_DEP_1)
	v_cmp_lt_u16_e64 s6, v43, v41
                                        ; implicit-def: $vgpr41
	s_or_b32 s5, s5, s6
	s_wait_alu 0xfffe
	s_and_b32 s5, s7, s5
	s_wait_alu 0xfffe
	s_xor_b32 s6, s5, -1
	s_wait_alu 0xfffe
	s_and_saveexec_b32 s7, s6
	s_wait_alu 0xfffe
	s_xor_b32 s6, exec_lo, s7
; %bb.55:                               ;   in Loop: Header=BB87_2 Depth=1
	ds_load_u8 v41, v42 offset:1
; %bb.56:                               ;   in Loop: Header=BB87_2 Depth=1
	s_wait_alu 0xfffe
	s_or_saveexec_b32 s6, s6
	v_mov_b32_e32 v43, v40
	s_wait_alu 0xfffe
	s_xor_b32 exec_lo, exec_lo, s6
	s_cbranch_execz .LBB87_58
; %bb.57:                               ;   in Loop: Header=BB87_2 Depth=1
	ds_load_u8 v43, v44 offset:1
	s_wait_dscnt 0x1
	v_mov_b32_e32 v41, v39
.LBB87_58:                              ;   in Loop: Header=BB87_2 Depth=1
	s_or_b32 exec_lo, exec_lo, s6
	v_add_nc_u32_e32 v45, 1, v42
	v_add_nc_u32_e32 v46, 1, v44
	s_wait_dscnt 0x0
	v_and_b32_e32 v49, 0xff, v41
	s_delay_alu instid0(VALU_DEP_3) | instskip(SKIP_2) | instid1(VALU_DEP_3)
	v_cndmask_b32_e64 v47, v45, v42, s5
	v_and_b32_e32 v45, 0xff, v43
	v_cndmask_b32_e64 v48, v44, v46, s5
	v_cmp_ge_i32_e64 s6, v47, v15
	s_delay_alu instid0(VALU_DEP_3) | instskip(NEXT) | instid1(VALU_DEP_3)
	v_cmp_lt_u16_e64 s7, v45, v49
	v_cmp_lt_i32_e64 s8, v48, v16
                                        ; implicit-def: $vgpr45
	s_or_b32 s6, s6, s7
	s_wait_alu 0xfffe
	s_and_b32 s6, s8, s6
	s_wait_alu 0xfffe
	s_xor_b32 s7, s6, -1
	s_wait_alu 0xfffe
	s_and_saveexec_b32 s8, s7
	s_wait_alu 0xfffe
	s_xor_b32 s7, exec_lo, s8
; %bb.59:                               ;   in Loop: Header=BB87_2 Depth=1
	ds_load_u8 v45, v47 offset:1
; %bb.60:                               ;   in Loop: Header=BB87_2 Depth=1
	s_wait_alu 0xfffe
	s_or_saveexec_b32 s7, s7
	v_mov_b32_e32 v46, v43
	s_wait_alu 0xfffe
	s_xor_b32 exec_lo, exec_lo, s7
	s_cbranch_execz .LBB87_62
; %bb.61:                               ;   in Loop: Header=BB87_2 Depth=1
	ds_load_u8 v46, v48 offset:1
	s_wait_dscnt 0x1
	v_mov_b32_e32 v45, v41
.LBB87_62:                              ;   in Loop: Header=BB87_2 Depth=1
	s_or_b32 exec_lo, exec_lo, s7
	v_add_nc_u32_e32 v49, 1, v47
	v_add_nc_u32_e32 v50, 1, v48
	s_wait_dscnt 0x0
	v_and_b32_e32 v52, 0xff, v45
	s_delay_alu instid0(VALU_DEP_3) | instskip(SKIP_2) | instid1(VALU_DEP_3)
	v_cndmask_b32_e64 v51, v49, v47, s6
	v_and_b32_e32 v49, 0xff, v46
	v_cndmask_b32_e64 v50, v48, v50, s6
	v_cmp_ge_i32_e64 s7, v51, v15
	s_delay_alu instid0(VALU_DEP_3) | instskip(NEXT) | instid1(VALU_DEP_3)
	v_cmp_lt_u16_e64 s8, v49, v52
	v_cmp_lt_i32_e64 s9, v50, v16
                                        ; implicit-def: $vgpr49
	s_or_b32 s7, s7, s8
	s_wait_alu 0xfffe
	s_and_b32 s7, s9, s7
	s_wait_alu 0xfffe
	s_xor_b32 s8, s7, -1
	s_wait_alu 0xfffe
	s_and_saveexec_b32 s9, s8
	s_wait_alu 0xfffe
	s_xor_b32 s8, exec_lo, s9
; %bb.63:                               ;   in Loop: Header=BB87_2 Depth=1
	ds_load_u8 v49, v51 offset:1
; %bb.64:                               ;   in Loop: Header=BB87_2 Depth=1
	s_wait_alu 0xfffe
	s_or_saveexec_b32 s8, s8
	v_mov_b32_e32 v52, v46
	s_wait_alu 0xfffe
	s_xor_b32 exec_lo, exec_lo, s8
	s_cbranch_execz .LBB87_66
; %bb.65:                               ;   in Loop: Header=BB87_2 Depth=1
	ds_load_u8 v52, v50 offset:1
	s_wait_dscnt 0x1
	v_mov_b32_e32 v49, v45
.LBB87_66:                              ;   in Loop: Header=BB87_2 Depth=1
	s_or_b32 exec_lo, exec_lo, s8
	v_add_nc_u32_e32 v53, 1, v51
	v_add_nc_u32_e32 v54, 1, v50
	v_cndmask_b32_e64 v55, v51, v50, s7
	s_wait_dscnt 0x0
	v_and_b32_e32 v56, 0xff, v49
	v_and_b32_e32 v57, 0xff, v52
	v_cndmask_b32_e64 v51, v53, v51, s7
	v_cndmask_b32_e64 v47, v47, v48, s6
	;; [unrolled: 1-line block ×4, first 2 shown]
	v_cmp_lt_u16_e64 s8, v57, v56
	v_cmp_ge_i32_e64 s9, v51, v15
	s_wait_loadcnt 0x0
	v_cmp_lt_i32_e64 s10, v48, v16
	s_barrier_signal -1
	s_barrier_wait -1
	s_or_b32 s8, s9, s8
	global_inv scope:SCOPE_SE
	s_wait_alu 0xfffe
	s_and_b32 s8, s10, s8
	ds_store_b8 v1, v35
	ds_store_b8 v1, v37 offset:1
	ds_store_b8 v1, v38 offset:2
	;; [unrolled: 1-line block ×3, first 2 shown]
	s_wait_alu 0xfffe
	v_cndmask_b32_e64 v48, v51, v48, s8
	s_wait_loadcnt_dscnt 0x0
	s_barrier_signal -1
	s_barrier_wait -1
	global_inv scope:SCOPE_SE
	ds_load_u8 v35, v42
	ds_load_u8 v36, v48
	;; [unrolled: 1-line block ×4, first 2 shown]
	v_cndmask_b32_e64 v39, v39, v40, s5
	v_cndmask_b32_e64 v41, v41, v43, s6
	v_cndmask_b32_e64 v42, v45, v46, s7
	v_cndmask_b32_e64 v44, v49, v52, s8
	s_wait_loadcnt_dscnt 0x0
	s_barrier_signal -1
	s_barrier_wait -1
	global_inv scope:SCOPE_SE
	ds_store_b8 v1, v39
	ds_store_b8 v1, v41 offset:1
	ds_store_b8 v1, v42 offset:2
	;; [unrolled: 1-line block ×3, first 2 shown]
	v_mov_b32_e32 v39, v33
	s_wait_loadcnt_dscnt 0x0
	s_barrier_signal -1
	s_barrier_wait -1
	global_inv scope:SCOPE_SE
	s_and_saveexec_b32 s6, s4
	s_cbranch_execz .LBB87_70
; %bb.67:                               ;   in Loop: Header=BB87_2 Depth=1
	v_dual_mov_b32 v39, v33 :: v_dual_mov_b32 v40, v28
	s_mov_b32 s7, 0
.LBB87_68:                              ;   Parent Loop BB87_2 Depth=1
                                        ; =>  This Inner Loop Header: Depth=2
	s_delay_alu instid0(VALU_DEP_1) | instskip(NEXT) | instid1(VALU_DEP_1)
	v_sub_nc_u32_e32 v41, v40, v39
	v_lshrrev_b32_e32 v41, 1, v41
	s_delay_alu instid0(VALU_DEP_1) | instskip(NEXT) | instid1(VALU_DEP_1)
	v_add_nc_u32_e32 v41, v41, v39
	v_add_nc_u32_e32 v42, v6, v41
	v_xad_u32 v43, v41, -1, v23
	v_add_nc_u32_e32 v44, 1, v41
	ds_load_u8 v42, v42
	ds_load_u8 v43, v43
	s_wait_dscnt 0x0
	v_cmp_lt_u16_e64 s5, v43, v42
	s_wait_alu 0xf1ff
	s_delay_alu instid0(VALU_DEP_1) | instskip(SKIP_1) | instid1(VALU_DEP_1)
	v_cndmask_b32_e64 v40, v40, v41, s5
	v_cndmask_b32_e64 v39, v44, v39, s5
	v_cmp_ge_i32_e64 s5, v39, v40
	s_wait_alu 0xfffe
	s_or_b32 s7, s5, s7
	s_wait_alu 0xfffe
	s_and_not1_b32 exec_lo, exec_lo, s7
	s_cbranch_execnz .LBB87_68
; %bb.69:                               ;   in Loop: Header=BB87_2 Depth=1
	s_or_b32 exec_lo, exec_lo, s7
.LBB87_70:                              ;   in Loop: Header=BB87_2 Depth=1
	s_wait_alu 0xfffe
	s_or_b32 exec_lo, exec_lo, s6
	v_add_nc_u32_e32 v42, v39, v6
	v_sub_nc_u32_e32 v44, v23, v39
	ds_load_u8 v39, v42
	ds_load_u8 v40, v44
	v_cmp_le_i32_e64 s5, v17, v42
	v_cmp_gt_i32_e64 s7, v18, v44
	s_wait_dscnt 0x1
	v_and_b32_e32 v41, 0xff, v39
	s_wait_dscnt 0x0
	v_and_b32_e32 v43, 0xff, v40
	s_delay_alu instid0(VALU_DEP_1)
	v_cmp_lt_u16_e64 s6, v43, v41
                                        ; implicit-def: $vgpr41
	s_or_b32 s5, s5, s6
	s_wait_alu 0xfffe
	s_and_b32 s5, s7, s5
	s_wait_alu 0xfffe
	s_xor_b32 s6, s5, -1
	s_wait_alu 0xfffe
	s_and_saveexec_b32 s7, s6
	s_wait_alu 0xfffe
	s_xor_b32 s6, exec_lo, s7
; %bb.71:                               ;   in Loop: Header=BB87_2 Depth=1
	ds_load_u8 v41, v42 offset:1
; %bb.72:                               ;   in Loop: Header=BB87_2 Depth=1
	s_wait_alu 0xfffe
	s_or_saveexec_b32 s6, s6
	v_mov_b32_e32 v43, v40
	s_wait_alu 0xfffe
	s_xor_b32 exec_lo, exec_lo, s6
	s_cbranch_execz .LBB87_74
; %bb.73:                               ;   in Loop: Header=BB87_2 Depth=1
	ds_load_u8 v43, v44 offset:1
	s_wait_dscnt 0x1
	v_mov_b32_e32 v41, v39
.LBB87_74:                              ;   in Loop: Header=BB87_2 Depth=1
	s_or_b32 exec_lo, exec_lo, s6
	v_add_nc_u32_e32 v45, 1, v42
	v_add_nc_u32_e32 v46, 1, v44
	s_wait_dscnt 0x0
	v_and_b32_e32 v49, 0xff, v41
	s_delay_alu instid0(VALU_DEP_3) | instskip(SKIP_2) | instid1(VALU_DEP_3)
	v_cndmask_b32_e64 v47, v45, v42, s5
	v_and_b32_e32 v45, 0xff, v43
	v_cndmask_b32_e64 v48, v44, v46, s5
	v_cmp_ge_i32_e64 s6, v47, v17
	s_delay_alu instid0(VALU_DEP_3) | instskip(NEXT) | instid1(VALU_DEP_3)
	v_cmp_lt_u16_e64 s7, v45, v49
	v_cmp_lt_i32_e64 s8, v48, v18
                                        ; implicit-def: $vgpr45
	s_or_b32 s6, s6, s7
	s_wait_alu 0xfffe
	s_and_b32 s6, s8, s6
	s_wait_alu 0xfffe
	s_xor_b32 s7, s6, -1
	s_wait_alu 0xfffe
	s_and_saveexec_b32 s8, s7
	s_wait_alu 0xfffe
	s_xor_b32 s7, exec_lo, s8
; %bb.75:                               ;   in Loop: Header=BB87_2 Depth=1
	ds_load_u8 v45, v47 offset:1
; %bb.76:                               ;   in Loop: Header=BB87_2 Depth=1
	s_wait_alu 0xfffe
	s_or_saveexec_b32 s7, s7
	v_mov_b32_e32 v46, v43
	s_wait_alu 0xfffe
	s_xor_b32 exec_lo, exec_lo, s7
	s_cbranch_execz .LBB87_78
; %bb.77:                               ;   in Loop: Header=BB87_2 Depth=1
	ds_load_u8 v46, v48 offset:1
	s_wait_dscnt 0x1
	v_mov_b32_e32 v45, v41
.LBB87_78:                              ;   in Loop: Header=BB87_2 Depth=1
	s_or_b32 exec_lo, exec_lo, s7
	v_add_nc_u32_e32 v49, 1, v47
	v_add_nc_u32_e32 v50, 1, v48
	s_wait_dscnt 0x0
	v_and_b32_e32 v52, 0xff, v45
	s_delay_alu instid0(VALU_DEP_3) | instskip(SKIP_2) | instid1(VALU_DEP_3)
	v_cndmask_b32_e64 v51, v49, v47, s6
	v_and_b32_e32 v49, 0xff, v46
	v_cndmask_b32_e64 v50, v48, v50, s6
	v_cmp_ge_i32_e64 s7, v51, v17
	s_delay_alu instid0(VALU_DEP_3) | instskip(NEXT) | instid1(VALU_DEP_3)
	v_cmp_lt_u16_e64 s8, v49, v52
	v_cmp_lt_i32_e64 s9, v50, v18
                                        ; implicit-def: $vgpr49
	s_or_b32 s7, s7, s8
	s_wait_alu 0xfffe
	s_and_b32 s7, s9, s7
	s_wait_alu 0xfffe
	s_xor_b32 s8, s7, -1
	s_wait_alu 0xfffe
	s_and_saveexec_b32 s9, s8
	s_wait_alu 0xfffe
	s_xor_b32 s8, exec_lo, s9
; %bb.79:                               ;   in Loop: Header=BB87_2 Depth=1
	ds_load_u8 v49, v51 offset:1
; %bb.80:                               ;   in Loop: Header=BB87_2 Depth=1
	s_wait_alu 0xfffe
	s_or_saveexec_b32 s8, s8
	v_mov_b32_e32 v52, v46
	s_wait_alu 0xfffe
	s_xor_b32 exec_lo, exec_lo, s8
	s_cbranch_execz .LBB87_82
; %bb.81:                               ;   in Loop: Header=BB87_2 Depth=1
	ds_load_u8 v52, v50 offset:1
	s_wait_dscnt 0x1
	v_mov_b32_e32 v49, v45
.LBB87_82:                              ;   in Loop: Header=BB87_2 Depth=1
	s_or_b32 exec_lo, exec_lo, s8
	v_add_nc_u32_e32 v53, 1, v51
	v_add_nc_u32_e32 v54, 1, v50
	v_cndmask_b32_e64 v55, v51, v50, s7
	s_wait_dscnt 0x0
	v_and_b32_e32 v56, 0xff, v49
	v_and_b32_e32 v57, 0xff, v52
	v_cndmask_b32_e64 v51, v53, v51, s7
	v_cndmask_b32_e64 v47, v47, v48, s6
	;; [unrolled: 1-line block ×4, first 2 shown]
	v_cmp_lt_u16_e64 s8, v57, v56
	v_cmp_ge_i32_e64 s9, v51, v17
	s_wait_loadcnt 0x0
	v_cmp_lt_i32_e64 s10, v48, v18
	s_barrier_signal -1
	s_barrier_wait -1
	s_or_b32 s8, s9, s8
	global_inv scope:SCOPE_SE
	s_wait_alu 0xfffe
	s_and_b32 s8, s10, s8
	ds_store_b8 v1, v35
	ds_store_b8 v1, v37 offset:1
	ds_store_b8 v1, v38 offset:2
	;; [unrolled: 1-line block ×3, first 2 shown]
	s_wait_alu 0xfffe
	v_cndmask_b32_e64 v48, v51, v48, s8
	s_wait_loadcnt_dscnt 0x0
	s_barrier_signal -1
	s_barrier_wait -1
	global_inv scope:SCOPE_SE
	ds_load_u8 v35, v42
	ds_load_u8 v36, v48
	;; [unrolled: 1-line block ×4, first 2 shown]
	v_cndmask_b32_e64 v39, v39, v40, s5
	v_cndmask_b32_e64 v41, v41, v43, s6
	;; [unrolled: 1-line block ×4, first 2 shown]
	s_wait_loadcnt_dscnt 0x0
	s_barrier_signal -1
	s_barrier_wait -1
	global_inv scope:SCOPE_SE
	ds_store_b8 v1, v39
	ds_store_b8 v1, v41 offset:1
	ds_store_b8 v1, v42 offset:2
	;; [unrolled: 1-line block ×3, first 2 shown]
	v_mov_b32_e32 v39, v7
	s_wait_loadcnt_dscnt 0x0
	s_barrier_signal -1
	s_barrier_wait -1
	global_inv scope:SCOPE_SE
	s_and_saveexec_b32 s6, vcc_lo
	s_cbranch_execz .LBB87_86
; %bb.83:                               ;   in Loop: Header=BB87_2 Depth=1
	v_dual_mov_b32 v39, v7 :: v_dual_mov_b32 v40, v8
	s_mov_b32 s7, 0
.LBB87_84:                              ;   Parent Loop BB87_2 Depth=1
                                        ; =>  This Inner Loop Header: Depth=2
	s_delay_alu instid0(VALU_DEP_1) | instskip(NEXT) | instid1(VALU_DEP_1)
	v_sub_nc_u32_e32 v41, v40, v39
	v_lshrrev_b32_e32 v41, 1, v41
	s_delay_alu instid0(VALU_DEP_1) | instskip(NEXT) | instid1(VALU_DEP_1)
	v_add_nc_u32_e32 v41, v41, v39
	v_xad_u32 v42, v41, -1, v34
	v_add_nc_u32_e32 v44, 1, v41
	ds_load_u8 v43, v41
	ds_load_u8 v42, v42
	s_wait_dscnt 0x0
	v_cmp_lt_u16_e64 s5, v42, v43
	s_wait_alu 0xf1ff
	s_delay_alu instid0(VALU_DEP_1) | instskip(SKIP_1) | instid1(VALU_DEP_1)
	v_cndmask_b32_e64 v40, v40, v41, s5
	v_cndmask_b32_e64 v39, v44, v39, s5
	v_cmp_ge_i32_e64 s5, v39, v40
	s_wait_alu 0xfffe
	s_or_b32 s7, s5, s7
	s_wait_alu 0xfffe
	s_and_not1_b32 exec_lo, exec_lo, s7
	s_cbranch_execnz .LBB87_84
; %bb.85:                               ;   in Loop: Header=BB87_2 Depth=1
	s_or_b32 exec_lo, exec_lo, s7
.LBB87_86:                              ;   in Loop: Header=BB87_2 Depth=1
	s_wait_alu 0xfffe
	s_or_b32 exec_lo, exec_lo, s6
	v_sub_nc_u32_e32 v44, v34, v39
	v_cmp_le_i32_e64 s5, 0x80, v39
	ds_load_u8 v40, v39
	ds_load_u8 v41, v44
	v_cmp_gt_i32_e64 s7, 0x100, v44
	s_wait_dscnt 0x1
	v_and_b32_e32 v42, 0xff, v40
	s_wait_dscnt 0x0
	v_and_b32_e32 v43, 0xff, v41
	s_delay_alu instid0(VALU_DEP_1)
	v_cmp_lt_u16_e64 s6, v43, v42
                                        ; implicit-def: $vgpr42
	s_or_b32 s5, s5, s6
	s_wait_alu 0xfffe
	s_and_b32 s5, s7, s5
	s_wait_alu 0xfffe
	s_xor_b32 s6, s5, -1
	s_wait_alu 0xfffe
	s_and_saveexec_b32 s7, s6
	s_wait_alu 0xfffe
	s_xor_b32 s6, exec_lo, s7
; %bb.87:                               ;   in Loop: Header=BB87_2 Depth=1
	ds_load_u8 v42, v39 offset:1
; %bb.88:                               ;   in Loop: Header=BB87_2 Depth=1
	s_wait_alu 0xfffe
	s_or_saveexec_b32 s6, s6
	v_mov_b32_e32 v43, v41
	s_wait_alu 0xfffe
	s_xor_b32 exec_lo, exec_lo, s6
	s_cbranch_execz .LBB87_90
; %bb.89:                               ;   in Loop: Header=BB87_2 Depth=1
	ds_load_u8 v43, v44 offset:1
	s_wait_dscnt 0x1
	v_mov_b32_e32 v42, v40
.LBB87_90:                              ;   in Loop: Header=BB87_2 Depth=1
	s_or_b32 exec_lo, exec_lo, s6
	v_add_nc_u32_e32 v45, 1, v39
	v_add_nc_u32_e32 v46, 1, v44
	s_wait_dscnt 0x0
	v_and_b32_e32 v49, 0xff, v42
	s_delay_alu instid0(VALU_DEP_3) | instskip(SKIP_2) | instid1(VALU_DEP_3)
	v_cndmask_b32_e64 v47, v45, v39, s5
	v_and_b32_e32 v45, 0xff, v43
	v_cndmask_b32_e64 v48, v44, v46, s5
	v_cmp_le_i32_e64 s6, 0x80, v47
	s_delay_alu instid0(VALU_DEP_3) | instskip(NEXT) | instid1(VALU_DEP_3)
	v_cmp_lt_u16_e64 s7, v45, v49
	v_cmp_gt_i32_e64 s8, 0x100, v48
                                        ; implicit-def: $vgpr45
	s_or_b32 s6, s6, s7
	s_wait_alu 0xfffe
	s_and_b32 s6, s8, s6
	s_wait_alu 0xfffe
	s_xor_b32 s7, s6, -1
	s_wait_alu 0xfffe
	s_and_saveexec_b32 s8, s7
	s_wait_alu 0xfffe
	s_xor_b32 s7, exec_lo, s8
; %bb.91:                               ;   in Loop: Header=BB87_2 Depth=1
	ds_load_u8 v45, v47 offset:1
; %bb.92:                               ;   in Loop: Header=BB87_2 Depth=1
	s_wait_alu 0xfffe
	s_or_saveexec_b32 s7, s7
	v_mov_b32_e32 v46, v43
	s_wait_alu 0xfffe
	s_xor_b32 exec_lo, exec_lo, s7
	s_cbranch_execz .LBB87_94
; %bb.93:                               ;   in Loop: Header=BB87_2 Depth=1
	ds_load_u8 v46, v48 offset:1
	s_wait_dscnt 0x1
	v_mov_b32_e32 v45, v42
.LBB87_94:                              ;   in Loop: Header=BB87_2 Depth=1
	s_or_b32 exec_lo, exec_lo, s7
	v_add_nc_u32_e32 v49, 1, v47
	v_add_nc_u32_e32 v50, 1, v48
	s_wait_dscnt 0x0
	v_and_b32_e32 v51, 0xff, v45
	v_and_b32_e32 v52, 0xff, v46
	v_cndmask_b32_e64 v54, v49, v47, s6
	v_cndmask_b32_e64 v49, v48, v50, s6
                                        ; implicit-def: $vgpr50
	s_delay_alu instid0(VALU_DEP_3) | instskip(NEXT) | instid1(VALU_DEP_3)
	v_cmp_lt_u16_e64 s8, v52, v51
                                        ; implicit-def: $vgpr51
	v_cmp_le_i32_e64 s7, 0x80, v54
	s_delay_alu instid0(VALU_DEP_3)
	v_cmp_gt_i32_e64 s9, 0x100, v49
	s_or_b32 s7, s7, s8
	s_wait_alu 0xfffe
	s_and_b32 s7, s9, s7
	s_wait_alu 0xfffe
	s_xor_b32 s8, s7, -1
	s_wait_alu 0xfffe
	s_and_saveexec_b32 s9, s8
	s_wait_alu 0xfffe
	s_xor_b32 s8, exec_lo, s9
; %bb.95:                               ;   in Loop: Header=BB87_2 Depth=1
	ds_load_u8 v51, v54 offset:1
	v_add_nc_u32_e32 v50, 1, v54
; %bb.96:                               ;   in Loop: Header=BB87_2 Depth=1
	s_wait_alu 0xfffe
	s_or_saveexec_b32 s8, s8
	v_dual_mov_b32 v52, v54 :: v_dual_mov_b32 v53, v46
	s_wait_alu 0xfffe
	s_xor_b32 exec_lo, exec_lo, s8
	s_cbranch_execz .LBB87_1
; %bb.97:                               ;   in Loop: Header=BB87_2 Depth=1
	ds_load_u8 v53, v49 offset:1
	s_wait_dscnt 0x1
	v_dual_mov_b32 v52, v49 :: v_dual_add_nc_u32 v51, 1, v49
	s_delay_alu instid0(VALU_DEP_1)
	v_dual_mov_b32 v50, v54 :: v_dual_mov_b32 v49, v51
	v_mov_b32_e32 v51, v45
	s_branch .LBB87_1
.LBB87_98:
	s_add_nc_u64 s[0:1], s[18:19], s[20:21]
	s_wait_dscnt 0x3
	v_add_nc_u16 v2, v41, v38
	s_wait_alu 0xfffe
	v_add_co_u32 v0, s0, s0, v0
	s_wait_alu 0xf1ff
	v_add_co_ci_u32_e64 v1, null, s1, 0, s0
	s_wait_dscnt 0x0
	v_add_nc_u16 v3, v40, v37
	v_add_nc_u16 v4, v42, v35
	;; [unrolled: 1-line block ×3, first 2 shown]
	s_clause 0x3
	global_store_b8 v[0:1], v2, off
	global_store_b8 v[0:1], v3, off offset:64
	global_store_b8 v[0:1], v4, off offset:128
	;; [unrolled: 1-line block ×3, first 2 shown]
	s_endpgm
	.section	.rodata,"a",@progbits
	.p2align	6, 0x0
	.amdhsa_kernel _Z17sort_pairs_kernelIhLj64ELj4EN10test_utils4lessELj10EEvPKT_PS2_T2_
		.amdhsa_group_segment_fixed_size 257
		.amdhsa_private_segment_fixed_size 0
		.amdhsa_kernarg_size 20
		.amdhsa_user_sgpr_count 2
		.amdhsa_user_sgpr_dispatch_ptr 0
		.amdhsa_user_sgpr_queue_ptr 0
		.amdhsa_user_sgpr_kernarg_segment_ptr 1
		.amdhsa_user_sgpr_dispatch_id 0
		.amdhsa_user_sgpr_private_segment_size 0
		.amdhsa_wavefront_size32 1
		.amdhsa_uses_dynamic_stack 0
		.amdhsa_enable_private_segment 0
		.amdhsa_system_sgpr_workgroup_id_x 1
		.amdhsa_system_sgpr_workgroup_id_y 0
		.amdhsa_system_sgpr_workgroup_id_z 0
		.amdhsa_system_sgpr_workgroup_info 0
		.amdhsa_system_vgpr_workitem_id 0
		.amdhsa_next_free_vgpr 58
		.amdhsa_next_free_sgpr 22
		.amdhsa_reserve_vcc 1
		.amdhsa_float_round_mode_32 0
		.amdhsa_float_round_mode_16_64 0
		.amdhsa_float_denorm_mode_32 3
		.amdhsa_float_denorm_mode_16_64 3
		.amdhsa_fp16_overflow 0
		.amdhsa_workgroup_processor_mode 1
		.amdhsa_memory_ordered 1
		.amdhsa_forward_progress 1
		.amdhsa_inst_pref_size 58
		.amdhsa_round_robin_scheduling 0
		.amdhsa_exception_fp_ieee_invalid_op 0
		.amdhsa_exception_fp_denorm_src 0
		.amdhsa_exception_fp_ieee_div_zero 0
		.amdhsa_exception_fp_ieee_overflow 0
		.amdhsa_exception_fp_ieee_underflow 0
		.amdhsa_exception_fp_ieee_inexact 0
		.amdhsa_exception_int_div_zero 0
	.end_amdhsa_kernel
	.section	.text._Z17sort_pairs_kernelIhLj64ELj4EN10test_utils4lessELj10EEvPKT_PS2_T2_,"axG",@progbits,_Z17sort_pairs_kernelIhLj64ELj4EN10test_utils4lessELj10EEvPKT_PS2_T2_,comdat
.Lfunc_end87:
	.size	_Z17sort_pairs_kernelIhLj64ELj4EN10test_utils4lessELj10EEvPKT_PS2_T2_, .Lfunc_end87-_Z17sort_pairs_kernelIhLj64ELj4EN10test_utils4lessELj10EEvPKT_PS2_T2_
                                        ; -- End function
	.set _Z17sort_pairs_kernelIhLj64ELj4EN10test_utils4lessELj10EEvPKT_PS2_T2_.num_vgpr, 58
	.set _Z17sort_pairs_kernelIhLj64ELj4EN10test_utils4lessELj10EEvPKT_PS2_T2_.num_agpr, 0
	.set _Z17sort_pairs_kernelIhLj64ELj4EN10test_utils4lessELj10EEvPKT_PS2_T2_.numbered_sgpr, 22
	.set _Z17sort_pairs_kernelIhLj64ELj4EN10test_utils4lessELj10EEvPKT_PS2_T2_.num_named_barrier, 0
	.set _Z17sort_pairs_kernelIhLj64ELj4EN10test_utils4lessELj10EEvPKT_PS2_T2_.private_seg_size, 0
	.set _Z17sort_pairs_kernelIhLj64ELj4EN10test_utils4lessELj10EEvPKT_PS2_T2_.uses_vcc, 1
	.set _Z17sort_pairs_kernelIhLj64ELj4EN10test_utils4lessELj10EEvPKT_PS2_T2_.uses_flat_scratch, 0
	.set _Z17sort_pairs_kernelIhLj64ELj4EN10test_utils4lessELj10EEvPKT_PS2_T2_.has_dyn_sized_stack, 0
	.set _Z17sort_pairs_kernelIhLj64ELj4EN10test_utils4lessELj10EEvPKT_PS2_T2_.has_recursion, 0
	.set _Z17sort_pairs_kernelIhLj64ELj4EN10test_utils4lessELj10EEvPKT_PS2_T2_.has_indirect_call, 0
	.section	.AMDGPU.csdata,"",@progbits
; Kernel info:
; codeLenInByte = 7320
; TotalNumSgprs: 24
; NumVgprs: 58
; ScratchSize: 0
; MemoryBound: 0
; FloatMode: 240
; IeeeMode: 1
; LDSByteSize: 257 bytes/workgroup (compile time only)
; SGPRBlocks: 0
; VGPRBlocks: 7
; NumSGPRsForWavesPerEU: 24
; NumVGPRsForWavesPerEU: 58
; Occupancy: 16
; WaveLimiterHint : 0
; COMPUTE_PGM_RSRC2:SCRATCH_EN: 0
; COMPUTE_PGM_RSRC2:USER_SGPR: 2
; COMPUTE_PGM_RSRC2:TRAP_HANDLER: 0
; COMPUTE_PGM_RSRC2:TGID_X_EN: 1
; COMPUTE_PGM_RSRC2:TGID_Y_EN: 0
; COMPUTE_PGM_RSRC2:TGID_Z_EN: 0
; COMPUTE_PGM_RSRC2:TIDIG_COMP_CNT: 0
	.section	.text._Z16sort_keys_kernelIhLj64ELj8EN10test_utils4lessELj10EEvPKT_PS2_T2_,"axG",@progbits,_Z16sort_keys_kernelIhLj64ELj8EN10test_utils4lessELj10EEvPKT_PS2_T2_,comdat
	.protected	_Z16sort_keys_kernelIhLj64ELj8EN10test_utils4lessELj10EEvPKT_PS2_T2_ ; -- Begin function _Z16sort_keys_kernelIhLj64ELj8EN10test_utils4lessELj10EEvPKT_PS2_T2_
	.globl	_Z16sort_keys_kernelIhLj64ELj8EN10test_utils4lessELj10EEvPKT_PS2_T2_
	.p2align	8
	.type	_Z16sort_keys_kernelIhLj64ELj8EN10test_utils4lessELj10EEvPKT_PS2_T2_,@function
_Z16sort_keys_kernelIhLj64ELj8EN10test_utils4lessELj10EEvPKT_PS2_T2_: ; @_Z16sort_keys_kernelIhLj64ELj8EN10test_utils4lessELj10EEvPKT_PS2_T2_
; %bb.0:
	s_load_b128 s[12:15], s[0:1], 0x0
	s_lshl_b32 s16, ttmp9, 9
	s_mov_b32 s17, 0
	v_lshlrev_b32_e32 v1, 3, v0
	s_mov_b32 s18, s17
	s_delay_alu instid0(VALU_DEP_1)
	v_and_b32_e32 v2, 0x1f0, v1
	v_and_b32_e32 v3, 0x1e0, v1
	;; [unrolled: 1-line block ×5, first 2 shown]
	v_or_b32_e32 v10, 8, v2
	v_add_nc_u32_e32 v11, 16, v2
	v_or_b32_e32 v12, 16, v3
	v_add_nc_u32_e32 v13, 32, v3
	v_and_b32_e32 v5, 0x180, v1
	v_or_b32_e32 v14, 32, v4
	v_sub_nc_u32_e32 v43, v11, v10
	s_wait_kmcnt 0x0
	s_add_nc_u64 s[0:1], s[12:13], s[16:17]
	v_add_nc_u32_e32 v15, 64, v4
	s_clause 0x7
	global_load_u8 v35, v0, s[0:1] offset:64
	global_load_u8 v36, v0, s[0:1] offset:384
	global_load_u8 v37, v0, s[0:1] offset:256
	global_load_u8 v38, v0, s[0:1] offset:128
	global_load_u8 v39, v0, s[0:1]
	global_load_u8 v40, v0, s[0:1] offset:192
	global_load_u8 v41, v0, s[0:1] offset:320
	;; [unrolled: 1-line block ×3, first 2 shown]
	v_sub_nc_u32_e32 v25, v10, v2
	v_sub_nc_u32_e32 v44, v13, v12
	;; [unrolled: 1-line block ×3, first 2 shown]
	v_cmp_ge_i32_e64 s0, v30, v43
	v_and_b32_e32 v32, 56, v1
	v_and_b32_e32 v6, 0x100, v1
	v_or_b32_e32 v16, 64, v5
	v_add_nc_u32_e32 v17, 0x80, v5
	v_add_nc_u32_e32 v20, v10, v30
	v_sub_nc_u32_e32 v26, v12, v3
	v_sub_nc_u32_e32 v45, v15, v14
	v_min_i32_e32 v25, v30, v25
	v_sub_nc_u32_e32 v49, v31, v44
	v_cndmask_b32_e64 v30, 0, v48, s0
	v_cmp_ge_i32_e64 s0, v31, v44
	v_and_b32_e32 v33, 0x78, v1
	v_or_b32_e32 v18, 0x80, v6
	v_add_nc_u32_e32 v19, 0x100, v6
	v_add_nc_u32_e32 v21, v12, v31
	v_sub_nc_u32_e32 v27, v14, v4
	v_sub_nc_u32_e32 v46, v17, v16
	v_min_i32_e32 v26, v31, v26
	v_sub_nc_u32_e32 v50, v32, v45
	s_wait_alu 0xf1ff
	v_cndmask_b32_e64 v31, 0, v49, s0
	v_cmp_ge_i32_e64 s0, v32, v45
	v_and_b32_e32 v34, 0xf8, v1
	v_add_nc_u32_e32 v22, v14, v32
	v_sub_nc_u32_e32 v28, v16, v5
	v_sub_nc_u32_e32 v47, v19, v18
	v_min_i32_e32 v27, v32, v27
	v_sub_nc_u32_e32 v51, v33, v46
	s_wait_alu 0xf1ff
	v_cndmask_b32_e64 v32, 0, v50, s0
	v_cmp_ge_i32_e64 s0, v33, v46
	v_add_nc_u32_e32 v23, v16, v33
	v_sub_nc_u32_e32 v29, v18, v6
	v_min_i32_e32 v28, v33, v28
	v_sub_nc_u32_e32 v52, v34, v47
	s_wait_alu 0xf1ff
	v_cndmask_b32_e64 v33, 0, v51, s0
	v_cmp_ge_i32_e64 s0, v34, v47
	v_add_nc_u32_e32 v24, v18, v34
	v_min_i32_e32 v29, v34, v29
	v_subrev_nc_u32_e64 v7, 0x100, v1 clamp
	v_min_i32_e32 v8, 0x100, v1
	s_wait_alu 0xf1ff
	v_cndmask_b32_e64 v34, 0, v52, s0
	v_add_nc_u32_e32 v9, 0x100, v1
	v_cmp_lt_i32_e64 s0, v30, v25
	v_cmp_lt_i32_e64 s1, v31, v26
	;; [unrolled: 1-line block ×5, first 2 shown]
	v_cmp_lt_i32_e32 vcc_lo, v7, v8
	s_wait_loadcnt 0x3
	v_perm_b32 v35, v39, v35, 0xc0c0004
	s_wait_loadcnt 0x2
	v_perm_b32 v38, v38, v40, 0xc0c0004
	;; [unrolled: 2-line block ×4, first 2 shown]
	v_lshl_or_b32 v44, v38, 16, v35
	s_delay_alu instid0(VALU_DEP_2)
	v_lshl_or_b32 v35, v36, 16, v37
	s_branch .LBB88_2
.LBB88_1:                               ;   in Loop: Header=BB88_2 Depth=1
	s_or_b32 exec_lo, exec_lo, s12
	s_wait_dscnt 0x0
	v_and_b32_e32 v53, 0xff, v50
	v_and_b32_e32 v54, 0xff, v52
	v_cndmask_b32_e64 v36, v35, v36, s5
	v_cndmask_b32_e64 v37, v37, v38, s6
	v_cmp_le_i32_e64 s5, 0x100, v51
	v_cndmask_b32_e64 v38, v39, v40, s7
	v_cmp_lt_u16_e64 s6, v54, v53
	v_cmp_gt_i32_e64 s7, 0x200, v49
	v_cndmask_b32_e64 v39, v41, v42, s8
	v_cndmask_b32_e64 v40, v43, v44, s9
	;; [unrolled: 1-line block ×3, first 2 shown]
	s_or_b32 s5, s5, s6
	v_cndmask_b32_e64 v42, v47, v48, s11
	s_wait_alu 0xfffe
	s_and_b32 s5, s7, s5
	v_lshlrev_b16 v35, 8, v37
	s_wait_alu 0xfffe
	v_cndmask_b32_e64 v43, v50, v52, s5
	v_and_b32_e32 v44, 0xff, v36
	v_lshlrev_b16 v45, 8, v39
	v_and_b32_e32 v46, 0xff, v38
	v_lshlrev_b16 v47, 8, v41
	v_and_b32_e32 v48, 0xff, v40
	v_and_b32_e32 v49, 0xff, v42
	v_lshlrev_b16 v50, 8, v43
	v_or_b32_e32 v35, v44, v35
	v_or_b32_e32 v44, v46, v45
	;; [unrolled: 1-line block ×3, first 2 shown]
	s_add_co_i32 s18, s18, 1
	v_or_b32_e32 v46, v49, v50
	v_and_b32_e32 v35, 0xffff, v35
	v_lshlrev_b32_e32 v44, 16, v44
	v_and_b32_e32 v45, 0xffff, v45
	s_cmp_eq_u32 s18, 10
	v_lshlrev_b32_e32 v46, 16, v46
	s_delay_alu instid0(VALU_DEP_3) | instskip(NEXT) | instid1(VALU_DEP_2)
	v_or_b32_e32 v44, v35, v44
	v_or_b32_e32 v35, v45, v46
	s_cbranch_scc1 .LBB88_194
.LBB88_2:                               ; =>This Loop Header: Depth=1
                                        ;     Child Loop BB88_4 Depth 2
                                        ;     Child Loop BB88_36 Depth 2
	;; [unrolled: 1-line block ×6, first 2 shown]
	s_delay_alu instid0(VALU_DEP_2) | instskip(SKIP_3) | instid1(VALU_DEP_4)
	v_lshrrev_b32_e32 v36, 8, v44
	v_and_b32_e32 v37, 0xff, v44
	v_perm_b32 v38, v44, v44, 0x7060405
	v_and_b32_e32 v46, 0xff, v35
	v_and_b32_e32 v36, 0xff, v36
	s_barrier_signal -1
	s_barrier_wait -1
	global_inv scope:SCOPE_SE
	v_cmp_lt_u16_e64 s5, v36, v37
	v_max_u16 v43, v36, v37
	v_min_u16 v36, v36, v37
	s_wait_alu 0xf1ff
	s_delay_alu instid0(VALU_DEP_3) | instskip(NEXT) | instid1(VALU_DEP_1)
	v_cndmask_b32_e64 v38, v44, v38, s5
	v_lshrrev_b32_e32 v39, 16, v38
	v_lshrrev_b32_e32 v41, 24, v38
	s_delay_alu instid0(VALU_DEP_2) | instskip(SKIP_1) | instid1(VALU_DEP_2)
	v_perm_b32 v40, 0, v39, 0xc0c0001
	v_and_b32_e32 v39, 0xff, v39
	v_lshlrev_b32_e32 v40, 16, v40
	s_delay_alu instid0(VALU_DEP_2) | instskip(NEXT) | instid1(VALU_DEP_2)
	v_cmp_lt_u16_e64 s5, v41, v39
	v_and_or_b32 v40, 0xffff, v38, v40
	s_wait_alu 0xf1ff
	s_delay_alu instid0(VALU_DEP_1) | instskip(SKIP_2) | instid1(VALU_DEP_3)
	v_cndmask_b32_e64 v38, v38, v40, s5
	v_min_u16 v40, v41, v39
	v_max_u16 v39, v41, v39
	v_lshrrev_b32_e32 v42, 16, v38
	s_delay_alu instid0(VALU_DEP_3) | instskip(SKIP_4) | instid1(VALU_DEP_4)
	v_lshlrev_b16 v44, 8, v40
	v_and_b32_e32 v45, 0xff, v38
	v_cmp_lt_u16_e64 s5, v40, v43
	v_cmp_lt_u16_e64 s6, v40, v36
	v_and_b32_e32 v42, 0xffffff00, v42
	v_or_b32_e32 v44, v45, v44
	v_lshrrev_b32_e32 v45, 8, v35
	s_delay_alu instid0(VALU_DEP_3) | instskip(NEXT) | instid1(VALU_DEP_3)
	v_or_b32_e32 v42, v43, v42
	v_and_b32_e32 v44, 0xffff, v44
	s_delay_alu instid0(VALU_DEP_2) | instskip(NEXT) | instid1(VALU_DEP_1)
	v_lshlrev_b32_e32 v42, 16, v42
	v_or_b32_e32 v42, v44, v42
	v_and_b32_e32 v44, 0xff, v45
	v_perm_b32 v45, v35, v35, 0x7060405
	s_wait_alu 0xf1ff
	s_delay_alu instid0(VALU_DEP_3) | instskip(NEXT) | instid1(VALU_DEP_3)
	v_cndmask_b32_e64 v38, v38, v42, s5
	v_cmp_lt_u16_e64 s5, v44, v46
	v_min_u16 v42, v44, v46
	s_wait_alu 0xf1ff
	s_delay_alu instid0(VALU_DEP_2) | instskip(SKIP_1) | instid1(VALU_DEP_3)
	v_cndmask_b32_e64 v35, v35, v45, s5
	v_lshrrev_b32_e32 v45, 16, v38
	v_lshlrev_b16 v49, 8, v42
	s_delay_alu instid0(VALU_DEP_3) | instskip(SKIP_1) | instid1(VALU_DEP_4)
	v_lshrrev_b32_e32 v47, 16, v35
	v_lshrrev_b32_e32 v48, 24, v35
	v_and_b32_e32 v45, 0xff, v45
	v_perm_b32 v50, v35, v35, 0x6070504
	s_delay_alu instid0(VALU_DEP_4) | instskip(NEXT) | instid1(VALU_DEP_3)
	v_and_b32_e32 v47, 0xff, v47
	v_or_b32_e32 v37, v45, v49
	v_lshlrev_b16 v45, 8, v36
	v_min_u16 v49, v40, v43
	s_delay_alu instid0(VALU_DEP_4) | instskip(SKIP_2) | instid1(VALU_DEP_4)
	v_cmp_lt_u16_e64 s5, v48, v47
	v_max_u16 v43, v40, v43
	v_lshlrev_b32_e32 v37, 16, v37
	v_or_b32_e32 v45, v49, v45
	s_wait_alu 0xf1ff
	v_cndmask_b32_e64 v35, v35, v50, s5
	v_cmp_lt_u16_e64 s5, v42, v39
	v_and_or_b32 v37, 0xffff, v38, v37
	v_min_u16 v50, v42, v39
	v_lshlrev_b16 v51, 8, v43
	v_and_b32_e32 v41, 0xffffff00, v35
	v_and_b32_e32 v45, 0xffff, v45
	s_wait_alu 0xf1ff
	v_cndmask_b32_e64 v37, v38, v37, s5
	v_max_u16 v38, v44, v46
	v_or_b32_e32 v44, v50, v51
	v_or_b32_e32 v41, v39, v41
	v_max_u16 v39, v42, v39
	v_and_or_b32 v45, 0xffff0000, v37, v45
	v_max_u16 v46, v48, v47
	v_lshlrev_b32_e32 v44, 16, v44
	v_and_b32_e32 v41, 0xffff, v41
	v_min_u16 v47, v48, v47
	v_cndmask_b32_e64 v37, v37, v45, s6
	v_min_u16 v48, v50, v43
	v_lshlrev_b16 v51, 8, v39
	v_and_or_b32 v41, 0xffff0000, v35, v41
	v_lshlrev_b16 v40, 8, v47
	v_and_or_b32 v42, 0xffff, v37, v44
	v_min_u16 v44, v47, v38
	v_lshlrev_b16 v52, 8, v48
	v_cndmask_b32_e64 v35, v35, v41, s5
	v_cmp_lt_u16_e64 s5, v50, v43
	v_max_u16 v41, v47, v38
	v_or_b32_e32 v51, v44, v51
	v_max_u16 v43, v50, v43
	v_lshrrev_b32_e32 v45, 16, v35
	s_wait_alu 0xf1ff
	v_cndmask_b32_e64 v37, v37, v42, s5
	v_and_b32_e32 v42, 0xff, v35
	v_cmp_lt_u16_e64 s5, v47, v38
	v_and_b32_e32 v45, 0xffffff00, v45
	s_delay_alu instid0(VALU_DEP_4) | instskip(NEXT) | instid1(VALU_DEP_4)
	v_lshrrev_b32_e32 v53, 16, v37
	v_or_b32_e32 v40, v42, v40
	v_and_b32_e32 v54, 0xff, v37
	s_delay_alu instid0(VALU_DEP_4)
	v_or_b32_e32 v42, v38, v45
	v_cndmask_b32_e64 v45, v49, v36, s6
	v_and_b32_e32 v53, 0xffffff00, v53
	v_and_b32_e32 v40, 0xffff, v40
	v_or_b32_e32 v52, v54, v52
	v_lshlrev_b32_e32 v42, 16, v42
	v_lshlrev_b16 v54, 8, v41
	v_or_b32_e32 v53, v45, v53
	v_cndmask_b32_e64 v36, v36, v49, s6
	s_delay_alu instid0(VALU_DEP_4)
	v_or_b32_e32 v40, v40, v42
	v_and_b32_e32 v42, 0xffff, v51
	v_and_b32_e32 v51, 0xffff, v52
	v_lshlrev_b32_e32 v52, 16, v53
	s_wait_alu 0xf1ff
	v_cndmask_b32_e64 v35, v35, v40, s5
	v_cmp_lt_u16_e64 s5, v48, v45
	v_or_b32_e32 v40, v46, v54
	v_or_b32_e32 v47, v51, v52
	s_delay_alu instid0(VALU_DEP_4) | instskip(NEXT) | instid1(VALU_DEP_3)
	v_and_or_b32 v42, 0xffff0000, v35, v42
	v_lshlrev_b32_e32 v40, 16, v40
	s_wait_alu 0xf1ff
	s_delay_alu instid0(VALU_DEP_3) | instskip(SKIP_1) | instid1(VALU_DEP_2)
	v_cndmask_b32_e64 v37, v37, v47, s5
	v_cmp_lt_u16_e64 s5, v44, v39
	v_lshrrev_b32_e32 v47, 16, v37
	s_wait_alu 0xf1ff
	s_delay_alu instid0(VALU_DEP_2)
	v_cndmask_b32_e64 v35, v35, v42, s5
	v_min_u16 v42, v44, v39
	v_cmp_gt_u16_e64 s5, v38, v46
	v_max_u16 v38, v44, v39
	v_and_b32_e32 v47, 0xff, v47
	v_and_or_b32 v40, 0xffff, v35, v40
	v_lshlrev_b16 v50, 8, v42
	v_cmp_lt_u16_e64 s6, v42, v43
	v_max_u16 v49, v42, v43
	s_wait_alu 0xf1ff
	v_cndmask_b32_e64 v35, v35, v40, s5
	v_or_b32_e32 v39, v47, v50
	v_min_u16 v40, v48, v45
	v_lshlrev_b16 v47, 8, v36
	v_max_u16 v45, v48, v45
	v_and_b32_e32 v44, 0xffffff00, v35
	v_lshlrev_b32_e32 v39, 16, v39
	v_min_u16 v48, v42, v43
	v_or_b32_e32 v47, v40, v47
	v_lshlrev_b16 v50, 8, v45
	v_or_b32_e32 v44, v43, v44
	v_and_or_b32 v39, 0xffff, v37, v39
	v_lshlrev_b16 v43, 8, v49
	v_and_b32_e32 v47, 0xffff, v47
	s_delay_alu instid0(VALU_DEP_4) | instskip(NEXT) | instid1(VALU_DEP_4)
	v_and_b32_e32 v44, 0xffff, v44
	v_cndmask_b32_e64 v37, v37, v39, s6
	v_or_b32_e32 v39, v48, v50
	s_delay_alu instid0(VALU_DEP_3) | instskip(NEXT) | instid1(VALU_DEP_3)
	v_and_or_b32 v42, 0xffff0000, v35, v44
	v_and_or_b32 v47, 0xffff0000, v37, v47
	s_delay_alu instid0(VALU_DEP_3) | instskip(SKIP_1) | instid1(VALU_DEP_4)
	v_lshlrev_b32_e32 v39, 16, v39
	v_min_u16 v44, v48, v45
	v_cndmask_b32_e64 v35, v35, v42, s6
	v_cmp_lt_u16_e64 s6, v40, v36
	v_cndmask_b32_e64 v42, v41, v46, s5
	v_cndmask_b32_e64 v41, v46, v41, s5
	v_cmp_lt_u16_e64 s5, v48, v45
	v_lshrrev_b32_e32 v50, 16, v35
	s_wait_alu 0xf1ff
	v_cndmask_b32_e64 v37, v37, v47, s6
	v_lshlrev_b16 v52, 8, v42
	v_and_b32_e32 v53, 0xff, v35
	v_max_u16 v47, v40, v36
	v_and_b32_e32 v50, 0xffffff00, v50
	v_and_or_b32 v39, 0xffff, v37, v39
	v_lshlrev_b16 v51, 8, v44
	v_min_u16 v36, v40, v36
	s_delay_alu instid0(VALU_DEP_4) | instskip(NEXT) | instid1(VALU_DEP_4)
	v_or_b32_e32 v46, v38, v50
	v_cndmask_b32_e64 v37, v37, v39, s5
	v_or_b32_e32 v39, v53, v52
	v_min_u16 v50, v42, v38
	v_cmp_lt_u16_e64 s5, v42, v38
	v_lshlrev_b32_e32 v46, 16, v46
	v_lshrrev_b32_e32 v53, 16, v37
	v_and_b32_e32 v39, 0xffff, v39
	v_or_b32_e32 v43, v50, v43
	v_and_b32_e32 v54, 0xff, v37
	v_max_u16 v52, v42, v38
	v_and_b32_e32 v53, 0xffffff00, v53
	v_or_b32_e32 v39, v39, v46
	v_and_b32_e32 v43, 0xffff, v43
	v_or_b32_e32 v46, v54, v51
	v_lshlrev_b16 v55, 8, v52
	v_or_b32_e32 v51, v47, v53
	s_wait_alu 0xf1ff
	v_cndmask_b32_e64 v35, v35, v39, s5
	v_cmp_lt_u16_e64 s5, v50, v49
	v_and_b32_e32 v39, 0xffff, v46
	v_or_b32_e32 v38, v41, v55
	v_lshlrev_b32_e32 v42, 16, v51
	v_and_or_b32 v43, 0xffff0000, v35, v43
	v_min_u16 v40, v50, v49
	s_delay_alu instid0(VALU_DEP_4) | instskip(NEXT) | instid1(VALU_DEP_4)
	v_lshlrev_b32_e32 v38, 16, v38
	v_or_b32_e32 v39, v39, v42
	s_wait_alu 0xf1ff
	v_cndmask_b32_e64 v35, v35, v43, s5
	v_cmp_lt_u16_e64 s5, v44, v47
	v_lshlrev_b16 v43, 8, v40
	s_delay_alu instid0(VALU_DEP_3) | instskip(SKIP_1) | instid1(VALU_DEP_3)
	v_and_or_b32 v38, 0xffff, v35, v38
	s_wait_alu 0xf1ff
	v_cndmask_b32_e64 v37, v37, v39, s5
	v_cmp_lt_u16_e64 s5, v41, v52
	v_max_u16 v39, v48, v45
	v_lshlrev_b16 v45, 8, v36
	v_max_u16 v48, v50, v49
	v_lshrrev_b32_e32 v42, 16, v37
	s_wait_alu 0xf1ff
	v_cndmask_b32_e64 v35, v35, v38, s5
	v_min_u16 v38, v44, v47
	v_max_u16 v47, v44, v47
	v_cmp_lt_u16_e64 s5, v40, v39
	v_and_b32_e32 v42, 0xff, v42
	v_and_b32_e32 v46, 0xffffff00, v35
	v_min_u16 v50, v40, v39
	v_max_u16 v49, v41, v52
	v_min_u16 v41, v41, v52
	v_or_b32_e32 v42, v42, v43
	v_or_b32_e32 v43, v38, v45
	;; [unrolled: 1-line block ×3, first 2 shown]
	v_lshlrev_b16 v46, 8, v47
	v_max_u16 v39, v40, v39
	v_lshlrev_b32_e32 v42, 16, v42
	v_and_b32_e32 v43, 0xffff, v43
	v_and_b32_e32 v45, 0xffff, v45
	v_or_b32_e32 v40, v50, v46
	v_cmp_lt_u16_e64 s6, v50, v47
	v_and_or_b32 v42, 0xffff, v37, v42
	v_lshlrev_b16 v51, 8, v39
	v_and_or_b32 v45, 0xffff0000, v35, v45
	v_lshlrev_b32_e32 v40, 16, v40
	v_min_u16 v52, v50, v47
	s_wait_alu 0xf1ff
	v_cndmask_b32_e64 v37, v37, v42, s5
	v_lshlrev_b16 v42, 8, v41
	v_cndmask_b32_e64 v35, v35, v45, s5
	v_cmp_lt_u16_e64 s5, v44, v36
	v_max_u16 v45, v41, v48
	v_and_or_b32 v43, 0xffff0000, v37, v43
	v_lshlrev_b16 v53, 8, v52
	v_lshrrev_b32_e32 v46, 16, v35
	v_and_b32_e32 v44, 0xff, v35
	s_wait_alu 0xf1ff
	v_cndmask_b32_e64 v36, v38, v36, s5
	v_cndmask_b32_e64 v37, v37, v43, s5
	v_min_u16 v43, v41, v48
	v_and_b32_e32 v46, 0xffffff00, v46
	v_or_b32_e32 v42, v44, v42
	v_cmp_lt_u16_e64 s5, v41, v48
	v_and_or_b32 v40, 0xffff, v37, v40
	s_delay_alu instid0(VALU_DEP_4) | instskip(NEXT) | instid1(VALU_DEP_4)
	v_or_b32_e32 v44, v48, v46
	v_and_b32_e32 v42, 0xffff, v42
	v_or_b32_e32 v46, v43, v51
	s_delay_alu instid0(VALU_DEP_4) | instskip(SKIP_2) | instid1(VALU_DEP_4)
	v_cndmask_b32_e64 v37, v37, v40, s6
	v_lshlrev_b16 v40, 8, v45
	v_lshlrev_b32_e32 v44, 16, v44
	v_and_b32_e32 v46, 0xffff, v46
	s_delay_alu instid0(VALU_DEP_4) | instskip(NEXT) | instid1(VALU_DEP_4)
	v_lshrrev_b32_e32 v51, 16, v37
	v_or_b32_e32 v40, v49, v40
	s_delay_alu instid0(VALU_DEP_4) | instskip(SKIP_1) | instid1(VALU_DEP_4)
	v_or_b32_e32 v38, v42, v44
	v_and_b32_e32 v42, 0xff, v37
	v_and_b32_e32 v44, 0xffffff00, v51
	s_delay_alu instid0(VALU_DEP_4)
	v_lshlrev_b32_e32 v40, 16, v40
	s_wait_alu 0xf1ff
	v_cndmask_b32_e64 v35, v35, v38, s5
	v_or_b32_e32 v38, v42, v53
	v_cmp_lt_u16_e64 s5, v43, v39
	v_or_b32_e32 v41, v36, v44
	s_delay_alu instid0(VALU_DEP_4) | instskip(NEXT) | instid1(VALU_DEP_4)
	v_and_or_b32 v42, 0xffff0000, v35, v46
	v_and_b32_e32 v38, 0xffff, v38
	s_delay_alu instid0(VALU_DEP_3) | instskip(SKIP_1) | instid1(VALU_DEP_3)
	v_lshlrev_b32_e32 v41, 16, v41
	s_wait_alu 0xf1ff
	v_cndmask_b32_e64 v35, v35, v42, s5
	v_cmp_lt_u16_e64 s5, v52, v36
	s_delay_alu instid0(VALU_DEP_3) | instskip(NEXT) | instid1(VALU_DEP_3)
	v_or_b32_e32 v38, v38, v41
	v_and_or_b32 v40, 0xffff, v35, v40
	s_wait_alu 0xf1ff
	s_delay_alu instid0(VALU_DEP_2) | instskip(SKIP_3) | instid1(VALU_DEP_4)
	v_cndmask_b32_e64 v36, v37, v38, s5
	v_cmp_gt_u16_e64 s5, v48, v49
	v_min_u16 v37, v43, v39
	v_max_u16 v39, v43, v39
	v_lshrrev_b32_e32 v38, 16, v36
	s_wait_alu 0xf1ff
	v_cndmask_b32_e64 v35, v35, v40, s5
	v_max_u16 v40, v50, v47
	v_lshlrev_b16 v41, 8, v37
	v_and_b32_e32 v38, 0xff, v38
	s_delay_alu instid0(VALU_DEP_4) | instskip(NEXT) | instid1(VALU_DEP_4)
	v_and_b32_e32 v42, 0xffffff00, v35
	v_cmp_lt_u16_e64 s6, v37, v40
	v_cndmask_b32_e64 v37, v45, v49, s5
	s_delay_alu instid0(VALU_DEP_4) | instskip(NEXT) | instid1(VALU_DEP_4)
	v_or_b32_e32 v38, v38, v41
	v_or_b32_e32 v42, v40, v42
	s_delay_alu instid0(VALU_DEP_3) | instskip(SKIP_1) | instid1(VALU_DEP_4)
	v_lshlrev_b16 v40, 8, v37
	v_cmp_lt_u16_e64 s5, v37, v39
	v_lshlrev_b32_e32 v38, 16, v38
	s_delay_alu instid0(VALU_DEP_4) | instskip(NEXT) | instid1(VALU_DEP_2)
	v_and_b32_e32 v41, 0xffff, v42
	v_and_or_b32 v38, 0xffff, v36, v38
	s_delay_alu instid0(VALU_DEP_2) | instskip(SKIP_1) | instid1(VALU_DEP_2)
	v_and_or_b32 v41, 0xffff0000, v35, v41
	s_wait_alu 0xf1ff
	v_cndmask_b32_e64 v36, v36, v38, s6
	s_delay_alu instid0(VALU_DEP_2) | instskip(NEXT) | instid1(VALU_DEP_1)
	v_cndmask_b32_e64 v35, v35, v41, s6
	v_lshrrev_b32_e32 v38, 16, v35
	v_and_b32_e32 v41, 0xff, v35
	s_delay_alu instid0(VALU_DEP_2) | instskip(NEXT) | instid1(VALU_DEP_2)
	v_and_b32_e32 v38, 0xffffff00, v38
	v_or_b32_e32 v40, v41, v40
	s_delay_alu instid0(VALU_DEP_2) | instskip(NEXT) | instid1(VALU_DEP_2)
	v_or_b32_e32 v38, v39, v38
	v_and_b32_e32 v40, 0xffff, v40
	s_delay_alu instid0(VALU_DEP_2) | instskip(NEXT) | instid1(VALU_DEP_1)
	v_lshlrev_b32_e32 v38, 16, v38
	v_or_b32_e32 v38, v40, v38
	s_delay_alu instid0(VALU_DEP_1)
	v_cndmask_b32_e64 v37, v35, v38, s5
	v_mov_b32_e32 v35, v30
	ds_store_b64 v1, v[36:37]
	s_wait_loadcnt_dscnt 0x0
	s_barrier_signal -1
	s_barrier_wait -1
	global_inv scope:SCOPE_SE
	s_and_saveexec_b32 s6, s0
	s_cbranch_execz .LBB88_6
; %bb.3:                                ;   in Loop: Header=BB88_2 Depth=1
	v_dual_mov_b32 v35, v30 :: v_dual_mov_b32 v36, v25
	s_mov_b32 s7, 0
.LBB88_4:                               ;   Parent Loop BB88_2 Depth=1
                                        ; =>  This Inner Loop Header: Depth=2
	s_delay_alu instid0(VALU_DEP_1) | instskip(NEXT) | instid1(VALU_DEP_1)
	v_sub_nc_u32_e32 v37, v36, v35
	v_lshrrev_b32_e32 v37, 1, v37
	s_delay_alu instid0(VALU_DEP_1) | instskip(NEXT) | instid1(VALU_DEP_1)
	v_add_nc_u32_e32 v37, v37, v35
	v_add_nc_u32_e32 v38, v2, v37
	v_xad_u32 v39, v37, -1, v20
	v_add_nc_u32_e32 v40, 1, v37
	ds_load_u8 v38, v38
	ds_load_u8 v39, v39
	s_wait_dscnt 0x0
	v_cmp_lt_u16_e64 s5, v39, v38
	s_wait_alu 0xf1ff
	s_delay_alu instid0(VALU_DEP_1) | instskip(SKIP_1) | instid1(VALU_DEP_1)
	v_cndmask_b32_e64 v36, v36, v37, s5
	v_cndmask_b32_e64 v35, v40, v35, s5
	v_cmp_ge_i32_e64 s5, v35, v36
	s_wait_alu 0xfffe
	s_or_b32 s7, s5, s7
	s_wait_alu 0xfffe
	s_and_not1_b32 exec_lo, exec_lo, s7
	s_cbranch_execnz .LBB88_4
; %bb.5:                                ;   in Loop: Header=BB88_2 Depth=1
	s_or_b32 exec_lo, exec_lo, s7
.LBB88_6:                               ;   in Loop: Header=BB88_2 Depth=1
	s_wait_alu 0xfffe
	s_or_b32 exec_lo, exec_lo, s6
	v_add_nc_u32_e32 v40, v35, v2
	v_sub_nc_u32_e32 v39, v20, v35
	ds_load_u8 v35, v40
	ds_load_u8 v36, v39
	v_cmp_le_i32_e64 s5, v10, v40
	v_cmp_gt_i32_e64 s7, v11, v39
	s_wait_dscnt 0x1
	v_and_b32_e32 v37, 0xff, v35
	s_wait_dscnt 0x0
	v_and_b32_e32 v38, 0xff, v36
	s_delay_alu instid0(VALU_DEP_1)
	v_cmp_lt_u16_e64 s6, v38, v37
                                        ; implicit-def: $vgpr37
	s_or_b32 s5, s5, s6
	s_wait_alu 0xfffe
	s_and_b32 s5, s7, s5
	s_wait_alu 0xfffe
	s_xor_b32 s6, s5, -1
	s_wait_alu 0xfffe
	s_and_saveexec_b32 s7, s6
	s_wait_alu 0xfffe
	s_xor_b32 s6, exec_lo, s7
; %bb.7:                                ;   in Loop: Header=BB88_2 Depth=1
	ds_load_u8 v37, v40 offset:1
; %bb.8:                                ;   in Loop: Header=BB88_2 Depth=1
	s_wait_alu 0xfffe
	s_or_saveexec_b32 s6, s6
	v_mov_b32_e32 v38, v36
	s_wait_alu 0xfffe
	s_xor_b32 exec_lo, exec_lo, s6
	s_cbranch_execz .LBB88_10
; %bb.9:                                ;   in Loop: Header=BB88_2 Depth=1
	ds_load_u8 v38, v39 offset:1
	s_wait_dscnt 0x1
	v_mov_b32_e32 v37, v35
.LBB88_10:                              ;   in Loop: Header=BB88_2 Depth=1
	s_or_b32 exec_lo, exec_lo, s6
	v_add_nc_u32_e32 v41, 1, v40
	v_add_nc_u32_e32 v43, 1, v39
	s_wait_dscnt 0x0
	v_and_b32_e32 v44, 0xff, v37
	s_delay_alu instid0(VALU_DEP_3) | instskip(SKIP_2) | instid1(VALU_DEP_3)
	v_cndmask_b32_e64 v42, v41, v40, s5
	v_and_b32_e32 v40, 0xff, v38
	v_cndmask_b32_e64 v41, v39, v43, s5
                                        ; implicit-def: $vgpr39
	v_cmp_ge_i32_e64 s6, v42, v10
	s_delay_alu instid0(VALU_DEP_3) | instskip(NEXT) | instid1(VALU_DEP_3)
	v_cmp_lt_u16_e64 s7, v40, v44
	v_cmp_lt_i32_e64 s8, v41, v11
	s_or_b32 s6, s6, s7
	s_wait_alu 0xfffe
	s_and_b32 s6, s8, s6
	s_wait_alu 0xfffe
	s_xor_b32 s7, s6, -1
	s_wait_alu 0xfffe
	s_and_saveexec_b32 s8, s7
	s_wait_alu 0xfffe
	s_xor_b32 s7, exec_lo, s8
; %bb.11:                               ;   in Loop: Header=BB88_2 Depth=1
	ds_load_u8 v39, v42 offset:1
; %bb.12:                               ;   in Loop: Header=BB88_2 Depth=1
	s_wait_alu 0xfffe
	s_or_saveexec_b32 s7, s7
	v_mov_b32_e32 v40, v38
	s_wait_alu 0xfffe
	s_xor_b32 exec_lo, exec_lo, s7
	s_cbranch_execz .LBB88_14
; %bb.13:                               ;   in Loop: Header=BB88_2 Depth=1
	ds_load_u8 v40, v41 offset:1
	s_wait_dscnt 0x1
	v_mov_b32_e32 v39, v37
.LBB88_14:                              ;   in Loop: Header=BB88_2 Depth=1
	s_or_b32 exec_lo, exec_lo, s7
	v_add_nc_u32_e32 v43, 1, v42
	v_add_nc_u32_e32 v45, 1, v41
	s_wait_dscnt 0x0
	v_and_b32_e32 v46, 0xff, v39
	s_delay_alu instid0(VALU_DEP_3) | instskip(SKIP_2) | instid1(VALU_DEP_3)
	v_cndmask_b32_e64 v44, v43, v42, s6
	v_and_b32_e32 v42, 0xff, v40
	v_cndmask_b32_e64 v43, v41, v45, s6
                                        ; implicit-def: $vgpr41
	v_cmp_ge_i32_e64 s7, v44, v10
	s_delay_alu instid0(VALU_DEP_3) | instskip(NEXT) | instid1(VALU_DEP_3)
	v_cmp_lt_u16_e64 s8, v42, v46
	v_cmp_lt_i32_e64 s9, v43, v11
	s_or_b32 s7, s7, s8
	s_wait_alu 0xfffe
	s_and_b32 s7, s9, s7
	s_wait_alu 0xfffe
	s_xor_b32 s8, s7, -1
	s_wait_alu 0xfffe
	s_and_saveexec_b32 s9, s8
	s_wait_alu 0xfffe
	s_xor_b32 s8, exec_lo, s9
; %bb.15:                               ;   in Loop: Header=BB88_2 Depth=1
	ds_load_u8 v41, v44 offset:1
; %bb.16:                               ;   in Loop: Header=BB88_2 Depth=1
	s_wait_alu 0xfffe
	s_or_saveexec_b32 s8, s8
	v_mov_b32_e32 v42, v40
	s_wait_alu 0xfffe
	s_xor_b32 exec_lo, exec_lo, s8
	s_cbranch_execz .LBB88_18
; %bb.17:                               ;   in Loop: Header=BB88_2 Depth=1
	ds_load_u8 v42, v43 offset:1
	s_wait_dscnt 0x1
	v_mov_b32_e32 v41, v39
.LBB88_18:                              ;   in Loop: Header=BB88_2 Depth=1
	s_or_b32 exec_lo, exec_lo, s8
	v_add_nc_u32_e32 v45, 1, v44
	v_add_nc_u32_e32 v47, 1, v43
	s_wait_dscnt 0x0
	v_and_b32_e32 v48, 0xff, v41
	s_delay_alu instid0(VALU_DEP_3) | instskip(SKIP_2) | instid1(VALU_DEP_3)
	v_cndmask_b32_e64 v46, v45, v44, s7
	v_and_b32_e32 v44, 0xff, v42
	v_cndmask_b32_e64 v45, v43, v47, s7
                                        ; implicit-def: $vgpr43
	v_cmp_ge_i32_e64 s8, v46, v10
	s_delay_alu instid0(VALU_DEP_3) | instskip(NEXT) | instid1(VALU_DEP_3)
	v_cmp_lt_u16_e64 s9, v44, v48
	v_cmp_lt_i32_e64 s10, v45, v11
	s_or_b32 s8, s8, s9
	s_wait_alu 0xfffe
	s_and_b32 s8, s10, s8
	s_wait_alu 0xfffe
	s_xor_b32 s9, s8, -1
	s_wait_alu 0xfffe
	s_and_saveexec_b32 s10, s9
	s_wait_alu 0xfffe
	s_xor_b32 s9, exec_lo, s10
; %bb.19:                               ;   in Loop: Header=BB88_2 Depth=1
	ds_load_u8 v43, v46 offset:1
; %bb.20:                               ;   in Loop: Header=BB88_2 Depth=1
	s_wait_alu 0xfffe
	s_or_saveexec_b32 s9, s9
	v_mov_b32_e32 v44, v42
	s_wait_alu 0xfffe
	s_xor_b32 exec_lo, exec_lo, s9
	s_cbranch_execz .LBB88_22
; %bb.21:                               ;   in Loop: Header=BB88_2 Depth=1
	ds_load_u8 v44, v45 offset:1
	s_wait_dscnt 0x1
	v_mov_b32_e32 v43, v41
.LBB88_22:                              ;   in Loop: Header=BB88_2 Depth=1
	s_or_b32 exec_lo, exec_lo, s9
	v_add_nc_u32_e32 v47, 1, v46
	v_add_nc_u32_e32 v49, 1, v45
	s_wait_dscnt 0x0
	v_and_b32_e32 v50, 0xff, v43
	s_delay_alu instid0(VALU_DEP_3) | instskip(SKIP_2) | instid1(VALU_DEP_3)
	v_cndmask_b32_e64 v48, v47, v46, s8
	v_and_b32_e32 v46, 0xff, v44
	v_cndmask_b32_e64 v47, v45, v49, s8
                                        ; implicit-def: $vgpr45
	v_cmp_ge_i32_e64 s9, v48, v10
	s_delay_alu instid0(VALU_DEP_3) | instskip(NEXT) | instid1(VALU_DEP_3)
	v_cmp_lt_u16_e64 s10, v46, v50
	v_cmp_lt_i32_e64 s11, v47, v11
	s_or_b32 s9, s9, s10
	s_wait_alu 0xfffe
	s_and_b32 s9, s11, s9
	s_wait_alu 0xfffe
	s_xor_b32 s10, s9, -1
	s_wait_alu 0xfffe
	s_and_saveexec_b32 s11, s10
	s_wait_alu 0xfffe
	s_xor_b32 s10, exec_lo, s11
; %bb.23:                               ;   in Loop: Header=BB88_2 Depth=1
	ds_load_u8 v45, v48 offset:1
; %bb.24:                               ;   in Loop: Header=BB88_2 Depth=1
	s_wait_alu 0xfffe
	s_or_saveexec_b32 s10, s10
	v_mov_b32_e32 v46, v44
	s_wait_alu 0xfffe
	s_xor_b32 exec_lo, exec_lo, s10
	s_cbranch_execz .LBB88_26
; %bb.25:                               ;   in Loop: Header=BB88_2 Depth=1
	ds_load_u8 v46, v47 offset:1
	s_wait_dscnt 0x1
	v_mov_b32_e32 v45, v43
.LBB88_26:                              ;   in Loop: Header=BB88_2 Depth=1
	s_or_b32 exec_lo, exec_lo, s10
	v_add_nc_u32_e32 v49, 1, v48
	v_add_nc_u32_e32 v51, 1, v47
	s_wait_dscnt 0x0
	v_and_b32_e32 v52, 0xff, v45
	s_delay_alu instid0(VALU_DEP_3) | instskip(SKIP_2) | instid1(VALU_DEP_3)
	v_cndmask_b32_e64 v50, v49, v48, s9
	v_and_b32_e32 v48, 0xff, v46
	v_cndmask_b32_e64 v49, v47, v51, s9
                                        ; implicit-def: $vgpr47
	v_cmp_ge_i32_e64 s10, v50, v10
	s_delay_alu instid0(VALU_DEP_3) | instskip(NEXT) | instid1(VALU_DEP_3)
	v_cmp_lt_u16_e64 s11, v48, v52
	v_cmp_lt_i32_e64 s12, v49, v11
	s_or_b32 s10, s10, s11
	s_wait_alu 0xfffe
	s_and_b32 s10, s12, s10
	s_wait_alu 0xfffe
	s_xor_b32 s11, s10, -1
	s_wait_alu 0xfffe
	s_and_saveexec_b32 s12, s11
	s_delay_alu instid0(SALU_CYCLE_1)
	s_xor_b32 s11, exec_lo, s12
; %bb.27:                               ;   in Loop: Header=BB88_2 Depth=1
	ds_load_u8 v47, v50 offset:1
; %bb.28:                               ;   in Loop: Header=BB88_2 Depth=1
	s_wait_alu 0xfffe
	s_or_saveexec_b32 s11, s11
	v_mov_b32_e32 v48, v46
	s_wait_alu 0xfffe
	s_xor_b32 exec_lo, exec_lo, s11
	s_cbranch_execz .LBB88_30
; %bb.29:                               ;   in Loop: Header=BB88_2 Depth=1
	ds_load_u8 v48, v49 offset:1
	s_wait_dscnt 0x1
	v_mov_b32_e32 v47, v45
.LBB88_30:                              ;   in Loop: Header=BB88_2 Depth=1
	s_or_b32 exec_lo, exec_lo, s11
	v_add_nc_u32_e32 v51, 1, v50
	v_add_nc_u32_e32 v52, 1, v49
	s_wait_dscnt 0x0
	v_and_b32_e32 v53, 0xff, v47
	v_and_b32_e32 v54, 0xff, v48
	v_cndmask_b32_e64 v51, v51, v50, s10
	v_cndmask_b32_e64 v50, v49, v52, s10
                                        ; implicit-def: $vgpr49
	s_delay_alu instid0(VALU_DEP_3) | instskip(NEXT) | instid1(VALU_DEP_3)
	v_cmp_lt_u16_e64 s12, v54, v53
	v_cmp_ge_i32_e64 s11, v51, v10
	s_delay_alu instid0(VALU_DEP_3)
	v_cmp_lt_i32_e64 s13, v50, v11
	s_or_b32 s11, s11, s12
	s_wait_alu 0xfffe
	s_and_b32 s11, s13, s11
	s_wait_alu 0xfffe
	s_xor_b32 s12, s11, -1
	s_delay_alu instid0(SALU_CYCLE_1) | instskip(NEXT) | instid1(SALU_CYCLE_1)
	s_and_saveexec_b32 s13, s12
	s_xor_b32 s12, exec_lo, s13
; %bb.31:                               ;   in Loop: Header=BB88_2 Depth=1
	ds_load_u8 v49, v51 offset:1
; %bb.32:                               ;   in Loop: Header=BB88_2 Depth=1
	s_or_saveexec_b32 s12, s12
	v_mov_b32_e32 v52, v48
	s_xor_b32 exec_lo, exec_lo, s12
	s_cbranch_execz .LBB88_34
; %bb.33:                               ;   in Loop: Header=BB88_2 Depth=1
	ds_load_u8 v52, v50 offset:1
	s_wait_dscnt 0x1
	v_mov_b32_e32 v49, v47
.LBB88_34:                              ;   in Loop: Header=BB88_2 Depth=1
	s_or_b32 exec_lo, exec_lo, s12
	v_cndmask_b32_e64 v41, v41, v42, s8
	v_cndmask_b32_e64 v37, v37, v38, s6
	;; [unrolled: 1-line block ×4, first 2 shown]
	v_add_nc_u32_e32 v53, 1, v51
	v_lshlrev_b16 v39, 8, v41
	v_lshlrev_b16 v37, 8, v37
	v_and_b32_e32 v35, 0xff, v35
	v_and_b32_e32 v36, 0xff, v36
	v_cndmask_b32_e64 v47, v47, v48, s11
	v_add_nc_u32_e32 v48, 1, v50
	s_wait_dscnt 0x0
	v_and_b32_e32 v54, 0xff, v49
	v_or_b32_e32 v35, v35, v37
	v_or_b32_e32 v36, v36, v39
	v_and_b32_e32 v55, 0xff, v52
	v_cndmask_b32_e64 v51, v53, v51, s11
	v_cndmask_b32_e64 v45, v45, v46, s10
	v_and_b32_e32 v35, 0xffff, v35
	v_lshlrev_b32_e32 v36, 16, v36
	v_cndmask_b32_e64 v43, v43, v44, s9
	v_cmp_lt_u16_e64 s9, v55, v54
	v_cmp_ge_i32_e64 s10, v51, v10
	v_lshlrev_b16 v40, 8, v45
	v_or_b32_e32 v36, v35, v36
	v_mov_b32_e32 v35, v31
	v_cndmask_b32_e64 v46, v50, v48, s11
	s_or_b32 s5, s10, s9
	v_and_b32_e32 v41, 0xff, v43
	v_and_b32_e32 v42, 0xff, v47
	s_wait_loadcnt 0x0
	v_cmp_lt_i32_e64 s8, v46, v11
	s_barrier_signal -1
	v_or_b32_e32 v37, v41, v40
	s_barrier_wait -1
	global_inv scope:SCOPE_SE
	s_wait_alu 0xfffe
	s_and_b32 s5, s8, s5
	s_wait_alu 0xfffe
	v_cndmask_b32_e64 v38, v49, v52, s5
	v_and_b32_e32 v37, 0xffff, v37
	s_delay_alu instid0(VALU_DEP_2) | instskip(NEXT) | instid1(VALU_DEP_1)
	v_lshlrev_b16 v38, 8, v38
	v_or_b32_e32 v38, v42, v38
	s_delay_alu instid0(VALU_DEP_1) | instskip(NEXT) | instid1(VALU_DEP_1)
	v_lshlrev_b32_e32 v38, 16, v38
	v_or_b32_e32 v37, v37, v38
	ds_store_b64 v1, v[36:37]
	s_wait_loadcnt_dscnt 0x0
	s_barrier_signal -1
	s_barrier_wait -1
	global_inv scope:SCOPE_SE
	s_and_saveexec_b32 s6, s1
	s_cbranch_execz .LBB88_38
; %bb.35:                               ;   in Loop: Header=BB88_2 Depth=1
	v_dual_mov_b32 v35, v31 :: v_dual_mov_b32 v36, v26
	s_mov_b32 s7, 0
.LBB88_36:                              ;   Parent Loop BB88_2 Depth=1
                                        ; =>  This Inner Loop Header: Depth=2
	s_delay_alu instid0(VALU_DEP_1) | instskip(NEXT) | instid1(VALU_DEP_1)
	v_sub_nc_u32_e32 v37, v36, v35
	v_lshrrev_b32_e32 v37, 1, v37
	s_delay_alu instid0(VALU_DEP_1) | instskip(NEXT) | instid1(VALU_DEP_1)
	v_add_nc_u32_e32 v37, v37, v35
	v_add_nc_u32_e32 v38, v3, v37
	v_xad_u32 v39, v37, -1, v21
	v_add_nc_u32_e32 v40, 1, v37
	ds_load_u8 v38, v38
	ds_load_u8 v39, v39
	s_wait_dscnt 0x0
	v_cmp_lt_u16_e64 s5, v39, v38
	s_wait_alu 0xf1ff
	s_delay_alu instid0(VALU_DEP_1) | instskip(SKIP_1) | instid1(VALU_DEP_1)
	v_cndmask_b32_e64 v36, v36, v37, s5
	v_cndmask_b32_e64 v35, v40, v35, s5
	v_cmp_ge_i32_e64 s5, v35, v36
	s_wait_alu 0xfffe
	s_or_b32 s7, s5, s7
	s_wait_alu 0xfffe
	s_and_not1_b32 exec_lo, exec_lo, s7
	s_cbranch_execnz .LBB88_36
; %bb.37:                               ;   in Loop: Header=BB88_2 Depth=1
	s_or_b32 exec_lo, exec_lo, s7
.LBB88_38:                              ;   in Loop: Header=BB88_2 Depth=1
	s_wait_alu 0xfffe
	s_or_b32 exec_lo, exec_lo, s6
	v_add_nc_u32_e32 v40, v35, v3
	v_sub_nc_u32_e32 v39, v21, v35
	ds_load_u8 v35, v40
	ds_load_u8 v36, v39
	v_cmp_le_i32_e64 s5, v12, v40
	v_cmp_gt_i32_e64 s7, v13, v39
	s_wait_dscnt 0x1
	v_and_b32_e32 v37, 0xff, v35
	s_wait_dscnt 0x0
	v_and_b32_e32 v38, 0xff, v36
	s_delay_alu instid0(VALU_DEP_1)
	v_cmp_lt_u16_e64 s6, v38, v37
                                        ; implicit-def: $vgpr37
	s_or_b32 s5, s5, s6
	s_wait_alu 0xfffe
	s_and_b32 s5, s7, s5
	s_wait_alu 0xfffe
	s_xor_b32 s6, s5, -1
	s_wait_alu 0xfffe
	s_and_saveexec_b32 s7, s6
	s_wait_alu 0xfffe
	s_xor_b32 s6, exec_lo, s7
; %bb.39:                               ;   in Loop: Header=BB88_2 Depth=1
	ds_load_u8 v37, v40 offset:1
; %bb.40:                               ;   in Loop: Header=BB88_2 Depth=1
	s_wait_alu 0xfffe
	s_or_saveexec_b32 s6, s6
	v_mov_b32_e32 v38, v36
	s_wait_alu 0xfffe
	s_xor_b32 exec_lo, exec_lo, s6
	s_cbranch_execz .LBB88_42
; %bb.41:                               ;   in Loop: Header=BB88_2 Depth=1
	ds_load_u8 v38, v39 offset:1
	s_wait_dscnt 0x1
	v_mov_b32_e32 v37, v35
.LBB88_42:                              ;   in Loop: Header=BB88_2 Depth=1
	s_or_b32 exec_lo, exec_lo, s6
	v_add_nc_u32_e32 v41, 1, v40
	v_add_nc_u32_e32 v43, 1, v39
	s_wait_dscnt 0x0
	v_and_b32_e32 v44, 0xff, v37
	s_delay_alu instid0(VALU_DEP_3) | instskip(SKIP_2) | instid1(VALU_DEP_3)
	v_cndmask_b32_e64 v42, v41, v40, s5
	v_and_b32_e32 v40, 0xff, v38
	v_cndmask_b32_e64 v41, v39, v43, s5
                                        ; implicit-def: $vgpr39
	v_cmp_ge_i32_e64 s6, v42, v12
	s_delay_alu instid0(VALU_DEP_3) | instskip(NEXT) | instid1(VALU_DEP_3)
	v_cmp_lt_u16_e64 s7, v40, v44
	v_cmp_lt_i32_e64 s8, v41, v13
	s_or_b32 s6, s6, s7
	s_wait_alu 0xfffe
	s_and_b32 s6, s8, s6
	s_wait_alu 0xfffe
	s_xor_b32 s7, s6, -1
	s_wait_alu 0xfffe
	s_and_saveexec_b32 s8, s7
	s_wait_alu 0xfffe
	s_xor_b32 s7, exec_lo, s8
; %bb.43:                               ;   in Loop: Header=BB88_2 Depth=1
	ds_load_u8 v39, v42 offset:1
; %bb.44:                               ;   in Loop: Header=BB88_2 Depth=1
	s_wait_alu 0xfffe
	s_or_saveexec_b32 s7, s7
	v_mov_b32_e32 v40, v38
	s_wait_alu 0xfffe
	s_xor_b32 exec_lo, exec_lo, s7
	s_cbranch_execz .LBB88_46
; %bb.45:                               ;   in Loop: Header=BB88_2 Depth=1
	ds_load_u8 v40, v41 offset:1
	s_wait_dscnt 0x1
	v_mov_b32_e32 v39, v37
.LBB88_46:                              ;   in Loop: Header=BB88_2 Depth=1
	s_or_b32 exec_lo, exec_lo, s7
	v_add_nc_u32_e32 v43, 1, v42
	v_add_nc_u32_e32 v45, 1, v41
	s_wait_dscnt 0x0
	v_and_b32_e32 v46, 0xff, v39
	s_delay_alu instid0(VALU_DEP_3) | instskip(SKIP_2) | instid1(VALU_DEP_3)
	v_cndmask_b32_e64 v44, v43, v42, s6
	v_and_b32_e32 v42, 0xff, v40
	v_cndmask_b32_e64 v43, v41, v45, s6
                                        ; implicit-def: $vgpr41
	v_cmp_ge_i32_e64 s7, v44, v12
	s_delay_alu instid0(VALU_DEP_3) | instskip(NEXT) | instid1(VALU_DEP_3)
	v_cmp_lt_u16_e64 s8, v42, v46
	v_cmp_lt_i32_e64 s9, v43, v13
	s_or_b32 s7, s7, s8
	s_wait_alu 0xfffe
	s_and_b32 s7, s9, s7
	s_wait_alu 0xfffe
	s_xor_b32 s8, s7, -1
	s_wait_alu 0xfffe
	s_and_saveexec_b32 s9, s8
	s_wait_alu 0xfffe
	s_xor_b32 s8, exec_lo, s9
; %bb.47:                               ;   in Loop: Header=BB88_2 Depth=1
	ds_load_u8 v41, v44 offset:1
; %bb.48:                               ;   in Loop: Header=BB88_2 Depth=1
	s_wait_alu 0xfffe
	s_or_saveexec_b32 s8, s8
	v_mov_b32_e32 v42, v40
	s_wait_alu 0xfffe
	s_xor_b32 exec_lo, exec_lo, s8
	s_cbranch_execz .LBB88_50
; %bb.49:                               ;   in Loop: Header=BB88_2 Depth=1
	ds_load_u8 v42, v43 offset:1
	s_wait_dscnt 0x1
	v_mov_b32_e32 v41, v39
.LBB88_50:                              ;   in Loop: Header=BB88_2 Depth=1
	s_or_b32 exec_lo, exec_lo, s8
	v_add_nc_u32_e32 v45, 1, v44
	v_add_nc_u32_e32 v47, 1, v43
	s_wait_dscnt 0x0
	v_and_b32_e32 v48, 0xff, v41
	s_delay_alu instid0(VALU_DEP_3) | instskip(SKIP_2) | instid1(VALU_DEP_3)
	v_cndmask_b32_e64 v46, v45, v44, s7
	v_and_b32_e32 v44, 0xff, v42
	v_cndmask_b32_e64 v45, v43, v47, s7
                                        ; implicit-def: $vgpr43
	v_cmp_ge_i32_e64 s8, v46, v12
	s_delay_alu instid0(VALU_DEP_3) | instskip(NEXT) | instid1(VALU_DEP_3)
	v_cmp_lt_u16_e64 s9, v44, v48
	v_cmp_lt_i32_e64 s10, v45, v13
	s_or_b32 s8, s8, s9
	s_wait_alu 0xfffe
	s_and_b32 s8, s10, s8
	s_wait_alu 0xfffe
	s_xor_b32 s9, s8, -1
	s_wait_alu 0xfffe
	s_and_saveexec_b32 s10, s9
	s_wait_alu 0xfffe
	s_xor_b32 s9, exec_lo, s10
; %bb.51:                               ;   in Loop: Header=BB88_2 Depth=1
	ds_load_u8 v43, v46 offset:1
; %bb.52:                               ;   in Loop: Header=BB88_2 Depth=1
	s_wait_alu 0xfffe
	s_or_saveexec_b32 s9, s9
	v_mov_b32_e32 v44, v42
	s_wait_alu 0xfffe
	s_xor_b32 exec_lo, exec_lo, s9
	s_cbranch_execz .LBB88_54
; %bb.53:                               ;   in Loop: Header=BB88_2 Depth=1
	ds_load_u8 v44, v45 offset:1
	s_wait_dscnt 0x1
	v_mov_b32_e32 v43, v41
.LBB88_54:                              ;   in Loop: Header=BB88_2 Depth=1
	s_or_b32 exec_lo, exec_lo, s9
	v_add_nc_u32_e32 v47, 1, v46
	v_add_nc_u32_e32 v49, 1, v45
	s_wait_dscnt 0x0
	v_and_b32_e32 v50, 0xff, v43
	s_delay_alu instid0(VALU_DEP_3) | instskip(SKIP_2) | instid1(VALU_DEP_3)
	v_cndmask_b32_e64 v48, v47, v46, s8
	v_and_b32_e32 v46, 0xff, v44
	v_cndmask_b32_e64 v47, v45, v49, s8
                                        ; implicit-def: $vgpr45
	v_cmp_ge_i32_e64 s9, v48, v12
	s_delay_alu instid0(VALU_DEP_3) | instskip(NEXT) | instid1(VALU_DEP_3)
	v_cmp_lt_u16_e64 s10, v46, v50
	v_cmp_lt_i32_e64 s11, v47, v13
	s_or_b32 s9, s9, s10
	s_wait_alu 0xfffe
	s_and_b32 s9, s11, s9
	s_wait_alu 0xfffe
	s_xor_b32 s10, s9, -1
	s_wait_alu 0xfffe
	s_and_saveexec_b32 s11, s10
	s_wait_alu 0xfffe
	s_xor_b32 s10, exec_lo, s11
; %bb.55:                               ;   in Loop: Header=BB88_2 Depth=1
	ds_load_u8 v45, v48 offset:1
; %bb.56:                               ;   in Loop: Header=BB88_2 Depth=1
	s_wait_alu 0xfffe
	s_or_saveexec_b32 s10, s10
	v_mov_b32_e32 v46, v44
	s_wait_alu 0xfffe
	s_xor_b32 exec_lo, exec_lo, s10
	s_cbranch_execz .LBB88_58
; %bb.57:                               ;   in Loop: Header=BB88_2 Depth=1
	ds_load_u8 v46, v47 offset:1
	s_wait_dscnt 0x1
	v_mov_b32_e32 v45, v43
.LBB88_58:                              ;   in Loop: Header=BB88_2 Depth=1
	s_or_b32 exec_lo, exec_lo, s10
	v_add_nc_u32_e32 v49, 1, v48
	v_add_nc_u32_e32 v51, 1, v47
	s_wait_dscnt 0x0
	v_and_b32_e32 v52, 0xff, v45
	s_delay_alu instid0(VALU_DEP_3) | instskip(SKIP_2) | instid1(VALU_DEP_3)
	v_cndmask_b32_e64 v50, v49, v48, s9
	v_and_b32_e32 v48, 0xff, v46
	v_cndmask_b32_e64 v49, v47, v51, s9
                                        ; implicit-def: $vgpr47
	v_cmp_ge_i32_e64 s10, v50, v12
	s_delay_alu instid0(VALU_DEP_3) | instskip(NEXT) | instid1(VALU_DEP_3)
	v_cmp_lt_u16_e64 s11, v48, v52
	v_cmp_lt_i32_e64 s12, v49, v13
	s_or_b32 s10, s10, s11
	s_wait_alu 0xfffe
	s_and_b32 s10, s12, s10
	s_wait_alu 0xfffe
	s_xor_b32 s11, s10, -1
	s_wait_alu 0xfffe
	s_and_saveexec_b32 s12, s11
	s_delay_alu instid0(SALU_CYCLE_1)
	s_xor_b32 s11, exec_lo, s12
; %bb.59:                               ;   in Loop: Header=BB88_2 Depth=1
	ds_load_u8 v47, v50 offset:1
; %bb.60:                               ;   in Loop: Header=BB88_2 Depth=1
	s_wait_alu 0xfffe
	s_or_saveexec_b32 s11, s11
	v_mov_b32_e32 v48, v46
	s_wait_alu 0xfffe
	s_xor_b32 exec_lo, exec_lo, s11
	s_cbranch_execz .LBB88_62
; %bb.61:                               ;   in Loop: Header=BB88_2 Depth=1
	ds_load_u8 v48, v49 offset:1
	s_wait_dscnt 0x1
	v_mov_b32_e32 v47, v45
.LBB88_62:                              ;   in Loop: Header=BB88_2 Depth=1
	s_or_b32 exec_lo, exec_lo, s11
	v_add_nc_u32_e32 v51, 1, v50
	v_add_nc_u32_e32 v52, 1, v49
	s_wait_dscnt 0x0
	v_and_b32_e32 v53, 0xff, v47
	v_and_b32_e32 v54, 0xff, v48
	v_cndmask_b32_e64 v51, v51, v50, s10
	v_cndmask_b32_e64 v50, v49, v52, s10
                                        ; implicit-def: $vgpr49
	s_delay_alu instid0(VALU_DEP_3) | instskip(NEXT) | instid1(VALU_DEP_3)
	v_cmp_lt_u16_e64 s12, v54, v53
	v_cmp_ge_i32_e64 s11, v51, v12
	s_delay_alu instid0(VALU_DEP_3)
	v_cmp_lt_i32_e64 s13, v50, v13
	s_or_b32 s11, s11, s12
	s_wait_alu 0xfffe
	s_and_b32 s11, s13, s11
	s_wait_alu 0xfffe
	s_xor_b32 s12, s11, -1
	s_delay_alu instid0(SALU_CYCLE_1) | instskip(NEXT) | instid1(SALU_CYCLE_1)
	s_and_saveexec_b32 s13, s12
	s_xor_b32 s12, exec_lo, s13
; %bb.63:                               ;   in Loop: Header=BB88_2 Depth=1
	ds_load_u8 v49, v51 offset:1
; %bb.64:                               ;   in Loop: Header=BB88_2 Depth=1
	s_or_saveexec_b32 s12, s12
	v_mov_b32_e32 v52, v48
	s_xor_b32 exec_lo, exec_lo, s12
	s_cbranch_execz .LBB88_66
; %bb.65:                               ;   in Loop: Header=BB88_2 Depth=1
	ds_load_u8 v52, v50 offset:1
	s_wait_dscnt 0x1
	v_mov_b32_e32 v49, v47
.LBB88_66:                              ;   in Loop: Header=BB88_2 Depth=1
	s_or_b32 exec_lo, exec_lo, s12
	v_cndmask_b32_e64 v41, v41, v42, s8
	v_cndmask_b32_e64 v37, v37, v38, s6
	;; [unrolled: 1-line block ×4, first 2 shown]
	v_add_nc_u32_e32 v53, 1, v51
	v_lshlrev_b16 v39, 8, v41
	v_lshlrev_b16 v37, 8, v37
	v_and_b32_e32 v35, 0xff, v35
	v_and_b32_e32 v36, 0xff, v36
	v_cndmask_b32_e64 v47, v47, v48, s11
	v_add_nc_u32_e32 v48, 1, v50
	s_wait_dscnt 0x0
	v_and_b32_e32 v54, 0xff, v49
	v_or_b32_e32 v35, v35, v37
	v_or_b32_e32 v36, v36, v39
	v_and_b32_e32 v55, 0xff, v52
	v_cndmask_b32_e64 v51, v53, v51, s11
	v_cndmask_b32_e64 v45, v45, v46, s10
	v_and_b32_e32 v35, 0xffff, v35
	v_lshlrev_b32_e32 v36, 16, v36
	v_cndmask_b32_e64 v43, v43, v44, s9
	v_cmp_lt_u16_e64 s9, v55, v54
	v_cmp_ge_i32_e64 s10, v51, v12
	v_lshlrev_b16 v40, 8, v45
	v_or_b32_e32 v36, v35, v36
	v_mov_b32_e32 v35, v32
	v_cndmask_b32_e64 v46, v50, v48, s11
	s_or_b32 s5, s10, s9
	v_and_b32_e32 v41, 0xff, v43
	v_and_b32_e32 v42, 0xff, v47
	s_wait_loadcnt 0x0
	v_cmp_lt_i32_e64 s8, v46, v13
	s_barrier_signal -1
	v_or_b32_e32 v37, v41, v40
	s_barrier_wait -1
	global_inv scope:SCOPE_SE
	s_wait_alu 0xfffe
	s_and_b32 s5, s8, s5
	s_wait_alu 0xfffe
	v_cndmask_b32_e64 v38, v49, v52, s5
	v_and_b32_e32 v37, 0xffff, v37
	s_delay_alu instid0(VALU_DEP_2) | instskip(NEXT) | instid1(VALU_DEP_1)
	v_lshlrev_b16 v38, 8, v38
	v_or_b32_e32 v38, v42, v38
	s_delay_alu instid0(VALU_DEP_1) | instskip(NEXT) | instid1(VALU_DEP_1)
	v_lshlrev_b32_e32 v38, 16, v38
	v_or_b32_e32 v37, v37, v38
	ds_store_b64 v1, v[36:37]
	s_wait_loadcnt_dscnt 0x0
	s_barrier_signal -1
	s_barrier_wait -1
	global_inv scope:SCOPE_SE
	s_and_saveexec_b32 s6, s2
	s_cbranch_execz .LBB88_70
; %bb.67:                               ;   in Loop: Header=BB88_2 Depth=1
	v_dual_mov_b32 v35, v32 :: v_dual_mov_b32 v36, v27
	s_mov_b32 s7, 0
.LBB88_68:                              ;   Parent Loop BB88_2 Depth=1
                                        ; =>  This Inner Loop Header: Depth=2
	s_delay_alu instid0(VALU_DEP_1) | instskip(NEXT) | instid1(VALU_DEP_1)
	v_sub_nc_u32_e32 v37, v36, v35
	v_lshrrev_b32_e32 v37, 1, v37
	s_delay_alu instid0(VALU_DEP_1) | instskip(NEXT) | instid1(VALU_DEP_1)
	v_add_nc_u32_e32 v37, v37, v35
	v_add_nc_u32_e32 v38, v4, v37
	v_xad_u32 v39, v37, -1, v22
	v_add_nc_u32_e32 v40, 1, v37
	ds_load_u8 v38, v38
	ds_load_u8 v39, v39
	s_wait_dscnt 0x0
	v_cmp_lt_u16_e64 s5, v39, v38
	s_wait_alu 0xf1ff
	s_delay_alu instid0(VALU_DEP_1) | instskip(SKIP_1) | instid1(VALU_DEP_1)
	v_cndmask_b32_e64 v36, v36, v37, s5
	v_cndmask_b32_e64 v35, v40, v35, s5
	v_cmp_ge_i32_e64 s5, v35, v36
	s_wait_alu 0xfffe
	s_or_b32 s7, s5, s7
	s_wait_alu 0xfffe
	s_and_not1_b32 exec_lo, exec_lo, s7
	s_cbranch_execnz .LBB88_68
; %bb.69:                               ;   in Loop: Header=BB88_2 Depth=1
	s_or_b32 exec_lo, exec_lo, s7
.LBB88_70:                              ;   in Loop: Header=BB88_2 Depth=1
	s_wait_alu 0xfffe
	s_or_b32 exec_lo, exec_lo, s6
	v_add_nc_u32_e32 v40, v35, v4
	v_sub_nc_u32_e32 v39, v22, v35
	ds_load_u8 v35, v40
	ds_load_u8 v36, v39
	v_cmp_le_i32_e64 s5, v14, v40
	v_cmp_gt_i32_e64 s7, v15, v39
	s_wait_dscnt 0x1
	v_and_b32_e32 v37, 0xff, v35
	s_wait_dscnt 0x0
	v_and_b32_e32 v38, 0xff, v36
	s_delay_alu instid0(VALU_DEP_1)
	v_cmp_lt_u16_e64 s6, v38, v37
                                        ; implicit-def: $vgpr37
	s_or_b32 s5, s5, s6
	s_wait_alu 0xfffe
	s_and_b32 s5, s7, s5
	s_wait_alu 0xfffe
	s_xor_b32 s6, s5, -1
	s_wait_alu 0xfffe
	s_and_saveexec_b32 s7, s6
	s_wait_alu 0xfffe
	s_xor_b32 s6, exec_lo, s7
; %bb.71:                               ;   in Loop: Header=BB88_2 Depth=1
	ds_load_u8 v37, v40 offset:1
; %bb.72:                               ;   in Loop: Header=BB88_2 Depth=1
	s_wait_alu 0xfffe
	s_or_saveexec_b32 s6, s6
	v_mov_b32_e32 v38, v36
	s_wait_alu 0xfffe
	s_xor_b32 exec_lo, exec_lo, s6
	s_cbranch_execz .LBB88_74
; %bb.73:                               ;   in Loop: Header=BB88_2 Depth=1
	ds_load_u8 v38, v39 offset:1
	s_wait_dscnt 0x1
	v_mov_b32_e32 v37, v35
.LBB88_74:                              ;   in Loop: Header=BB88_2 Depth=1
	s_or_b32 exec_lo, exec_lo, s6
	v_add_nc_u32_e32 v41, 1, v40
	v_add_nc_u32_e32 v43, 1, v39
	s_wait_dscnt 0x0
	v_and_b32_e32 v44, 0xff, v37
	s_delay_alu instid0(VALU_DEP_3) | instskip(SKIP_2) | instid1(VALU_DEP_3)
	v_cndmask_b32_e64 v42, v41, v40, s5
	v_and_b32_e32 v40, 0xff, v38
	v_cndmask_b32_e64 v41, v39, v43, s5
                                        ; implicit-def: $vgpr39
	v_cmp_ge_i32_e64 s6, v42, v14
	s_delay_alu instid0(VALU_DEP_3) | instskip(NEXT) | instid1(VALU_DEP_3)
	v_cmp_lt_u16_e64 s7, v40, v44
	v_cmp_lt_i32_e64 s8, v41, v15
	s_or_b32 s6, s6, s7
	s_wait_alu 0xfffe
	s_and_b32 s6, s8, s6
	s_wait_alu 0xfffe
	s_xor_b32 s7, s6, -1
	s_wait_alu 0xfffe
	s_and_saveexec_b32 s8, s7
	s_wait_alu 0xfffe
	s_xor_b32 s7, exec_lo, s8
; %bb.75:                               ;   in Loop: Header=BB88_2 Depth=1
	ds_load_u8 v39, v42 offset:1
; %bb.76:                               ;   in Loop: Header=BB88_2 Depth=1
	s_wait_alu 0xfffe
	s_or_saveexec_b32 s7, s7
	v_mov_b32_e32 v40, v38
	s_wait_alu 0xfffe
	s_xor_b32 exec_lo, exec_lo, s7
	s_cbranch_execz .LBB88_78
; %bb.77:                               ;   in Loop: Header=BB88_2 Depth=1
	ds_load_u8 v40, v41 offset:1
	s_wait_dscnt 0x1
	v_mov_b32_e32 v39, v37
.LBB88_78:                              ;   in Loop: Header=BB88_2 Depth=1
	s_or_b32 exec_lo, exec_lo, s7
	v_add_nc_u32_e32 v43, 1, v42
	v_add_nc_u32_e32 v45, 1, v41
	s_wait_dscnt 0x0
	v_and_b32_e32 v46, 0xff, v39
	s_delay_alu instid0(VALU_DEP_3) | instskip(SKIP_2) | instid1(VALU_DEP_3)
	v_cndmask_b32_e64 v44, v43, v42, s6
	v_and_b32_e32 v42, 0xff, v40
	v_cndmask_b32_e64 v43, v41, v45, s6
                                        ; implicit-def: $vgpr41
	v_cmp_ge_i32_e64 s7, v44, v14
	s_delay_alu instid0(VALU_DEP_3) | instskip(NEXT) | instid1(VALU_DEP_3)
	v_cmp_lt_u16_e64 s8, v42, v46
	v_cmp_lt_i32_e64 s9, v43, v15
	s_or_b32 s7, s7, s8
	s_wait_alu 0xfffe
	s_and_b32 s7, s9, s7
	s_wait_alu 0xfffe
	s_xor_b32 s8, s7, -1
	s_wait_alu 0xfffe
	s_and_saveexec_b32 s9, s8
	s_wait_alu 0xfffe
	s_xor_b32 s8, exec_lo, s9
; %bb.79:                               ;   in Loop: Header=BB88_2 Depth=1
	ds_load_u8 v41, v44 offset:1
; %bb.80:                               ;   in Loop: Header=BB88_2 Depth=1
	s_wait_alu 0xfffe
	s_or_saveexec_b32 s8, s8
	v_mov_b32_e32 v42, v40
	s_wait_alu 0xfffe
	s_xor_b32 exec_lo, exec_lo, s8
	s_cbranch_execz .LBB88_82
; %bb.81:                               ;   in Loop: Header=BB88_2 Depth=1
	ds_load_u8 v42, v43 offset:1
	s_wait_dscnt 0x1
	v_mov_b32_e32 v41, v39
.LBB88_82:                              ;   in Loop: Header=BB88_2 Depth=1
	s_or_b32 exec_lo, exec_lo, s8
	v_add_nc_u32_e32 v45, 1, v44
	v_add_nc_u32_e32 v47, 1, v43
	s_wait_dscnt 0x0
	v_and_b32_e32 v48, 0xff, v41
	s_delay_alu instid0(VALU_DEP_3) | instskip(SKIP_2) | instid1(VALU_DEP_3)
	v_cndmask_b32_e64 v46, v45, v44, s7
	v_and_b32_e32 v44, 0xff, v42
	v_cndmask_b32_e64 v45, v43, v47, s7
                                        ; implicit-def: $vgpr43
	v_cmp_ge_i32_e64 s8, v46, v14
	s_delay_alu instid0(VALU_DEP_3) | instskip(NEXT) | instid1(VALU_DEP_3)
	v_cmp_lt_u16_e64 s9, v44, v48
	v_cmp_lt_i32_e64 s10, v45, v15
	s_or_b32 s8, s8, s9
	s_wait_alu 0xfffe
	s_and_b32 s8, s10, s8
	s_wait_alu 0xfffe
	s_xor_b32 s9, s8, -1
	s_wait_alu 0xfffe
	s_and_saveexec_b32 s10, s9
	s_wait_alu 0xfffe
	s_xor_b32 s9, exec_lo, s10
; %bb.83:                               ;   in Loop: Header=BB88_2 Depth=1
	ds_load_u8 v43, v46 offset:1
; %bb.84:                               ;   in Loop: Header=BB88_2 Depth=1
	s_wait_alu 0xfffe
	s_or_saveexec_b32 s9, s9
	v_mov_b32_e32 v44, v42
	s_wait_alu 0xfffe
	s_xor_b32 exec_lo, exec_lo, s9
	s_cbranch_execz .LBB88_86
; %bb.85:                               ;   in Loop: Header=BB88_2 Depth=1
	ds_load_u8 v44, v45 offset:1
	s_wait_dscnt 0x1
	v_mov_b32_e32 v43, v41
.LBB88_86:                              ;   in Loop: Header=BB88_2 Depth=1
	s_or_b32 exec_lo, exec_lo, s9
	v_add_nc_u32_e32 v47, 1, v46
	v_add_nc_u32_e32 v49, 1, v45
	s_wait_dscnt 0x0
	v_and_b32_e32 v50, 0xff, v43
	s_delay_alu instid0(VALU_DEP_3) | instskip(SKIP_2) | instid1(VALU_DEP_3)
	v_cndmask_b32_e64 v48, v47, v46, s8
	v_and_b32_e32 v46, 0xff, v44
	v_cndmask_b32_e64 v47, v45, v49, s8
                                        ; implicit-def: $vgpr45
	v_cmp_ge_i32_e64 s9, v48, v14
	s_delay_alu instid0(VALU_DEP_3) | instskip(NEXT) | instid1(VALU_DEP_3)
	v_cmp_lt_u16_e64 s10, v46, v50
	v_cmp_lt_i32_e64 s11, v47, v15
	s_or_b32 s9, s9, s10
	s_wait_alu 0xfffe
	s_and_b32 s9, s11, s9
	s_wait_alu 0xfffe
	s_xor_b32 s10, s9, -1
	s_wait_alu 0xfffe
	s_and_saveexec_b32 s11, s10
	s_wait_alu 0xfffe
	s_xor_b32 s10, exec_lo, s11
; %bb.87:                               ;   in Loop: Header=BB88_2 Depth=1
	ds_load_u8 v45, v48 offset:1
; %bb.88:                               ;   in Loop: Header=BB88_2 Depth=1
	s_wait_alu 0xfffe
	s_or_saveexec_b32 s10, s10
	v_mov_b32_e32 v46, v44
	s_wait_alu 0xfffe
	s_xor_b32 exec_lo, exec_lo, s10
	s_cbranch_execz .LBB88_90
; %bb.89:                               ;   in Loop: Header=BB88_2 Depth=1
	ds_load_u8 v46, v47 offset:1
	s_wait_dscnt 0x1
	v_mov_b32_e32 v45, v43
.LBB88_90:                              ;   in Loop: Header=BB88_2 Depth=1
	s_or_b32 exec_lo, exec_lo, s10
	v_add_nc_u32_e32 v49, 1, v48
	v_add_nc_u32_e32 v51, 1, v47
	s_wait_dscnt 0x0
	v_and_b32_e32 v52, 0xff, v45
	s_delay_alu instid0(VALU_DEP_3) | instskip(SKIP_2) | instid1(VALU_DEP_3)
	v_cndmask_b32_e64 v50, v49, v48, s9
	v_and_b32_e32 v48, 0xff, v46
	v_cndmask_b32_e64 v49, v47, v51, s9
                                        ; implicit-def: $vgpr47
	v_cmp_ge_i32_e64 s10, v50, v14
	s_delay_alu instid0(VALU_DEP_3) | instskip(NEXT) | instid1(VALU_DEP_3)
	v_cmp_lt_u16_e64 s11, v48, v52
	v_cmp_lt_i32_e64 s12, v49, v15
	s_or_b32 s10, s10, s11
	s_wait_alu 0xfffe
	s_and_b32 s10, s12, s10
	s_wait_alu 0xfffe
	s_xor_b32 s11, s10, -1
	s_wait_alu 0xfffe
	s_and_saveexec_b32 s12, s11
	s_delay_alu instid0(SALU_CYCLE_1)
	s_xor_b32 s11, exec_lo, s12
; %bb.91:                               ;   in Loop: Header=BB88_2 Depth=1
	ds_load_u8 v47, v50 offset:1
; %bb.92:                               ;   in Loop: Header=BB88_2 Depth=1
	s_wait_alu 0xfffe
	s_or_saveexec_b32 s11, s11
	v_mov_b32_e32 v48, v46
	s_wait_alu 0xfffe
	s_xor_b32 exec_lo, exec_lo, s11
	s_cbranch_execz .LBB88_94
; %bb.93:                               ;   in Loop: Header=BB88_2 Depth=1
	ds_load_u8 v48, v49 offset:1
	s_wait_dscnt 0x1
	v_mov_b32_e32 v47, v45
.LBB88_94:                              ;   in Loop: Header=BB88_2 Depth=1
	s_or_b32 exec_lo, exec_lo, s11
	v_add_nc_u32_e32 v51, 1, v50
	v_add_nc_u32_e32 v52, 1, v49
	s_wait_dscnt 0x0
	v_and_b32_e32 v53, 0xff, v47
	v_and_b32_e32 v54, 0xff, v48
	v_cndmask_b32_e64 v51, v51, v50, s10
	v_cndmask_b32_e64 v50, v49, v52, s10
                                        ; implicit-def: $vgpr49
	s_delay_alu instid0(VALU_DEP_3) | instskip(NEXT) | instid1(VALU_DEP_3)
	v_cmp_lt_u16_e64 s12, v54, v53
	v_cmp_ge_i32_e64 s11, v51, v14
	s_delay_alu instid0(VALU_DEP_3)
	v_cmp_lt_i32_e64 s13, v50, v15
	s_or_b32 s11, s11, s12
	s_wait_alu 0xfffe
	s_and_b32 s11, s13, s11
	s_wait_alu 0xfffe
	s_xor_b32 s12, s11, -1
	s_delay_alu instid0(SALU_CYCLE_1) | instskip(NEXT) | instid1(SALU_CYCLE_1)
	s_and_saveexec_b32 s13, s12
	s_xor_b32 s12, exec_lo, s13
; %bb.95:                               ;   in Loop: Header=BB88_2 Depth=1
	ds_load_u8 v49, v51 offset:1
; %bb.96:                               ;   in Loop: Header=BB88_2 Depth=1
	s_or_saveexec_b32 s12, s12
	v_mov_b32_e32 v52, v48
	s_xor_b32 exec_lo, exec_lo, s12
	s_cbranch_execz .LBB88_98
; %bb.97:                               ;   in Loop: Header=BB88_2 Depth=1
	ds_load_u8 v52, v50 offset:1
	s_wait_dscnt 0x1
	v_mov_b32_e32 v49, v47
.LBB88_98:                              ;   in Loop: Header=BB88_2 Depth=1
	s_or_b32 exec_lo, exec_lo, s12
	v_cndmask_b32_e64 v41, v41, v42, s8
	v_cndmask_b32_e64 v37, v37, v38, s6
	;; [unrolled: 1-line block ×4, first 2 shown]
	v_add_nc_u32_e32 v53, 1, v51
	v_lshlrev_b16 v39, 8, v41
	v_lshlrev_b16 v37, 8, v37
	v_and_b32_e32 v35, 0xff, v35
	v_and_b32_e32 v36, 0xff, v36
	v_cndmask_b32_e64 v47, v47, v48, s11
	v_add_nc_u32_e32 v48, 1, v50
	s_wait_dscnt 0x0
	v_and_b32_e32 v54, 0xff, v49
	v_or_b32_e32 v35, v35, v37
	v_or_b32_e32 v36, v36, v39
	v_and_b32_e32 v55, 0xff, v52
	v_cndmask_b32_e64 v51, v53, v51, s11
	v_cndmask_b32_e64 v45, v45, v46, s10
	v_and_b32_e32 v35, 0xffff, v35
	v_lshlrev_b32_e32 v36, 16, v36
	v_cndmask_b32_e64 v43, v43, v44, s9
	v_cmp_lt_u16_e64 s9, v55, v54
	v_cmp_ge_i32_e64 s10, v51, v14
	v_lshlrev_b16 v40, 8, v45
	v_or_b32_e32 v36, v35, v36
	v_mov_b32_e32 v35, v33
	v_cndmask_b32_e64 v46, v50, v48, s11
	s_or_b32 s5, s10, s9
	v_and_b32_e32 v41, 0xff, v43
	v_and_b32_e32 v42, 0xff, v47
	s_wait_loadcnt 0x0
	v_cmp_lt_i32_e64 s8, v46, v15
	s_barrier_signal -1
	v_or_b32_e32 v37, v41, v40
	s_barrier_wait -1
	global_inv scope:SCOPE_SE
	s_wait_alu 0xfffe
	s_and_b32 s5, s8, s5
	s_wait_alu 0xfffe
	v_cndmask_b32_e64 v38, v49, v52, s5
	v_and_b32_e32 v37, 0xffff, v37
	s_delay_alu instid0(VALU_DEP_2) | instskip(NEXT) | instid1(VALU_DEP_1)
	v_lshlrev_b16 v38, 8, v38
	v_or_b32_e32 v38, v42, v38
	s_delay_alu instid0(VALU_DEP_1) | instskip(NEXT) | instid1(VALU_DEP_1)
	v_lshlrev_b32_e32 v38, 16, v38
	v_or_b32_e32 v37, v37, v38
	ds_store_b64 v1, v[36:37]
	s_wait_loadcnt_dscnt 0x0
	s_barrier_signal -1
	s_barrier_wait -1
	global_inv scope:SCOPE_SE
	s_and_saveexec_b32 s6, s3
	s_cbranch_execz .LBB88_102
; %bb.99:                               ;   in Loop: Header=BB88_2 Depth=1
	v_dual_mov_b32 v35, v33 :: v_dual_mov_b32 v36, v28
	s_mov_b32 s7, 0
.LBB88_100:                             ;   Parent Loop BB88_2 Depth=1
                                        ; =>  This Inner Loop Header: Depth=2
	s_delay_alu instid0(VALU_DEP_1) | instskip(NEXT) | instid1(VALU_DEP_1)
	v_sub_nc_u32_e32 v37, v36, v35
	v_lshrrev_b32_e32 v37, 1, v37
	s_delay_alu instid0(VALU_DEP_1) | instskip(NEXT) | instid1(VALU_DEP_1)
	v_add_nc_u32_e32 v37, v37, v35
	v_add_nc_u32_e32 v38, v5, v37
	v_xad_u32 v39, v37, -1, v23
	v_add_nc_u32_e32 v40, 1, v37
	ds_load_u8 v38, v38
	ds_load_u8 v39, v39
	s_wait_dscnt 0x0
	v_cmp_lt_u16_e64 s5, v39, v38
	s_wait_alu 0xf1ff
	s_delay_alu instid0(VALU_DEP_1) | instskip(SKIP_1) | instid1(VALU_DEP_1)
	v_cndmask_b32_e64 v36, v36, v37, s5
	v_cndmask_b32_e64 v35, v40, v35, s5
	v_cmp_ge_i32_e64 s5, v35, v36
	s_wait_alu 0xfffe
	s_or_b32 s7, s5, s7
	s_wait_alu 0xfffe
	s_and_not1_b32 exec_lo, exec_lo, s7
	s_cbranch_execnz .LBB88_100
; %bb.101:                              ;   in Loop: Header=BB88_2 Depth=1
	s_or_b32 exec_lo, exec_lo, s7
.LBB88_102:                             ;   in Loop: Header=BB88_2 Depth=1
	s_wait_alu 0xfffe
	s_or_b32 exec_lo, exec_lo, s6
	v_add_nc_u32_e32 v40, v35, v5
	v_sub_nc_u32_e32 v39, v23, v35
	ds_load_u8 v35, v40
	ds_load_u8 v36, v39
	v_cmp_le_i32_e64 s5, v16, v40
	v_cmp_gt_i32_e64 s7, v17, v39
	s_wait_dscnt 0x1
	v_and_b32_e32 v37, 0xff, v35
	s_wait_dscnt 0x0
	v_and_b32_e32 v38, 0xff, v36
	s_delay_alu instid0(VALU_DEP_1)
	v_cmp_lt_u16_e64 s6, v38, v37
                                        ; implicit-def: $vgpr37
	s_or_b32 s5, s5, s6
	s_wait_alu 0xfffe
	s_and_b32 s5, s7, s5
	s_wait_alu 0xfffe
	s_xor_b32 s6, s5, -1
	s_wait_alu 0xfffe
	s_and_saveexec_b32 s7, s6
	s_wait_alu 0xfffe
	s_xor_b32 s6, exec_lo, s7
; %bb.103:                              ;   in Loop: Header=BB88_2 Depth=1
	ds_load_u8 v37, v40 offset:1
; %bb.104:                              ;   in Loop: Header=BB88_2 Depth=1
	s_wait_alu 0xfffe
	s_or_saveexec_b32 s6, s6
	v_mov_b32_e32 v38, v36
	s_wait_alu 0xfffe
	s_xor_b32 exec_lo, exec_lo, s6
	s_cbranch_execz .LBB88_106
; %bb.105:                              ;   in Loop: Header=BB88_2 Depth=1
	ds_load_u8 v38, v39 offset:1
	s_wait_dscnt 0x1
	v_mov_b32_e32 v37, v35
.LBB88_106:                             ;   in Loop: Header=BB88_2 Depth=1
	s_or_b32 exec_lo, exec_lo, s6
	v_add_nc_u32_e32 v41, 1, v40
	v_add_nc_u32_e32 v43, 1, v39
	s_wait_dscnt 0x0
	v_and_b32_e32 v44, 0xff, v37
	s_delay_alu instid0(VALU_DEP_3) | instskip(SKIP_2) | instid1(VALU_DEP_3)
	v_cndmask_b32_e64 v42, v41, v40, s5
	v_and_b32_e32 v40, 0xff, v38
	v_cndmask_b32_e64 v41, v39, v43, s5
                                        ; implicit-def: $vgpr39
	v_cmp_ge_i32_e64 s6, v42, v16
	s_delay_alu instid0(VALU_DEP_3) | instskip(NEXT) | instid1(VALU_DEP_3)
	v_cmp_lt_u16_e64 s7, v40, v44
	v_cmp_lt_i32_e64 s8, v41, v17
	s_or_b32 s6, s6, s7
	s_wait_alu 0xfffe
	s_and_b32 s6, s8, s6
	s_wait_alu 0xfffe
	s_xor_b32 s7, s6, -1
	s_wait_alu 0xfffe
	s_and_saveexec_b32 s8, s7
	s_wait_alu 0xfffe
	s_xor_b32 s7, exec_lo, s8
; %bb.107:                              ;   in Loop: Header=BB88_2 Depth=1
	ds_load_u8 v39, v42 offset:1
; %bb.108:                              ;   in Loop: Header=BB88_2 Depth=1
	s_wait_alu 0xfffe
	s_or_saveexec_b32 s7, s7
	v_mov_b32_e32 v40, v38
	s_wait_alu 0xfffe
	s_xor_b32 exec_lo, exec_lo, s7
	s_cbranch_execz .LBB88_110
; %bb.109:                              ;   in Loop: Header=BB88_2 Depth=1
	ds_load_u8 v40, v41 offset:1
	s_wait_dscnt 0x1
	v_mov_b32_e32 v39, v37
.LBB88_110:                             ;   in Loop: Header=BB88_2 Depth=1
	s_or_b32 exec_lo, exec_lo, s7
	v_add_nc_u32_e32 v43, 1, v42
	v_add_nc_u32_e32 v45, 1, v41
	s_wait_dscnt 0x0
	v_and_b32_e32 v46, 0xff, v39
	s_delay_alu instid0(VALU_DEP_3) | instskip(SKIP_2) | instid1(VALU_DEP_3)
	v_cndmask_b32_e64 v44, v43, v42, s6
	v_and_b32_e32 v42, 0xff, v40
	v_cndmask_b32_e64 v43, v41, v45, s6
                                        ; implicit-def: $vgpr41
	v_cmp_ge_i32_e64 s7, v44, v16
	s_delay_alu instid0(VALU_DEP_3) | instskip(NEXT) | instid1(VALU_DEP_3)
	v_cmp_lt_u16_e64 s8, v42, v46
	v_cmp_lt_i32_e64 s9, v43, v17
	s_or_b32 s7, s7, s8
	s_wait_alu 0xfffe
	s_and_b32 s7, s9, s7
	s_wait_alu 0xfffe
	s_xor_b32 s8, s7, -1
	s_wait_alu 0xfffe
	s_and_saveexec_b32 s9, s8
	s_wait_alu 0xfffe
	s_xor_b32 s8, exec_lo, s9
; %bb.111:                              ;   in Loop: Header=BB88_2 Depth=1
	ds_load_u8 v41, v44 offset:1
; %bb.112:                              ;   in Loop: Header=BB88_2 Depth=1
	s_wait_alu 0xfffe
	s_or_saveexec_b32 s8, s8
	v_mov_b32_e32 v42, v40
	s_wait_alu 0xfffe
	s_xor_b32 exec_lo, exec_lo, s8
	s_cbranch_execz .LBB88_114
; %bb.113:                              ;   in Loop: Header=BB88_2 Depth=1
	ds_load_u8 v42, v43 offset:1
	s_wait_dscnt 0x1
	v_mov_b32_e32 v41, v39
.LBB88_114:                             ;   in Loop: Header=BB88_2 Depth=1
	s_or_b32 exec_lo, exec_lo, s8
	v_add_nc_u32_e32 v45, 1, v44
	v_add_nc_u32_e32 v47, 1, v43
	s_wait_dscnt 0x0
	v_and_b32_e32 v48, 0xff, v41
	s_delay_alu instid0(VALU_DEP_3) | instskip(SKIP_2) | instid1(VALU_DEP_3)
	v_cndmask_b32_e64 v46, v45, v44, s7
	v_and_b32_e32 v44, 0xff, v42
	v_cndmask_b32_e64 v45, v43, v47, s7
                                        ; implicit-def: $vgpr43
	v_cmp_ge_i32_e64 s8, v46, v16
	s_delay_alu instid0(VALU_DEP_3) | instskip(NEXT) | instid1(VALU_DEP_3)
	v_cmp_lt_u16_e64 s9, v44, v48
	v_cmp_lt_i32_e64 s10, v45, v17
	s_or_b32 s8, s8, s9
	s_wait_alu 0xfffe
	s_and_b32 s8, s10, s8
	s_wait_alu 0xfffe
	s_xor_b32 s9, s8, -1
	s_wait_alu 0xfffe
	s_and_saveexec_b32 s10, s9
	s_wait_alu 0xfffe
	s_xor_b32 s9, exec_lo, s10
; %bb.115:                              ;   in Loop: Header=BB88_2 Depth=1
	ds_load_u8 v43, v46 offset:1
; %bb.116:                              ;   in Loop: Header=BB88_2 Depth=1
	s_wait_alu 0xfffe
	s_or_saveexec_b32 s9, s9
	v_mov_b32_e32 v44, v42
	s_wait_alu 0xfffe
	s_xor_b32 exec_lo, exec_lo, s9
	s_cbranch_execz .LBB88_118
; %bb.117:                              ;   in Loop: Header=BB88_2 Depth=1
	ds_load_u8 v44, v45 offset:1
	s_wait_dscnt 0x1
	v_mov_b32_e32 v43, v41
.LBB88_118:                             ;   in Loop: Header=BB88_2 Depth=1
	s_or_b32 exec_lo, exec_lo, s9
	v_add_nc_u32_e32 v47, 1, v46
	v_add_nc_u32_e32 v49, 1, v45
	s_wait_dscnt 0x0
	v_and_b32_e32 v50, 0xff, v43
	s_delay_alu instid0(VALU_DEP_3) | instskip(SKIP_2) | instid1(VALU_DEP_3)
	v_cndmask_b32_e64 v48, v47, v46, s8
	v_and_b32_e32 v46, 0xff, v44
	v_cndmask_b32_e64 v47, v45, v49, s8
                                        ; implicit-def: $vgpr45
	v_cmp_ge_i32_e64 s9, v48, v16
	s_delay_alu instid0(VALU_DEP_3) | instskip(NEXT) | instid1(VALU_DEP_3)
	v_cmp_lt_u16_e64 s10, v46, v50
	v_cmp_lt_i32_e64 s11, v47, v17
	s_or_b32 s9, s9, s10
	s_wait_alu 0xfffe
	s_and_b32 s9, s11, s9
	s_wait_alu 0xfffe
	s_xor_b32 s10, s9, -1
	s_wait_alu 0xfffe
	s_and_saveexec_b32 s11, s10
	s_wait_alu 0xfffe
	s_xor_b32 s10, exec_lo, s11
; %bb.119:                              ;   in Loop: Header=BB88_2 Depth=1
	ds_load_u8 v45, v48 offset:1
; %bb.120:                              ;   in Loop: Header=BB88_2 Depth=1
	s_wait_alu 0xfffe
	s_or_saveexec_b32 s10, s10
	v_mov_b32_e32 v46, v44
	s_wait_alu 0xfffe
	s_xor_b32 exec_lo, exec_lo, s10
	s_cbranch_execz .LBB88_122
; %bb.121:                              ;   in Loop: Header=BB88_2 Depth=1
	ds_load_u8 v46, v47 offset:1
	s_wait_dscnt 0x1
	v_mov_b32_e32 v45, v43
.LBB88_122:                             ;   in Loop: Header=BB88_2 Depth=1
	s_or_b32 exec_lo, exec_lo, s10
	v_add_nc_u32_e32 v49, 1, v48
	v_add_nc_u32_e32 v51, 1, v47
	s_wait_dscnt 0x0
	v_and_b32_e32 v52, 0xff, v45
	s_delay_alu instid0(VALU_DEP_3) | instskip(SKIP_2) | instid1(VALU_DEP_3)
	v_cndmask_b32_e64 v50, v49, v48, s9
	v_and_b32_e32 v48, 0xff, v46
	v_cndmask_b32_e64 v49, v47, v51, s9
                                        ; implicit-def: $vgpr47
	v_cmp_ge_i32_e64 s10, v50, v16
	s_delay_alu instid0(VALU_DEP_3) | instskip(NEXT) | instid1(VALU_DEP_3)
	v_cmp_lt_u16_e64 s11, v48, v52
	v_cmp_lt_i32_e64 s12, v49, v17
	s_or_b32 s10, s10, s11
	s_wait_alu 0xfffe
	s_and_b32 s10, s12, s10
	s_wait_alu 0xfffe
	s_xor_b32 s11, s10, -1
	s_wait_alu 0xfffe
	s_and_saveexec_b32 s12, s11
	s_delay_alu instid0(SALU_CYCLE_1)
	s_xor_b32 s11, exec_lo, s12
; %bb.123:                              ;   in Loop: Header=BB88_2 Depth=1
	ds_load_u8 v47, v50 offset:1
; %bb.124:                              ;   in Loop: Header=BB88_2 Depth=1
	s_wait_alu 0xfffe
	s_or_saveexec_b32 s11, s11
	v_mov_b32_e32 v48, v46
	s_wait_alu 0xfffe
	s_xor_b32 exec_lo, exec_lo, s11
	s_cbranch_execz .LBB88_126
; %bb.125:                              ;   in Loop: Header=BB88_2 Depth=1
	ds_load_u8 v48, v49 offset:1
	s_wait_dscnt 0x1
	v_mov_b32_e32 v47, v45
.LBB88_126:                             ;   in Loop: Header=BB88_2 Depth=1
	s_or_b32 exec_lo, exec_lo, s11
	v_add_nc_u32_e32 v51, 1, v50
	v_add_nc_u32_e32 v52, 1, v49
	s_wait_dscnt 0x0
	v_and_b32_e32 v53, 0xff, v47
	v_and_b32_e32 v54, 0xff, v48
	v_cndmask_b32_e64 v51, v51, v50, s10
	v_cndmask_b32_e64 v50, v49, v52, s10
                                        ; implicit-def: $vgpr49
	s_delay_alu instid0(VALU_DEP_3) | instskip(NEXT) | instid1(VALU_DEP_3)
	v_cmp_lt_u16_e64 s12, v54, v53
	v_cmp_ge_i32_e64 s11, v51, v16
	s_delay_alu instid0(VALU_DEP_3)
	v_cmp_lt_i32_e64 s13, v50, v17
	s_or_b32 s11, s11, s12
	s_wait_alu 0xfffe
	s_and_b32 s11, s13, s11
	s_wait_alu 0xfffe
	s_xor_b32 s12, s11, -1
	s_delay_alu instid0(SALU_CYCLE_1) | instskip(NEXT) | instid1(SALU_CYCLE_1)
	s_and_saveexec_b32 s13, s12
	s_xor_b32 s12, exec_lo, s13
; %bb.127:                              ;   in Loop: Header=BB88_2 Depth=1
	ds_load_u8 v49, v51 offset:1
; %bb.128:                              ;   in Loop: Header=BB88_2 Depth=1
	s_or_saveexec_b32 s12, s12
	v_mov_b32_e32 v52, v48
	s_xor_b32 exec_lo, exec_lo, s12
	s_cbranch_execz .LBB88_130
; %bb.129:                              ;   in Loop: Header=BB88_2 Depth=1
	ds_load_u8 v52, v50 offset:1
	s_wait_dscnt 0x1
	v_mov_b32_e32 v49, v47
.LBB88_130:                             ;   in Loop: Header=BB88_2 Depth=1
	s_or_b32 exec_lo, exec_lo, s12
	v_cndmask_b32_e64 v41, v41, v42, s8
	v_cndmask_b32_e64 v37, v37, v38, s6
	;; [unrolled: 1-line block ×4, first 2 shown]
	v_add_nc_u32_e32 v53, 1, v51
	v_lshlrev_b16 v39, 8, v41
	v_lshlrev_b16 v37, 8, v37
	v_and_b32_e32 v35, 0xff, v35
	v_and_b32_e32 v36, 0xff, v36
	v_cndmask_b32_e64 v47, v47, v48, s11
	v_add_nc_u32_e32 v48, 1, v50
	s_wait_dscnt 0x0
	v_and_b32_e32 v54, 0xff, v49
	v_or_b32_e32 v35, v35, v37
	v_or_b32_e32 v36, v36, v39
	v_and_b32_e32 v55, 0xff, v52
	v_cndmask_b32_e64 v51, v53, v51, s11
	v_cndmask_b32_e64 v45, v45, v46, s10
	v_and_b32_e32 v35, 0xffff, v35
	v_lshlrev_b32_e32 v36, 16, v36
	v_cndmask_b32_e64 v43, v43, v44, s9
	v_cmp_lt_u16_e64 s9, v55, v54
	v_cmp_ge_i32_e64 s10, v51, v16
	v_lshlrev_b16 v40, 8, v45
	v_or_b32_e32 v36, v35, v36
	v_mov_b32_e32 v35, v34
	v_cndmask_b32_e64 v46, v50, v48, s11
	s_or_b32 s5, s10, s9
	v_and_b32_e32 v41, 0xff, v43
	v_and_b32_e32 v42, 0xff, v47
	s_wait_loadcnt 0x0
	v_cmp_lt_i32_e64 s8, v46, v17
	s_barrier_signal -1
	v_or_b32_e32 v37, v41, v40
	s_barrier_wait -1
	global_inv scope:SCOPE_SE
	s_wait_alu 0xfffe
	s_and_b32 s5, s8, s5
	s_wait_alu 0xfffe
	v_cndmask_b32_e64 v38, v49, v52, s5
	v_and_b32_e32 v37, 0xffff, v37
	s_delay_alu instid0(VALU_DEP_2) | instskip(NEXT) | instid1(VALU_DEP_1)
	v_lshlrev_b16 v38, 8, v38
	v_or_b32_e32 v38, v42, v38
	s_delay_alu instid0(VALU_DEP_1) | instskip(NEXT) | instid1(VALU_DEP_1)
	v_lshlrev_b32_e32 v38, 16, v38
	v_or_b32_e32 v37, v37, v38
	ds_store_b64 v1, v[36:37]
	s_wait_loadcnt_dscnt 0x0
	s_barrier_signal -1
	s_barrier_wait -1
	global_inv scope:SCOPE_SE
	s_and_saveexec_b32 s6, s4
	s_cbranch_execz .LBB88_134
; %bb.131:                              ;   in Loop: Header=BB88_2 Depth=1
	v_dual_mov_b32 v35, v34 :: v_dual_mov_b32 v36, v29
	s_mov_b32 s7, 0
.LBB88_132:                             ;   Parent Loop BB88_2 Depth=1
                                        ; =>  This Inner Loop Header: Depth=2
	s_delay_alu instid0(VALU_DEP_1) | instskip(NEXT) | instid1(VALU_DEP_1)
	v_sub_nc_u32_e32 v37, v36, v35
	v_lshrrev_b32_e32 v37, 1, v37
	s_delay_alu instid0(VALU_DEP_1) | instskip(NEXT) | instid1(VALU_DEP_1)
	v_add_nc_u32_e32 v37, v37, v35
	v_add_nc_u32_e32 v38, v6, v37
	v_xad_u32 v39, v37, -1, v24
	v_add_nc_u32_e32 v40, 1, v37
	ds_load_u8 v38, v38
	ds_load_u8 v39, v39
	s_wait_dscnt 0x0
	v_cmp_lt_u16_e64 s5, v39, v38
	s_wait_alu 0xf1ff
	s_delay_alu instid0(VALU_DEP_1) | instskip(SKIP_1) | instid1(VALU_DEP_1)
	v_cndmask_b32_e64 v36, v36, v37, s5
	v_cndmask_b32_e64 v35, v40, v35, s5
	v_cmp_ge_i32_e64 s5, v35, v36
	s_wait_alu 0xfffe
	s_or_b32 s7, s5, s7
	s_wait_alu 0xfffe
	s_and_not1_b32 exec_lo, exec_lo, s7
	s_cbranch_execnz .LBB88_132
; %bb.133:                              ;   in Loop: Header=BB88_2 Depth=1
	s_or_b32 exec_lo, exec_lo, s7
.LBB88_134:                             ;   in Loop: Header=BB88_2 Depth=1
	s_wait_alu 0xfffe
	s_or_b32 exec_lo, exec_lo, s6
	v_add_nc_u32_e32 v40, v35, v6
	v_sub_nc_u32_e32 v39, v24, v35
	ds_load_u8 v35, v40
	ds_load_u8 v36, v39
	v_cmp_le_i32_e64 s5, v18, v40
	v_cmp_gt_i32_e64 s7, v19, v39
	s_wait_dscnt 0x1
	v_and_b32_e32 v37, 0xff, v35
	s_wait_dscnt 0x0
	v_and_b32_e32 v38, 0xff, v36
	s_delay_alu instid0(VALU_DEP_1)
	v_cmp_lt_u16_e64 s6, v38, v37
                                        ; implicit-def: $vgpr37
	s_or_b32 s5, s5, s6
	s_wait_alu 0xfffe
	s_and_b32 s5, s7, s5
	s_wait_alu 0xfffe
	s_xor_b32 s6, s5, -1
	s_wait_alu 0xfffe
	s_and_saveexec_b32 s7, s6
	s_wait_alu 0xfffe
	s_xor_b32 s6, exec_lo, s7
; %bb.135:                              ;   in Loop: Header=BB88_2 Depth=1
	ds_load_u8 v37, v40 offset:1
; %bb.136:                              ;   in Loop: Header=BB88_2 Depth=1
	s_wait_alu 0xfffe
	s_or_saveexec_b32 s6, s6
	v_mov_b32_e32 v38, v36
	s_wait_alu 0xfffe
	s_xor_b32 exec_lo, exec_lo, s6
	s_cbranch_execz .LBB88_138
; %bb.137:                              ;   in Loop: Header=BB88_2 Depth=1
	ds_load_u8 v38, v39 offset:1
	s_wait_dscnt 0x1
	v_mov_b32_e32 v37, v35
.LBB88_138:                             ;   in Loop: Header=BB88_2 Depth=1
	s_or_b32 exec_lo, exec_lo, s6
	v_add_nc_u32_e32 v41, 1, v40
	v_add_nc_u32_e32 v43, 1, v39
	s_wait_dscnt 0x0
	v_and_b32_e32 v44, 0xff, v37
	s_delay_alu instid0(VALU_DEP_3) | instskip(SKIP_2) | instid1(VALU_DEP_3)
	v_cndmask_b32_e64 v42, v41, v40, s5
	v_and_b32_e32 v40, 0xff, v38
	v_cndmask_b32_e64 v41, v39, v43, s5
                                        ; implicit-def: $vgpr39
	v_cmp_ge_i32_e64 s6, v42, v18
	s_delay_alu instid0(VALU_DEP_3) | instskip(NEXT) | instid1(VALU_DEP_3)
	v_cmp_lt_u16_e64 s7, v40, v44
	v_cmp_lt_i32_e64 s8, v41, v19
	s_or_b32 s6, s6, s7
	s_wait_alu 0xfffe
	s_and_b32 s6, s8, s6
	s_wait_alu 0xfffe
	s_xor_b32 s7, s6, -1
	s_wait_alu 0xfffe
	s_and_saveexec_b32 s8, s7
	s_wait_alu 0xfffe
	s_xor_b32 s7, exec_lo, s8
; %bb.139:                              ;   in Loop: Header=BB88_2 Depth=1
	ds_load_u8 v39, v42 offset:1
; %bb.140:                              ;   in Loop: Header=BB88_2 Depth=1
	s_wait_alu 0xfffe
	s_or_saveexec_b32 s7, s7
	v_mov_b32_e32 v40, v38
	s_wait_alu 0xfffe
	s_xor_b32 exec_lo, exec_lo, s7
	s_cbranch_execz .LBB88_142
; %bb.141:                              ;   in Loop: Header=BB88_2 Depth=1
	ds_load_u8 v40, v41 offset:1
	s_wait_dscnt 0x1
	v_mov_b32_e32 v39, v37
.LBB88_142:                             ;   in Loop: Header=BB88_2 Depth=1
	s_or_b32 exec_lo, exec_lo, s7
	v_add_nc_u32_e32 v43, 1, v42
	v_add_nc_u32_e32 v45, 1, v41
	s_wait_dscnt 0x0
	v_and_b32_e32 v46, 0xff, v39
	s_delay_alu instid0(VALU_DEP_3) | instskip(SKIP_2) | instid1(VALU_DEP_3)
	v_cndmask_b32_e64 v44, v43, v42, s6
	v_and_b32_e32 v42, 0xff, v40
	v_cndmask_b32_e64 v43, v41, v45, s6
                                        ; implicit-def: $vgpr41
	v_cmp_ge_i32_e64 s7, v44, v18
	s_delay_alu instid0(VALU_DEP_3) | instskip(NEXT) | instid1(VALU_DEP_3)
	v_cmp_lt_u16_e64 s8, v42, v46
	v_cmp_lt_i32_e64 s9, v43, v19
	s_or_b32 s7, s7, s8
	s_wait_alu 0xfffe
	s_and_b32 s7, s9, s7
	s_wait_alu 0xfffe
	s_xor_b32 s8, s7, -1
	s_wait_alu 0xfffe
	s_and_saveexec_b32 s9, s8
	s_wait_alu 0xfffe
	s_xor_b32 s8, exec_lo, s9
; %bb.143:                              ;   in Loop: Header=BB88_2 Depth=1
	ds_load_u8 v41, v44 offset:1
; %bb.144:                              ;   in Loop: Header=BB88_2 Depth=1
	s_wait_alu 0xfffe
	s_or_saveexec_b32 s8, s8
	v_mov_b32_e32 v42, v40
	s_wait_alu 0xfffe
	s_xor_b32 exec_lo, exec_lo, s8
	s_cbranch_execz .LBB88_146
; %bb.145:                              ;   in Loop: Header=BB88_2 Depth=1
	ds_load_u8 v42, v43 offset:1
	s_wait_dscnt 0x1
	v_mov_b32_e32 v41, v39
.LBB88_146:                             ;   in Loop: Header=BB88_2 Depth=1
	s_or_b32 exec_lo, exec_lo, s8
	v_add_nc_u32_e32 v45, 1, v44
	v_add_nc_u32_e32 v47, 1, v43
	s_wait_dscnt 0x0
	v_and_b32_e32 v48, 0xff, v41
	s_delay_alu instid0(VALU_DEP_3) | instskip(SKIP_2) | instid1(VALU_DEP_3)
	v_cndmask_b32_e64 v46, v45, v44, s7
	v_and_b32_e32 v44, 0xff, v42
	v_cndmask_b32_e64 v45, v43, v47, s7
                                        ; implicit-def: $vgpr43
	v_cmp_ge_i32_e64 s8, v46, v18
	s_delay_alu instid0(VALU_DEP_3) | instskip(NEXT) | instid1(VALU_DEP_3)
	v_cmp_lt_u16_e64 s9, v44, v48
	v_cmp_lt_i32_e64 s10, v45, v19
	s_or_b32 s8, s8, s9
	s_wait_alu 0xfffe
	s_and_b32 s8, s10, s8
	s_wait_alu 0xfffe
	s_xor_b32 s9, s8, -1
	s_wait_alu 0xfffe
	s_and_saveexec_b32 s10, s9
	s_wait_alu 0xfffe
	s_xor_b32 s9, exec_lo, s10
; %bb.147:                              ;   in Loop: Header=BB88_2 Depth=1
	ds_load_u8 v43, v46 offset:1
; %bb.148:                              ;   in Loop: Header=BB88_2 Depth=1
	s_wait_alu 0xfffe
	s_or_saveexec_b32 s9, s9
	v_mov_b32_e32 v44, v42
	s_wait_alu 0xfffe
	s_xor_b32 exec_lo, exec_lo, s9
	s_cbranch_execz .LBB88_150
; %bb.149:                              ;   in Loop: Header=BB88_2 Depth=1
	ds_load_u8 v44, v45 offset:1
	s_wait_dscnt 0x1
	v_mov_b32_e32 v43, v41
.LBB88_150:                             ;   in Loop: Header=BB88_2 Depth=1
	s_or_b32 exec_lo, exec_lo, s9
	v_add_nc_u32_e32 v47, 1, v46
	v_add_nc_u32_e32 v49, 1, v45
	s_wait_dscnt 0x0
	v_and_b32_e32 v50, 0xff, v43
	s_delay_alu instid0(VALU_DEP_3) | instskip(SKIP_2) | instid1(VALU_DEP_3)
	v_cndmask_b32_e64 v48, v47, v46, s8
	v_and_b32_e32 v46, 0xff, v44
	v_cndmask_b32_e64 v47, v45, v49, s8
                                        ; implicit-def: $vgpr45
	v_cmp_ge_i32_e64 s9, v48, v18
	s_delay_alu instid0(VALU_DEP_3) | instskip(NEXT) | instid1(VALU_DEP_3)
	v_cmp_lt_u16_e64 s10, v46, v50
	v_cmp_lt_i32_e64 s11, v47, v19
	s_or_b32 s9, s9, s10
	s_wait_alu 0xfffe
	s_and_b32 s9, s11, s9
	s_wait_alu 0xfffe
	s_xor_b32 s10, s9, -1
	s_wait_alu 0xfffe
	s_and_saveexec_b32 s11, s10
	s_wait_alu 0xfffe
	s_xor_b32 s10, exec_lo, s11
; %bb.151:                              ;   in Loop: Header=BB88_2 Depth=1
	ds_load_u8 v45, v48 offset:1
; %bb.152:                              ;   in Loop: Header=BB88_2 Depth=1
	s_wait_alu 0xfffe
	s_or_saveexec_b32 s10, s10
	v_mov_b32_e32 v46, v44
	s_wait_alu 0xfffe
	s_xor_b32 exec_lo, exec_lo, s10
	s_cbranch_execz .LBB88_154
; %bb.153:                              ;   in Loop: Header=BB88_2 Depth=1
	ds_load_u8 v46, v47 offset:1
	s_wait_dscnt 0x1
	v_mov_b32_e32 v45, v43
.LBB88_154:                             ;   in Loop: Header=BB88_2 Depth=1
	s_or_b32 exec_lo, exec_lo, s10
	v_add_nc_u32_e32 v49, 1, v48
	v_add_nc_u32_e32 v51, 1, v47
	s_wait_dscnt 0x0
	v_and_b32_e32 v52, 0xff, v45
	s_delay_alu instid0(VALU_DEP_3) | instskip(SKIP_2) | instid1(VALU_DEP_3)
	v_cndmask_b32_e64 v50, v49, v48, s9
	v_and_b32_e32 v48, 0xff, v46
	v_cndmask_b32_e64 v49, v47, v51, s9
                                        ; implicit-def: $vgpr47
	v_cmp_ge_i32_e64 s10, v50, v18
	s_delay_alu instid0(VALU_DEP_3) | instskip(NEXT) | instid1(VALU_DEP_3)
	v_cmp_lt_u16_e64 s11, v48, v52
	v_cmp_lt_i32_e64 s12, v49, v19
	s_or_b32 s10, s10, s11
	s_wait_alu 0xfffe
	s_and_b32 s10, s12, s10
	s_wait_alu 0xfffe
	s_xor_b32 s11, s10, -1
	s_wait_alu 0xfffe
	s_and_saveexec_b32 s12, s11
	s_delay_alu instid0(SALU_CYCLE_1)
	s_xor_b32 s11, exec_lo, s12
; %bb.155:                              ;   in Loop: Header=BB88_2 Depth=1
	ds_load_u8 v47, v50 offset:1
; %bb.156:                              ;   in Loop: Header=BB88_2 Depth=1
	s_wait_alu 0xfffe
	s_or_saveexec_b32 s11, s11
	v_mov_b32_e32 v48, v46
	s_wait_alu 0xfffe
	s_xor_b32 exec_lo, exec_lo, s11
	s_cbranch_execz .LBB88_158
; %bb.157:                              ;   in Loop: Header=BB88_2 Depth=1
	ds_load_u8 v48, v49 offset:1
	s_wait_dscnt 0x1
	v_mov_b32_e32 v47, v45
.LBB88_158:                             ;   in Loop: Header=BB88_2 Depth=1
	s_or_b32 exec_lo, exec_lo, s11
	v_add_nc_u32_e32 v51, 1, v50
	v_add_nc_u32_e32 v52, 1, v49
	s_wait_dscnt 0x0
	v_and_b32_e32 v53, 0xff, v47
	v_and_b32_e32 v54, 0xff, v48
	v_cndmask_b32_e64 v51, v51, v50, s10
	v_cndmask_b32_e64 v50, v49, v52, s10
                                        ; implicit-def: $vgpr49
	s_delay_alu instid0(VALU_DEP_3) | instskip(NEXT) | instid1(VALU_DEP_3)
	v_cmp_lt_u16_e64 s12, v54, v53
	v_cmp_ge_i32_e64 s11, v51, v18
	s_delay_alu instid0(VALU_DEP_3)
	v_cmp_lt_i32_e64 s13, v50, v19
	s_or_b32 s11, s11, s12
	s_wait_alu 0xfffe
	s_and_b32 s11, s13, s11
	s_wait_alu 0xfffe
	s_xor_b32 s12, s11, -1
	s_delay_alu instid0(SALU_CYCLE_1) | instskip(NEXT) | instid1(SALU_CYCLE_1)
	s_and_saveexec_b32 s13, s12
	s_xor_b32 s12, exec_lo, s13
; %bb.159:                              ;   in Loop: Header=BB88_2 Depth=1
	ds_load_u8 v49, v51 offset:1
; %bb.160:                              ;   in Loop: Header=BB88_2 Depth=1
	s_or_saveexec_b32 s12, s12
	v_mov_b32_e32 v52, v48
	s_xor_b32 exec_lo, exec_lo, s12
	s_cbranch_execz .LBB88_162
; %bb.161:                              ;   in Loop: Header=BB88_2 Depth=1
	ds_load_u8 v52, v50 offset:1
	s_wait_dscnt 0x1
	v_mov_b32_e32 v49, v47
.LBB88_162:                             ;   in Loop: Header=BB88_2 Depth=1
	s_or_b32 exec_lo, exec_lo, s12
	v_cndmask_b32_e64 v41, v41, v42, s8
	v_cndmask_b32_e64 v35, v35, v36, s5
	;; [unrolled: 1-line block ×3, first 2 shown]
	v_add_nc_u32_e32 v53, 1, v51
	v_cndmask_b32_e64 v47, v47, v48, s11
	v_add_nc_u32_e32 v48, 1, v50
	v_lshlrev_b16 v39, 8, v41
	v_and_b32_e32 v36, 0xff, v36
	s_wait_dscnt 0x0
	v_and_b32_e32 v54, 0xff, v49
	v_and_b32_e32 v55, 0xff, v52
	v_cndmask_b32_e64 v51, v53, v51, s11
	v_cndmask_b32_e64 v45, v45, v46, s10
	v_or_b32_e32 v36, v36, v39
	v_mov_b32_e32 v39, v7
	v_cndmask_b32_e64 v46, v50, v48, s11
	v_cndmask_b32_e64 v43, v43, v44, s9
	v_cmp_lt_u16_e64 s9, v55, v54
	v_cmp_ge_i32_e64 s10, v51, v18
	v_cndmask_b32_e64 v37, v37, v38, s6
	v_cmp_lt_i32_e64 s8, v46, v19
	v_and_b32_e32 v35, 0xff, v35
	v_lshlrev_b16 v40, 8, v45
	s_or_b32 s5, s10, s9
	v_lshlrev_b16 v37, 8, v37
	s_wait_alu 0xfffe
	s_and_b32 s5, s8, s5
	v_and_b32_e32 v41, 0xff, v43
	s_wait_alu 0xfffe
	v_cndmask_b32_e64 v38, v49, v52, s5
	v_and_b32_e32 v42, 0xff, v47
	v_or_b32_e32 v35, v35, v37
	v_lshlrev_b32_e32 v36, 16, v36
	v_or_b32_e32 v37, v41, v40
	v_lshlrev_b16 v38, 8, v38
	s_wait_loadcnt 0x0
	v_and_b32_e32 v35, 0xffff, v35
	s_barrier_signal -1
	v_and_b32_e32 v37, 0xffff, v37
	v_or_b32_e32 v38, v42, v38
	s_barrier_wait -1
	v_or_b32_e32 v35, v35, v36
	global_inv scope:SCOPE_SE
	v_lshlrev_b32_e32 v38, 16, v38
	s_delay_alu instid0(VALU_DEP_1)
	v_or_b32_e32 v36, v37, v38
	ds_store_b64 v1, v[35:36]
	s_wait_loadcnt_dscnt 0x0
	s_barrier_signal -1
	s_barrier_wait -1
	global_inv scope:SCOPE_SE
	s_and_saveexec_b32 s6, vcc_lo
	s_cbranch_execz .LBB88_166
; %bb.163:                              ;   in Loop: Header=BB88_2 Depth=1
	v_mov_b32_e32 v39, v7
	v_mov_b32_e32 v35, v8
	s_mov_b32 s7, 0
.LBB88_164:                             ;   Parent Loop BB88_2 Depth=1
                                        ; =>  This Inner Loop Header: Depth=2
	s_delay_alu instid0(VALU_DEP_1) | instskip(NEXT) | instid1(VALU_DEP_1)
	v_sub_nc_u32_e32 v36, v35, v39
	v_lshrrev_b32_e32 v36, 1, v36
	s_delay_alu instid0(VALU_DEP_1) | instskip(NEXT) | instid1(VALU_DEP_1)
	v_add_nc_u32_e32 v36, v36, v39
	v_xad_u32 v37, v36, -1, v9
	v_add_nc_u32_e32 v40, 1, v36
	ds_load_u8 v38, v36
	ds_load_u8 v37, v37
	s_wait_dscnt 0x0
	v_cmp_lt_u16_e64 s5, v37, v38
	s_wait_alu 0xf1ff
	s_delay_alu instid0(VALU_DEP_1) | instskip(SKIP_1) | instid1(VALU_DEP_1)
	v_cndmask_b32_e64 v35, v35, v36, s5
	v_cndmask_b32_e64 v39, v40, v39, s5
	v_cmp_ge_i32_e64 s5, v39, v35
	s_wait_alu 0xfffe
	s_or_b32 s7, s5, s7
	s_wait_alu 0xfffe
	s_and_not1_b32 exec_lo, exec_lo, s7
	s_cbranch_execnz .LBB88_164
; %bb.165:                              ;   in Loop: Header=BB88_2 Depth=1
	s_or_b32 exec_lo, exec_lo, s7
.LBB88_166:                             ;   in Loop: Header=BB88_2 Depth=1
	s_wait_alu 0xfffe
	s_or_b32 exec_lo, exec_lo, s6
	v_sub_nc_u32_e32 v40, v9, v39
	v_cmp_le_i32_e64 s5, 0x100, v39
	ds_load_u8 v35, v39
	ds_load_u8 v36, v40
	v_cmp_gt_i32_e64 s7, 0x200, v40
	s_wait_dscnt 0x1
	v_and_b32_e32 v37, 0xff, v35
	s_wait_dscnt 0x0
	v_and_b32_e32 v38, 0xff, v36
	s_delay_alu instid0(VALU_DEP_1)
	v_cmp_lt_u16_e64 s6, v38, v37
                                        ; implicit-def: $vgpr37
	s_or_b32 s5, s5, s6
	s_wait_alu 0xfffe
	s_and_b32 s5, s7, s5
	s_wait_alu 0xfffe
	s_xor_b32 s6, s5, -1
	s_wait_alu 0xfffe
	s_and_saveexec_b32 s7, s6
	s_wait_alu 0xfffe
	s_xor_b32 s6, exec_lo, s7
; %bb.167:                              ;   in Loop: Header=BB88_2 Depth=1
	ds_load_u8 v37, v39 offset:1
; %bb.168:                              ;   in Loop: Header=BB88_2 Depth=1
	s_wait_alu 0xfffe
	s_or_saveexec_b32 s6, s6
	v_mov_b32_e32 v38, v36
	s_wait_alu 0xfffe
	s_xor_b32 exec_lo, exec_lo, s6
	s_cbranch_execz .LBB88_170
; %bb.169:                              ;   in Loop: Header=BB88_2 Depth=1
	ds_load_u8 v38, v40 offset:1
	s_wait_dscnt 0x1
	v_mov_b32_e32 v37, v35
.LBB88_170:                             ;   in Loop: Header=BB88_2 Depth=1
	s_or_b32 exec_lo, exec_lo, s6
	v_add_nc_u32_e32 v41, 1, v39
	v_add_nc_u32_e32 v43, 1, v40
	s_wait_dscnt 0x0
	v_and_b32_e32 v44, 0xff, v37
	s_delay_alu instid0(VALU_DEP_3) | instskip(SKIP_2) | instid1(VALU_DEP_3)
	v_cndmask_b32_e64 v42, v41, v39, s5
	v_and_b32_e32 v39, 0xff, v38
	v_cndmask_b32_e64 v41, v40, v43, s5
	v_cmp_le_i32_e64 s6, 0x100, v42
	s_delay_alu instid0(VALU_DEP_3) | instskip(NEXT) | instid1(VALU_DEP_3)
	v_cmp_lt_u16_e64 s7, v39, v44
	v_cmp_gt_i32_e64 s8, 0x200, v41
                                        ; implicit-def: $vgpr39
	s_or_b32 s6, s6, s7
	s_wait_alu 0xfffe
	s_and_b32 s6, s8, s6
	s_wait_alu 0xfffe
	s_xor_b32 s7, s6, -1
	s_wait_alu 0xfffe
	s_and_saveexec_b32 s8, s7
	s_wait_alu 0xfffe
	s_xor_b32 s7, exec_lo, s8
; %bb.171:                              ;   in Loop: Header=BB88_2 Depth=1
	ds_load_u8 v39, v42 offset:1
; %bb.172:                              ;   in Loop: Header=BB88_2 Depth=1
	s_wait_alu 0xfffe
	s_or_saveexec_b32 s7, s7
	v_mov_b32_e32 v40, v38
	s_wait_alu 0xfffe
	s_xor_b32 exec_lo, exec_lo, s7
	s_cbranch_execz .LBB88_174
; %bb.173:                              ;   in Loop: Header=BB88_2 Depth=1
	ds_load_u8 v40, v41 offset:1
	s_wait_dscnt 0x1
	v_mov_b32_e32 v39, v37
.LBB88_174:                             ;   in Loop: Header=BB88_2 Depth=1
	s_or_b32 exec_lo, exec_lo, s7
	v_add_nc_u32_e32 v43, 1, v42
	v_add_nc_u32_e32 v45, 1, v41
	s_wait_dscnt 0x0
	v_and_b32_e32 v46, 0xff, v39
	s_delay_alu instid0(VALU_DEP_3) | instskip(SKIP_2) | instid1(VALU_DEP_3)
	v_cndmask_b32_e64 v44, v43, v42, s6
	v_and_b32_e32 v42, 0xff, v40
	v_cndmask_b32_e64 v43, v41, v45, s6
                                        ; implicit-def: $vgpr41
	v_cmp_le_i32_e64 s7, 0x100, v44
	s_delay_alu instid0(VALU_DEP_3) | instskip(NEXT) | instid1(VALU_DEP_3)
	v_cmp_lt_u16_e64 s8, v42, v46
	v_cmp_gt_i32_e64 s9, 0x200, v43
	s_or_b32 s7, s7, s8
	s_wait_alu 0xfffe
	s_and_b32 s7, s9, s7
	s_wait_alu 0xfffe
	s_xor_b32 s8, s7, -1
	s_wait_alu 0xfffe
	s_and_saveexec_b32 s9, s8
	s_wait_alu 0xfffe
	s_xor_b32 s8, exec_lo, s9
; %bb.175:                              ;   in Loop: Header=BB88_2 Depth=1
	ds_load_u8 v41, v44 offset:1
; %bb.176:                              ;   in Loop: Header=BB88_2 Depth=1
	s_wait_alu 0xfffe
	s_or_saveexec_b32 s8, s8
	v_mov_b32_e32 v42, v40
	s_wait_alu 0xfffe
	s_xor_b32 exec_lo, exec_lo, s8
	s_cbranch_execz .LBB88_178
; %bb.177:                              ;   in Loop: Header=BB88_2 Depth=1
	ds_load_u8 v42, v43 offset:1
	s_wait_dscnt 0x1
	v_mov_b32_e32 v41, v39
.LBB88_178:                             ;   in Loop: Header=BB88_2 Depth=1
	s_or_b32 exec_lo, exec_lo, s8
	v_add_nc_u32_e32 v45, 1, v44
	v_add_nc_u32_e32 v47, 1, v43
	s_wait_dscnt 0x0
	v_and_b32_e32 v48, 0xff, v41
	s_delay_alu instid0(VALU_DEP_3) | instskip(SKIP_2) | instid1(VALU_DEP_3)
	v_cndmask_b32_e64 v46, v45, v44, s7
	v_and_b32_e32 v44, 0xff, v42
	v_cndmask_b32_e64 v45, v43, v47, s7
                                        ; implicit-def: $vgpr43
	v_cmp_le_i32_e64 s8, 0x100, v46
	s_delay_alu instid0(VALU_DEP_3) | instskip(NEXT) | instid1(VALU_DEP_3)
	v_cmp_lt_u16_e64 s9, v44, v48
	v_cmp_gt_i32_e64 s10, 0x200, v45
	s_or_b32 s8, s8, s9
	s_wait_alu 0xfffe
	s_and_b32 s8, s10, s8
	s_wait_alu 0xfffe
	s_xor_b32 s9, s8, -1
	s_wait_alu 0xfffe
	s_and_saveexec_b32 s10, s9
	s_wait_alu 0xfffe
	s_xor_b32 s9, exec_lo, s10
; %bb.179:                              ;   in Loop: Header=BB88_2 Depth=1
	ds_load_u8 v43, v46 offset:1
; %bb.180:                              ;   in Loop: Header=BB88_2 Depth=1
	s_wait_alu 0xfffe
	s_or_saveexec_b32 s9, s9
	v_mov_b32_e32 v44, v42
	s_wait_alu 0xfffe
	s_xor_b32 exec_lo, exec_lo, s9
	s_cbranch_execz .LBB88_182
; %bb.181:                              ;   in Loop: Header=BB88_2 Depth=1
	ds_load_u8 v44, v45 offset:1
	s_wait_dscnt 0x1
	v_mov_b32_e32 v43, v41
.LBB88_182:                             ;   in Loop: Header=BB88_2 Depth=1
	s_or_b32 exec_lo, exec_lo, s9
	v_add_nc_u32_e32 v47, 1, v46
	v_add_nc_u32_e32 v49, 1, v45
	s_wait_dscnt 0x0
	v_and_b32_e32 v50, 0xff, v43
	s_delay_alu instid0(VALU_DEP_3) | instskip(SKIP_2) | instid1(VALU_DEP_3)
	v_cndmask_b32_e64 v48, v47, v46, s8
	v_and_b32_e32 v46, 0xff, v44
	v_cndmask_b32_e64 v47, v45, v49, s8
                                        ; implicit-def: $vgpr45
	v_cmp_le_i32_e64 s9, 0x100, v48
	s_delay_alu instid0(VALU_DEP_3) | instskip(NEXT) | instid1(VALU_DEP_3)
	v_cmp_lt_u16_e64 s10, v46, v50
	v_cmp_gt_i32_e64 s11, 0x200, v47
	s_or_b32 s9, s9, s10
	s_wait_alu 0xfffe
	s_and_b32 s9, s11, s9
	s_wait_alu 0xfffe
	s_xor_b32 s10, s9, -1
	s_wait_alu 0xfffe
	s_and_saveexec_b32 s11, s10
	s_wait_alu 0xfffe
	s_xor_b32 s10, exec_lo, s11
; %bb.183:                              ;   in Loop: Header=BB88_2 Depth=1
	ds_load_u8 v45, v48 offset:1
; %bb.184:                              ;   in Loop: Header=BB88_2 Depth=1
	s_wait_alu 0xfffe
	s_or_saveexec_b32 s10, s10
	v_mov_b32_e32 v46, v44
	s_wait_alu 0xfffe
	s_xor_b32 exec_lo, exec_lo, s10
	s_cbranch_execz .LBB88_186
; %bb.185:                              ;   in Loop: Header=BB88_2 Depth=1
	ds_load_u8 v46, v47 offset:1
	s_wait_dscnt 0x1
	v_mov_b32_e32 v45, v43
.LBB88_186:                             ;   in Loop: Header=BB88_2 Depth=1
	s_or_b32 exec_lo, exec_lo, s10
	v_add_nc_u32_e32 v49, 1, v48
	v_add_nc_u32_e32 v51, 1, v47
	s_wait_dscnt 0x0
	v_and_b32_e32 v52, 0xff, v45
	s_delay_alu instid0(VALU_DEP_3) | instskip(SKIP_2) | instid1(VALU_DEP_3)
	v_cndmask_b32_e64 v50, v49, v48, s9
	v_and_b32_e32 v48, 0xff, v46
	v_cndmask_b32_e64 v49, v47, v51, s9
                                        ; implicit-def: $vgpr47
	v_cmp_le_i32_e64 s10, 0x100, v50
	s_delay_alu instid0(VALU_DEP_3) | instskip(NEXT) | instid1(VALU_DEP_3)
	v_cmp_lt_u16_e64 s11, v48, v52
	v_cmp_gt_i32_e64 s12, 0x200, v49
	s_or_b32 s10, s10, s11
	s_wait_alu 0xfffe
	s_and_b32 s10, s12, s10
	s_wait_alu 0xfffe
	s_xor_b32 s11, s10, -1
	s_wait_alu 0xfffe
	s_and_saveexec_b32 s12, s11
	s_delay_alu instid0(SALU_CYCLE_1)
	s_xor_b32 s11, exec_lo, s12
; %bb.187:                              ;   in Loop: Header=BB88_2 Depth=1
	ds_load_u8 v47, v50 offset:1
; %bb.188:                              ;   in Loop: Header=BB88_2 Depth=1
	s_wait_alu 0xfffe
	s_or_saveexec_b32 s11, s11
	v_mov_b32_e32 v48, v46
	s_wait_alu 0xfffe
	s_xor_b32 exec_lo, exec_lo, s11
	s_cbranch_execz .LBB88_190
; %bb.189:                              ;   in Loop: Header=BB88_2 Depth=1
	ds_load_u8 v48, v49 offset:1
	s_wait_dscnt 0x1
	v_mov_b32_e32 v47, v45
.LBB88_190:                             ;   in Loop: Header=BB88_2 Depth=1
	s_or_b32 exec_lo, exec_lo, s11
	v_add_nc_u32_e32 v51, 1, v50
	v_add_nc_u32_e32 v52, 1, v49
	s_wait_dscnt 0x0
	v_and_b32_e32 v54, 0xff, v47
	s_delay_alu instid0(VALU_DEP_3) | instskip(SKIP_2) | instid1(VALU_DEP_3)
	v_cndmask_b32_e64 v53, v51, v50, s10
	v_and_b32_e32 v50, 0xff, v48
	v_cndmask_b32_e64 v49, v49, v52, s10
                                        ; implicit-def: $vgpr51
	v_cmp_le_i32_e64 s11, 0x100, v53
	s_delay_alu instid0(VALU_DEP_3) | instskip(NEXT) | instid1(VALU_DEP_3)
	v_cmp_lt_u16_e64 s12, v50, v54
	v_cmp_gt_i32_e64 s13, 0x200, v49
                                        ; implicit-def: $vgpr50
	s_or_b32 s11, s11, s12
	s_wait_alu 0xfffe
	s_and_b32 s11, s13, s11
	s_wait_alu 0xfffe
	s_xor_b32 s12, s11, -1
	s_delay_alu instid0(SALU_CYCLE_1) | instskip(NEXT) | instid1(SALU_CYCLE_1)
	s_and_saveexec_b32 s13, s12
	s_xor_b32 s12, exec_lo, s13
; %bb.191:                              ;   in Loop: Header=BB88_2 Depth=1
	ds_load_u8 v50, v53 offset:1
	v_add_nc_u32_e32 v51, 1, v53
                                        ; implicit-def: $vgpr53
; %bb.192:                              ;   in Loop: Header=BB88_2 Depth=1
	s_or_saveexec_b32 s12, s12
	v_mov_b32_e32 v52, v48
	s_xor_b32 exec_lo, exec_lo, s12
	s_cbranch_execz .LBB88_1
; %bb.193:                              ;   in Loop: Header=BB88_2 Depth=1
	ds_load_u8 v52, v49 offset:1
	s_wait_dscnt 0x1
	v_dual_mov_b32 v50, v47 :: v_dual_add_nc_u32 v49, 1, v49
	v_mov_b32_e32 v51, v53
	s_branch .LBB88_1
.LBB88_194:
	s_add_nc_u64 s[0:1], s[14:15], s[16:17]
	s_wait_alu 0xfffe
	v_add_co_u32 v0, s0, s0, v0
	s_wait_alu 0xf1ff
	v_add_co_ci_u32_e64 v1, null, s1, 0, s0
	s_clause 0x7
	global_store_b8 v[0:1], v36, off
	global_store_b8 v[0:1], v37, off offset:64
	global_store_b8 v[0:1], v38, off offset:128
	;; [unrolled: 1-line block ×7, first 2 shown]
	s_endpgm
	.section	.rodata,"a",@progbits
	.p2align	6, 0x0
	.amdhsa_kernel _Z16sort_keys_kernelIhLj64ELj8EN10test_utils4lessELj10EEvPKT_PS2_T2_
		.amdhsa_group_segment_fixed_size 513
		.amdhsa_private_segment_fixed_size 0
		.amdhsa_kernarg_size 20
		.amdhsa_user_sgpr_count 2
		.amdhsa_user_sgpr_dispatch_ptr 0
		.amdhsa_user_sgpr_queue_ptr 0
		.amdhsa_user_sgpr_kernarg_segment_ptr 1
		.amdhsa_user_sgpr_dispatch_id 0
		.amdhsa_user_sgpr_private_segment_size 0
		.amdhsa_wavefront_size32 1
		.amdhsa_uses_dynamic_stack 0
		.amdhsa_enable_private_segment 0
		.amdhsa_system_sgpr_workgroup_id_x 1
		.amdhsa_system_sgpr_workgroup_id_y 0
		.amdhsa_system_sgpr_workgroup_id_z 0
		.amdhsa_system_sgpr_workgroup_info 0
		.amdhsa_system_vgpr_workitem_id 0
		.amdhsa_next_free_vgpr 56
		.amdhsa_next_free_sgpr 19
		.amdhsa_reserve_vcc 1
		.amdhsa_float_round_mode_32 0
		.amdhsa_float_round_mode_16_64 0
		.amdhsa_float_denorm_mode_32 3
		.amdhsa_float_denorm_mode_16_64 3
		.amdhsa_fp16_overflow 0
		.amdhsa_workgroup_processor_mode 1
		.amdhsa_memory_ordered 1
		.amdhsa_forward_progress 1
		.amdhsa_inst_pref_size 100
		.amdhsa_round_robin_scheduling 0
		.amdhsa_exception_fp_ieee_invalid_op 0
		.amdhsa_exception_fp_denorm_src 0
		.amdhsa_exception_fp_ieee_div_zero 0
		.amdhsa_exception_fp_ieee_overflow 0
		.amdhsa_exception_fp_ieee_underflow 0
		.amdhsa_exception_fp_ieee_inexact 0
		.amdhsa_exception_int_div_zero 0
	.end_amdhsa_kernel
	.section	.text._Z16sort_keys_kernelIhLj64ELj8EN10test_utils4lessELj10EEvPKT_PS2_T2_,"axG",@progbits,_Z16sort_keys_kernelIhLj64ELj8EN10test_utils4lessELj10EEvPKT_PS2_T2_,comdat
.Lfunc_end88:
	.size	_Z16sort_keys_kernelIhLj64ELj8EN10test_utils4lessELj10EEvPKT_PS2_T2_, .Lfunc_end88-_Z16sort_keys_kernelIhLj64ELj8EN10test_utils4lessELj10EEvPKT_PS2_T2_
                                        ; -- End function
	.set _Z16sort_keys_kernelIhLj64ELj8EN10test_utils4lessELj10EEvPKT_PS2_T2_.num_vgpr, 56
	.set _Z16sort_keys_kernelIhLj64ELj8EN10test_utils4lessELj10EEvPKT_PS2_T2_.num_agpr, 0
	.set _Z16sort_keys_kernelIhLj64ELj8EN10test_utils4lessELj10EEvPKT_PS2_T2_.numbered_sgpr, 19
	.set _Z16sort_keys_kernelIhLj64ELj8EN10test_utils4lessELj10EEvPKT_PS2_T2_.num_named_barrier, 0
	.set _Z16sort_keys_kernelIhLj64ELj8EN10test_utils4lessELj10EEvPKT_PS2_T2_.private_seg_size, 0
	.set _Z16sort_keys_kernelIhLj64ELj8EN10test_utils4lessELj10EEvPKT_PS2_T2_.uses_vcc, 1
	.set _Z16sort_keys_kernelIhLj64ELj8EN10test_utils4lessELj10EEvPKT_PS2_T2_.uses_flat_scratch, 0
	.set _Z16sort_keys_kernelIhLj64ELj8EN10test_utils4lessELj10EEvPKT_PS2_T2_.has_dyn_sized_stack, 0
	.set _Z16sort_keys_kernelIhLj64ELj8EN10test_utils4lessELj10EEvPKT_PS2_T2_.has_recursion, 0
	.set _Z16sort_keys_kernelIhLj64ELj8EN10test_utils4lessELj10EEvPKT_PS2_T2_.has_indirect_call, 0
	.section	.AMDGPU.csdata,"",@progbits
; Kernel info:
; codeLenInByte = 12796
; TotalNumSgprs: 21
; NumVgprs: 56
; ScratchSize: 0
; MemoryBound: 0
; FloatMode: 240
; IeeeMode: 1
; LDSByteSize: 513 bytes/workgroup (compile time only)
; SGPRBlocks: 0
; VGPRBlocks: 6
; NumSGPRsForWavesPerEU: 21
; NumVGPRsForWavesPerEU: 56
; Occupancy: 16
; WaveLimiterHint : 0
; COMPUTE_PGM_RSRC2:SCRATCH_EN: 0
; COMPUTE_PGM_RSRC2:USER_SGPR: 2
; COMPUTE_PGM_RSRC2:TRAP_HANDLER: 0
; COMPUTE_PGM_RSRC2:TGID_X_EN: 1
; COMPUTE_PGM_RSRC2:TGID_Y_EN: 0
; COMPUTE_PGM_RSRC2:TGID_Z_EN: 0
; COMPUTE_PGM_RSRC2:TIDIG_COMP_CNT: 0
	.section	.text._Z17sort_pairs_kernelIhLj64ELj8EN10test_utils4lessELj10EEvPKT_PS2_T2_,"axG",@progbits,_Z17sort_pairs_kernelIhLj64ELj8EN10test_utils4lessELj10EEvPKT_PS2_T2_,comdat
	.protected	_Z17sort_pairs_kernelIhLj64ELj8EN10test_utils4lessELj10EEvPKT_PS2_T2_ ; -- Begin function _Z17sort_pairs_kernelIhLj64ELj8EN10test_utils4lessELj10EEvPKT_PS2_T2_
	.globl	_Z17sort_pairs_kernelIhLj64ELj8EN10test_utils4lessELj10EEvPKT_PS2_T2_
	.p2align	8
	.type	_Z17sort_pairs_kernelIhLj64ELj8EN10test_utils4lessELj10EEvPKT_PS2_T2_,@function
_Z17sort_pairs_kernelIhLj64ELj8EN10test_utils4lessELj10EEvPKT_PS2_T2_: ; @_Z17sort_pairs_kernelIhLj64ELj8EN10test_utils4lessELj10EEvPKT_PS2_T2_
; %bb.0:
	s_load_b128 s[44:47], s[0:1], 0x0
	s_lshl_b32 s48, ttmp9, 9
	s_mov_b32 s49, 0
	v_lshlrev_b32_e32 v5, 3, v0
	s_mov_b32 s43, s49
	s_delay_alu instid0(VALU_DEP_1)
	v_and_b32_e32 v6, 0x1f0, v5
	v_and_b32_e32 v7, 0x1e0, v5
	v_and_b32_e32 v34, 8, v5
	v_and_b32_e32 v8, 0x1c0, v5
	v_and_b32_e32 v35, 24, v5
	v_or_b32_e32 v14, 8, v6
	v_add_nc_u32_e32 v15, 16, v6
	v_or_b32_e32 v16, 16, v7
	v_add_nc_u32_e32 v17, 32, v7
	v_and_b32_e32 v9, 0x180, v5
	v_or_b32_e32 v18, 32, v8
	v_sub_nc_u32_e32 v43, v15, v14
	s_wait_kmcnt 0x0
	s_add_nc_u64 s[0:1], s[44:45], s[48:49]
	v_add_nc_u32_e32 v19, 64, v8
	s_clause 0x7
	global_load_u8 v1, v0, s[0:1]
	global_load_u8 v2, v0, s[0:1] offset:128
	global_load_u8 v3, v0, s[0:1] offset:256
	;; [unrolled: 1-line block ×7, first 2 shown]
	v_sub_nc_u32_e32 v29, v14, v6
	v_sub_nc_u32_e32 v44, v17, v16
	;; [unrolled: 1-line block ×3, first 2 shown]
	v_cmp_ge_i32_e64 s0, v34, v43
	v_and_b32_e32 v36, 56, v5
	v_and_b32_e32 v10, 0x100, v5
	v_or_b32_e32 v20, 64, v9
	v_add_nc_u32_e32 v21, 0x80, v9
	v_add_nc_u32_e32 v24, v14, v34
	v_sub_nc_u32_e32 v30, v16, v7
	v_sub_nc_u32_e32 v45, v19, v18
	v_min_i32_e32 v29, v34, v29
	v_sub_nc_u32_e32 v49, v35, v44
	v_cndmask_b32_e64 v34, 0, v48, s0
	v_cmp_ge_i32_e64 s0, v35, v44
	v_and_b32_e32 v37, 0x78, v5
	v_or_b32_e32 v22, 0x80, v10
	v_add_nc_u32_e32 v23, 0x100, v10
	v_add_nc_u32_e32 v25, v16, v35
	v_sub_nc_u32_e32 v31, v18, v8
	v_sub_nc_u32_e32 v46, v21, v20
	v_min_i32_e32 v30, v35, v30
	v_sub_nc_u32_e32 v50, v36, v45
	s_wait_alu 0xf1ff
	v_cndmask_b32_e64 v35, 0, v49, s0
	v_cmp_ge_i32_e64 s0, v36, v45
	v_and_b32_e32 v38, 0xf8, v5
	v_add_nc_u32_e32 v26, v18, v36
	v_sub_nc_u32_e32 v32, v20, v9
	v_sub_nc_u32_e32 v47, v23, v22
	v_min_i32_e32 v31, v36, v31
	v_sub_nc_u32_e32 v51, v37, v46
	s_wait_alu 0xf1ff
	v_cndmask_b32_e64 v36, 0, v50, s0
	v_cmp_ge_i32_e64 s0, v37, v46
	v_add_nc_u32_e32 v27, v20, v37
	v_min_i32_e32 v32, v37, v32
	v_sub_nc_u32_e32 v52, v38, v47
	v_sub_nc_u32_e32 v33, v22, v10
	s_wait_alu 0xf1ff
	v_cndmask_b32_e64 v37, 0, v51, s0
	v_cmp_ge_i32_e64 s0, v38, v47
	v_add_nc_u32_e32 v28, v22, v38
	v_subrev_nc_u32_e64 v11, 0x100, v5 clamp
	v_min_i32_e32 v33, v38, v33
	v_min_i32_e32 v12, 0x100, v5
	s_wait_alu 0xf1ff
	v_cndmask_b32_e64 v38, 0, v52, s0
	v_add_nc_u32_e32 v13, 0x100, v5
	v_cmp_lt_i32_e64 s0, v34, v29
	v_cmp_lt_i32_e64 s1, v35, v30
	;; [unrolled: 1-line block ×5, first 2 shown]
	v_cmp_lt_i32_e32 vcc_lo, v11, v12
	s_wait_loadcnt 0x7
	v_add_nc_u16 v43, v1, 1
	s_wait_loadcnt 0x6
	v_add_nc_u16 v44, v2, 1
	;; [unrolled: 2-line block ×4, first 2 shown]
	s_wait_loadcnt 0x3
	v_perm_b32 v1, v1, v39, 0xc0c0004
	s_wait_loadcnt 0x2
	v_lshlrev_b16 v47, 8, v40
	v_lshlrev_b16 v39, 8, v39
	s_wait_loadcnt 0x1
	v_lshlrev_b16 v48, 8, v41
	s_wait_loadcnt 0x0
	v_lshlrev_b16 v49, 8, v42
	v_and_b32_e32 v43, 0xff, v43
	v_and_b32_e32 v44, 0xff, v44
	;; [unrolled: 1-line block ×4, first 2 shown]
	v_perm_b32 v2, v2, v40, 0xc0c0004
	v_or_b32_e32 v39, v39, v43
	v_or_b32_e32 v40, v47, v44
	;; [unrolled: 1-line block ×4, first 2 shown]
	v_perm_b32 v3, v3, v42, 0xc0c0004
	v_add_nc_u16 v39, 0x100, v39
	v_add_nc_u16 v40, 0x100, v40
	;; [unrolled: 1-line block ×4, first 2 shown]
	v_perm_b32 v4, v4, v41, 0xc0c0004
	v_and_b32_e32 v39, 0xffff, v39
	v_lshlrev_b32_e32 v40, 16, v40
	v_and_b32_e32 v41, 0xffff, v42
	v_lshlrev_b32_e32 v42, 16, v43
	v_lshl_or_b32 v52, v2, 16, v1
	v_lshl_or_b32 v43, v4, 16, v3
	v_or_b32_e32 v1, v39, v40
	s_delay_alu instid0(VALU_DEP_4)
	v_or_b32_e32 v2, v41, v42
	s_branch .LBB89_2
.LBB89_1:                               ;   in Loop: Header=BB89_2 Depth=1
	s_or_b32 exec_lo, exec_lo, s12
	v_cndmask_b32_e64 v51, v51, v53, s7
	v_cndmask_b32_e64 v53, v55, v56, s8
	s_wait_dscnt 0x0
	v_and_b32_e32 v55, 0xff, v73
	v_and_b32_e32 v56, 0xff, v74
	v_cndmask_b32_e64 v65, v45, v46, s5
	v_cndmask_b32_e64 v45, v59, v60, s9
	;; [unrolled: 1-line block ×4, first 2 shown]
	v_cmp_le_i32_e64 s8, 0x100, v72
	v_cmp_lt_u16_e64 s9, v56, v55
	v_cndmask_b32_e64 v43, v43, v44, s5
	v_cmp_gt_i32_e64 s5, 0x200, v69
	v_perm_b32 v40, v40, v41, 0xc0c0004
	v_perm_b32 v39, v42, v39, 0xc0c0004
	;; [unrolled: 1-line block ×4, first 2 shown]
	v_cndmask_b32_e64 v50, v47, v50, s6
	v_cndmask_b32_e64 v48, v48, v49, s6
	s_or_b32 s6, s8, s9
	v_lshl_or_b32 v2, v39, 16, v40
	s_wait_alu 0xfffe
	s_and_b32 s5, s5, s6
	v_lshl_or_b32 v1, v4, 16, v1
	s_wait_alu 0xfffe
	v_cndmask_b32_e64 v41, v72, v69, s5
	v_cndmask_b32_e64 v52, v52, v54, s7
	;; [unrolled: 1-line block ×3, first 2 shown]
	s_wait_loadcnt 0x0
	s_barrier_signal -1
	s_barrier_wait -1
	global_inv scope:SCOPE_SE
	ds_store_b64 v5, v[1:2]
	s_wait_loadcnt_dscnt 0x0
	s_barrier_signal -1
	s_barrier_wait -1
	global_inv scope:SCOPE_SE
	ds_load_u8 v40, v43
	ds_load_u8 v4, v70
	;; [unrolled: 1-line block ×8, first 2 shown]
	v_cndmask_b32_e64 v46, v63, v64, s10
	v_cndmask_b32_e64 v47, v68, v71, s11
	;; [unrolled: 1-line block ×3, first 2 shown]
	v_lshlrev_b16 v1, 8, v50
	v_and_b32_e32 v2, 0xff, v65
	v_lshlrev_b16 v43, 8, v53
	v_and_b32_e32 v52, 0xff, v51
	;; [unrolled: 2-line block ×3, first 2 shown]
	v_and_b32_e32 v56, 0xff, v47
	v_lshlrev_b16 v57, 8, v3
	v_or_b32_e32 v1, v2, v1
	v_or_b32_e32 v2, v52, v43
	;; [unrolled: 1-line block ×3, first 2 shown]
	s_wait_dscnt 0x5
	v_perm_b32 v58, v4, v39, 0xc0c0004
	v_or_b32_e32 v52, v56, v57
	v_and_b32_e32 v1, 0xffff, v1
	v_lshlrev_b32_e32 v2, 16, v2
	v_and_b32_e32 v43, 0xffff, v43
	s_wait_dscnt 0x4
	v_perm_b32 v55, v40, v44, 0xc0c0004
	v_lshlrev_b32_e32 v54, 16, v52
	s_wait_dscnt 0x2
	v_perm_b32 v56, v48, v49, 0xc0c0004
	s_wait_dscnt 0x0
	v_perm_b32 v57, v41, v42, 0xc0c0004
	v_or_b32_e32 v52, v1, v2
	s_add_co_i32 s43, s43, 1
	v_or_b32_e32 v43, v43, v54
	v_lshl_or_b32 v1, v56, 16, v55
	v_lshl_or_b32 v2, v58, 16, v57
	s_cmp_eq_u32 s43, 10
	s_cbranch_scc1 .LBB89_194
.LBB89_2:                               ; =>This Loop Header: Depth=1
                                        ;     Child Loop BB89_4 Depth 2
                                        ;     Child Loop BB89_36 Depth 2
                                        ;     Child Loop BB89_68 Depth 2
                                        ;     Child Loop BB89_100 Depth 2
                                        ;     Child Loop BB89_132 Depth 2
                                        ;     Child Loop BB89_164 Depth 2
	v_lshrrev_b32_e32 v3, 8, v52
	v_and_b32_e32 v4, 0xff, v52
	v_perm_b32 v39, v52, v52, 0x7060405
	v_lshrrev_b32_e32 v40, 8, v43
	v_and_b32_e32 v44, 0xff, v43
	v_and_b32_e32 v3, 0xff, v3
	v_perm_b32 v42, v43, v43, 0x7060405
	s_delay_alu instid0(VALU_DEP_4) | instskip(SKIP_1) | instid1(VALU_DEP_3)
	v_and_b32_e32 v40, 0xff, v40
	s_barrier_signal -1
	v_cmp_lt_u16_e64 s5, v3, v4
	s_barrier_wait -1
	global_inv scope:SCOPE_SE
	v_cmp_lt_u16_e64 s7, v40, v44
	s_wait_alu 0xf1ff
	v_cndmask_b32_e64 v3, v52, v39, s5
	s_delay_alu instid0(VALU_DEP_1) | instskip(SKIP_1) | instid1(VALU_DEP_2)
	v_lshrrev_b32_e32 v4, 16, v3
	v_lshrrev_b32_e32 v41, 24, v3
	v_perm_b32 v39, 0, v4, 0xc0c0001
	v_and_b32_e32 v4, 0xff, v4
	s_delay_alu instid0(VALU_DEP_2) | instskip(NEXT) | instid1(VALU_DEP_2)
	v_lshlrev_b32_e32 v39, 16, v39
	v_cmp_lt_u16_e64 s6, v41, v4
	v_cndmask_b32_e64 v4, v43, v42, s7
	s_delay_alu instid0(VALU_DEP_3) | instskip(NEXT) | instid1(VALU_DEP_2)
	v_and_or_b32 v39, 0xffff, v3, v39
	v_lshrrev_b32_e32 v41, 16, v4
	v_lshrrev_b32_e32 v43, 24, v4
	v_perm_b32 v44, v4, v4, 0x6070504
	s_wait_alu 0xf1ff
	v_cndmask_b32_e64 v3, v3, v39, s6
	v_and_b32_e32 v41, 0xff, v41
	s_delay_alu instid0(VALU_DEP_2) | instskip(SKIP_2) | instid1(VALU_DEP_4)
	v_lshrrev_b32_e32 v39, 16, v3
	v_lshrrev_b32_e32 v40, 8, v3
	v_perm_b32 v42, v3, v3, 0x7050604
	v_cmp_lt_u16_e64 s10, v43, v41
	s_delay_alu instid0(VALU_DEP_4) | instskip(NEXT) | instid1(VALU_DEP_4)
	v_and_b32_e32 v39, 0xff, v39
	v_and_b32_e32 v40, 0xff, v40
	s_wait_alu 0xf1ff
	s_delay_alu instid0(VALU_DEP_3) | instskip(NEXT) | instid1(VALU_DEP_2)
	v_cndmask_b32_e64 v4, v4, v44, s10
	v_cmp_lt_u16_e64 s9, v39, v40
	s_delay_alu instid0(VALU_DEP_2) | instskip(SKIP_1) | instid1(VALU_DEP_2)
	v_lshlrev_b16 v40, 8, v4
	s_wait_alu 0xf1ff
	v_cndmask_b32_e64 v3, v3, v42, s9
	s_delay_alu instid0(VALU_DEP_1) | instskip(SKIP_1) | instid1(VALU_DEP_2)
	v_lshrrev_b32_e32 v39, 16, v3
	v_lshrrev_b32_e32 v41, 24, v3
	v_and_b32_e32 v39, 0xff, v39
	s_delay_alu instid0(VALU_DEP_1) | instskip(SKIP_1) | instid1(VALU_DEP_2)
	v_or_b32_e32 v39, v39, v40
	v_and_b32_e32 v40, 0xff, v4
	v_lshlrev_b32_e32 v39, 16, v39
	s_delay_alu instid0(VALU_DEP_2) | instskip(NEXT) | instid1(VALU_DEP_2)
	v_cmp_lt_u16_e64 s8, v40, v41
	v_and_or_b32 v39, 0xffff, v3, v39
	s_wait_alu 0xf1ff
	s_delay_alu instid0(VALU_DEP_1) | instskip(SKIP_1) | instid1(VALU_DEP_2)
	v_cndmask_b32_e64 v39, v3, v39, s8
	v_perm_b32 v3, v3, v4, 0x3020107
	v_lshrrev_b32_e32 v40, 8, v39
	v_perm_b32 v41, 0, v39, 0xc0c0001
	v_and_b32_e32 v42, 0xff, v39
	s_delay_alu instid0(VALU_DEP_4) | instskip(NEXT) | instid1(VALU_DEP_4)
	v_cndmask_b32_e64 v3, v4, v3, s8
	v_and_b32_e32 v40, 0xff, v40
	s_delay_alu instid0(VALU_DEP_4) | instskip(NEXT) | instid1(VALU_DEP_2)
	v_and_or_b32 v41, 0xffff0000, v39, v41
	v_cmp_lt_u16_e64 s11, v40, v42
	s_delay_alu instid0(VALU_DEP_4) | instskip(SKIP_2) | instid1(VALU_DEP_3)
	v_lshrrev_b32_e32 v40, 8, v3
	v_perm_b32 v42, v3, v3, 0x7050604
	s_wait_alu 0xf1ff
	v_cndmask_b32_e64 v4, v39, v41, s11
	v_lshrrev_b32_e32 v39, 16, v3
	v_and_b32_e32 v40, 0xff, v40
	s_delay_alu instid0(VALU_DEP_3) | instskip(NEXT) | instid1(VALU_DEP_3)
	v_lshrrev_b32_e32 v41, 16, v4
	v_and_b32_e32 v39, 0xff, v39
	s_delay_alu instid0(VALU_DEP_2) | instskip(NEXT) | instid1(VALU_DEP_2)
	v_perm_b32 v43, 0, v41, 0xc0c0001
	v_cmp_lt_u16_e64 s12, v39, v40
	v_lshrrev_b32_e32 v40, 24, v4
	v_and_b32_e32 v41, 0xff, v41
	s_delay_alu instid0(VALU_DEP_4) | instskip(SKIP_2) | instid1(VALU_DEP_3)
	v_lshlrev_b32_e32 v39, 16, v43
	s_wait_alu 0xf1ff
	v_cndmask_b32_e64 v3, v3, v42, s12
	v_cmp_lt_u16_e64 s13, v40, v41
	s_delay_alu instid0(VALU_DEP_3) | instskip(NEXT) | instid1(VALU_DEP_3)
	v_and_or_b32 v39, 0xffff, v4, v39
	v_lshrrev_b32_e32 v42, 8, v3
	v_and_b32_e32 v44, 0xff, v3
	v_perm_b32 v43, v3, v3, 0x7060405
	s_wait_alu 0xf1ff
	v_cndmask_b32_e64 v4, v4, v39, s13
	v_and_b32_e32 v42, 0xff, v42
	s_delay_alu instid0(VALU_DEP_2) | instskip(NEXT) | instid1(VALU_DEP_2)
	v_lshrrev_b32_e32 v39, 16, v4
	v_cmp_lt_u16_e64 s14, v42, v44
	v_lshrrev_b32_e32 v40, 8, v4
	v_perm_b32 v42, v4, v4, 0x7050604
	s_delay_alu instid0(VALU_DEP_4) | instskip(SKIP_3) | instid1(VALU_DEP_2)
	v_and_b32_e32 v39, 0xff, v39
	s_wait_alu 0xf1ff
	v_cndmask_b32_e64 v3, v3, v43, s14
	v_and_b32_e32 v40, 0xff, v40
	v_lshrrev_b32_e32 v41, 16, v3
	v_lshrrev_b32_e32 v43, 24, v3
	s_delay_alu instid0(VALU_DEP_3) | instskip(SKIP_1) | instid1(VALU_DEP_4)
	v_cmp_lt_u16_e64 s16, v39, v40
	v_perm_b32 v44, v3, v3, 0x6070504
	v_and_b32_e32 v41, 0xff, v41
	s_wait_alu 0xf1ff
	s_delay_alu instid0(VALU_DEP_3) | instskip(NEXT) | instid1(VALU_DEP_2)
	v_cndmask_b32_e64 v4, v4, v42, s16
	v_cmp_lt_u16_e64 s17, v43, v41
	s_delay_alu instid0(VALU_DEP_2) | instskip(SKIP_2) | instid1(VALU_DEP_3)
	v_lshrrev_b32_e32 v39, 16, v4
	v_lshrrev_b32_e32 v41, 24, v4
	s_wait_alu 0xf1ff
	v_cndmask_b32_e64 v3, v3, v44, s17
	s_delay_alu instid0(VALU_DEP_3) | instskip(NEXT) | instid1(VALU_DEP_2)
	v_and_b32_e32 v39, 0xff, v39
	v_lshlrev_b16 v40, 8, v3
	s_delay_alu instid0(VALU_DEP_1) | instskip(SKIP_1) | instid1(VALU_DEP_2)
	v_or_b32_e32 v39, v39, v40
	v_and_b32_e32 v40, 0xff, v3
	v_lshlrev_b32_e32 v39, 16, v39
	s_delay_alu instid0(VALU_DEP_2) | instskip(NEXT) | instid1(VALU_DEP_2)
	v_cmp_lt_u16_e64 s15, v40, v41
	v_and_or_b32 v39, 0xffff, v4, v39
	s_wait_alu 0xf1ff
	s_delay_alu instid0(VALU_DEP_1) | instskip(SKIP_1) | instid1(VALU_DEP_2)
	v_cndmask_b32_e64 v39, v4, v39, s15
	v_perm_b32 v4, v4, v3, 0x3020107
	v_lshrrev_b32_e32 v40, 8, v39
	v_perm_b32 v41, 0, v39, 0xc0c0001
	v_and_b32_e32 v42, 0xff, v39
	s_delay_alu instid0(VALU_DEP_4) | instskip(NEXT) | instid1(VALU_DEP_4)
	v_cndmask_b32_e64 v3, v3, v4, s15
	v_and_b32_e32 v40, 0xff, v40
	s_delay_alu instid0(VALU_DEP_4) | instskip(NEXT) | instid1(VALU_DEP_2)
	v_and_or_b32 v41, 0xffff0000, v39, v41
	v_cmp_lt_u16_e64 s18, v40, v42
	s_delay_alu instid0(VALU_DEP_4) | instskip(SKIP_2) | instid1(VALU_DEP_3)
	v_lshrrev_b32_e32 v40, 8, v3
	v_perm_b32 v42, v3, v3, 0x7050604
	s_wait_alu 0xf1ff
	v_cndmask_b32_e64 v4, v39, v41, s18
	v_lshrrev_b32_e32 v39, 16, v3
	v_and_b32_e32 v40, 0xff, v40
	s_delay_alu instid0(VALU_DEP_3) | instskip(NEXT) | instid1(VALU_DEP_3)
	v_lshrrev_b32_e32 v41, 16, v4
	v_and_b32_e32 v39, 0xff, v39
	s_delay_alu instid0(VALU_DEP_2) | instskip(NEXT) | instid1(VALU_DEP_2)
	v_perm_b32 v43, 0, v41, 0xc0c0001
	v_cmp_lt_u16_e64 s20, v39, v40
	v_lshrrev_b32_e32 v40, 24, v4
	v_and_b32_e32 v41, 0xff, v41
	s_delay_alu instid0(VALU_DEP_4) | instskip(SKIP_2) | instid1(VALU_DEP_3)
	v_lshlrev_b32_e32 v39, 16, v43
	s_wait_alu 0xf1ff
	v_cndmask_b32_e64 v3, v3, v42, s20
	v_cmp_lt_u16_e64 s21, v40, v41
	s_delay_alu instid0(VALU_DEP_3) | instskip(NEXT) | instid1(VALU_DEP_3)
	v_and_or_b32 v39, 0xffff, v4, v39
	v_lshrrev_b32_e32 v42, 8, v3
	v_and_b32_e32 v44, 0xff, v3
	v_perm_b32 v43, v3, v3, 0x7060405
	s_wait_alu 0xf1ff
	v_cndmask_b32_e64 v4, v4, v39, s21
	v_and_b32_e32 v42, 0xff, v42
	s_delay_alu instid0(VALU_DEP_2) | instskip(NEXT) | instid1(VALU_DEP_2)
	v_lshrrev_b32_e32 v39, 16, v4
	v_cmp_lt_u16_e64 s23, v42, v44
	v_lshrrev_b32_e32 v40, 8, v4
	v_perm_b32 v42, v4, v4, 0x7050604
	s_delay_alu instid0(VALU_DEP_4) | instskip(SKIP_3) | instid1(VALU_DEP_2)
	v_and_b32_e32 v39, 0xff, v39
	s_wait_alu 0xf1ff
	v_cndmask_b32_e64 v3, v3, v43, s23
	v_and_b32_e32 v40, 0xff, v40
	v_lshrrev_b32_e32 v41, 16, v3
	v_lshrrev_b32_e32 v43, 24, v3
	s_delay_alu instid0(VALU_DEP_3) | instskip(SKIP_1) | instid1(VALU_DEP_4)
	v_cmp_lt_u16_e64 s26, v39, v40
	v_perm_b32 v44, v3, v3, 0x6070504
	v_and_b32_e32 v41, 0xff, v41
	s_wait_alu 0xf1ff
	s_delay_alu instid0(VALU_DEP_3) | instskip(NEXT) | instid1(VALU_DEP_2)
	v_cndmask_b32_e64 v4, v4, v42, s26
	v_cmp_lt_u16_e64 s27, v43, v41
	s_delay_alu instid0(VALU_DEP_2) | instskip(SKIP_2) | instid1(VALU_DEP_3)
	v_lshrrev_b32_e32 v39, 16, v4
	v_lshrrev_b32_e32 v41, 24, v4
	s_wait_alu 0xf1ff
	v_cndmask_b32_e64 v3, v3, v44, s27
	s_delay_alu instid0(VALU_DEP_3) | instskip(NEXT) | instid1(VALU_DEP_2)
	v_and_b32_e32 v39, 0xff, v39
	v_lshlrev_b16 v40, 8, v3
	s_delay_alu instid0(VALU_DEP_1) | instskip(SKIP_1) | instid1(VALU_DEP_2)
	v_or_b32_e32 v39, v39, v40
	v_and_b32_e32 v40, 0xff, v3
	v_lshlrev_b32_e32 v39, 16, v39
	s_delay_alu instid0(VALU_DEP_2) | instskip(NEXT) | instid1(VALU_DEP_2)
	v_cmp_lt_u16_e64 s24, v40, v41
	v_and_or_b32 v39, 0xffff, v4, v39
	s_wait_alu 0xf1ff
	s_delay_alu instid0(VALU_DEP_1) | instskip(SKIP_1) | instid1(VALU_DEP_2)
	v_cndmask_b32_e64 v39, v4, v39, s24
	v_perm_b32 v4, v4, v3, 0x3020107
	v_lshrrev_b32_e32 v40, 8, v39
	v_perm_b32 v41, 0, v39, 0xc0c0001
	v_and_b32_e32 v42, 0xff, v39
	s_delay_alu instid0(VALU_DEP_4) | instskip(NEXT) | instid1(VALU_DEP_4)
	v_cndmask_b32_e64 v3, v3, v4, s24
	v_and_b32_e32 v40, 0xff, v40
	s_delay_alu instid0(VALU_DEP_4) | instskip(NEXT) | instid1(VALU_DEP_2)
	v_and_or_b32 v41, 0xffff0000, v39, v41
	v_cmp_lt_u16_e64 s31, v40, v42
	s_delay_alu instid0(VALU_DEP_4) | instskip(SKIP_2) | instid1(VALU_DEP_3)
	v_lshrrev_b32_e32 v40, 8, v3
	v_perm_b32 v42, v3, v3, 0x7050604
	s_wait_alu 0xf1ff
	v_cndmask_b32_e64 v4, v39, v41, s31
	v_lshrrev_b32_e32 v39, 16, v3
	v_and_b32_e32 v40, 0xff, v40
	s_delay_alu instid0(VALU_DEP_3) | instskip(NEXT) | instid1(VALU_DEP_3)
	v_lshrrev_b32_e32 v41, 16, v4
	v_and_b32_e32 v39, 0xff, v39
	s_delay_alu instid0(VALU_DEP_2) | instskip(NEXT) | instid1(VALU_DEP_2)
	v_perm_b32 v43, 0, v41, 0xc0c0001
	v_cmp_lt_u16_e64 s30, v39, v40
	v_lshrrev_b32_e32 v40, 24, v4
	v_and_b32_e32 v41, 0xff, v41
	s_delay_alu instid0(VALU_DEP_4) | instskip(SKIP_2) | instid1(VALU_DEP_3)
	v_lshlrev_b32_e32 v39, 16, v43
	s_wait_alu 0xf1ff
	v_cndmask_b32_e64 v3, v3, v42, s30
	v_cmp_lt_u16_e64 s33, v40, v41
	s_delay_alu instid0(VALU_DEP_3) | instskip(NEXT) | instid1(VALU_DEP_3)
	v_and_or_b32 v39, 0xffff, v4, v39
	v_lshrrev_b32_e32 v42, 8, v3
	v_and_b32_e32 v44, 0xff, v3
	v_perm_b32 v43, v3, v3, 0x7060405
	s_wait_alu 0xf1ff
	v_cndmask_b32_e64 v4, v4, v39, s33
	v_and_b32_e32 v42, 0xff, v42
	s_delay_alu instid0(VALU_DEP_2) | instskip(NEXT) | instid1(VALU_DEP_2)
	v_lshrrev_b32_e32 v39, 16, v4
	v_cmp_lt_u16_e64 s25, v42, v44
	v_lshrrev_b32_e32 v40, 8, v4
	v_perm_b32 v42, v4, v4, 0x7050604
	s_delay_alu instid0(VALU_DEP_4) | instskip(SKIP_3) | instid1(VALU_DEP_2)
	v_and_b32_e32 v39, 0xff, v39
	s_wait_alu 0xf1ff
	v_cndmask_b32_e64 v3, v3, v43, s25
	v_and_b32_e32 v40, 0xff, v40
	v_lshrrev_b32_e32 v41, 16, v3
	v_lshrrev_b32_e32 v43, 24, v3
	s_delay_alu instid0(VALU_DEP_3) | instskip(SKIP_1) | instid1(VALU_DEP_4)
	v_cmp_lt_u16_e64 s29, v39, v40
	v_perm_b32 v44, v3, v3, 0x6070504
	v_and_b32_e32 v41, 0xff, v41
	s_wait_alu 0xf1ff
	s_delay_alu instid0(VALU_DEP_3) | instskip(NEXT) | instid1(VALU_DEP_2)
	v_cndmask_b32_e64 v4, v4, v42, s29
	v_cmp_lt_u16_e64 s28, v43, v41
	s_delay_alu instid0(VALU_DEP_2) | instskip(SKIP_1) | instid1(VALU_DEP_2)
	v_lshrrev_b32_e32 v41, 24, v4
	s_wait_alu 0xf1ff
	v_cndmask_b32_e64 v39, v3, v44, s28
	v_lshrrev_b32_e32 v3, 16, v4
	s_delay_alu instid0(VALU_DEP_2) | instskip(NEXT) | instid1(VALU_DEP_2)
	v_lshlrev_b16 v40, 8, v39
	v_and_b32_e32 v3, 0xff, v3
	v_perm_b32 v42, v4, v39, 0x3020107
	s_delay_alu instid0(VALU_DEP_2) | instskip(SKIP_1) | instid1(VALU_DEP_2)
	v_or_b32_e32 v3, v3, v40
	v_and_b32_e32 v40, 0xff, v39
	v_lshlrev_b32_e32 v3, 16, v3
	s_delay_alu instid0(VALU_DEP_2) | instskip(NEXT) | instid1(VALU_DEP_2)
	v_cmp_lt_u16_e64 s19, v40, v41
	v_and_or_b32 v3, 0xffff, v4, v3
	s_wait_alu 0xf1ff
	s_delay_alu instid0(VALU_DEP_1) | instskip(SKIP_1) | instid1(VALU_DEP_1)
	v_cndmask_b32_e64 v3, v4, v3, s19
	v_cndmask_b32_e64 v4, v39, v42, s19
	v_lshrrev_b32_e32 v39, 16, v4
	v_lshrrev_b32_e32 v40, 8, v4
	v_perm_b32 v41, v4, v4, 0x7050604
	s_delay_alu instid0(VALU_DEP_3) | instskip(NEXT) | instid1(VALU_DEP_3)
	v_and_b32_e32 v39, 0xff, v39
	v_and_b32_e32 v40, 0xff, v40
	s_delay_alu instid0(VALU_DEP_1) | instskip(SKIP_2) | instid1(VALU_DEP_2)
	v_cmp_lt_u16_e64 s22, v39, v40
	v_mov_b32_e32 v39, v34
	s_wait_alu 0xf1ff
	v_cndmask_b32_e64 v4, v4, v41, s22
	ds_store_b64 v5, v[3:4]
	s_wait_loadcnt_dscnt 0x0
	s_barrier_signal -1
	s_barrier_wait -1
	global_inv scope:SCOPE_SE
	s_and_saveexec_b32 s35, s0
	s_cbranch_execz .LBB89_6
; %bb.3:                                ;   in Loop: Header=BB89_2 Depth=1
	v_mov_b32_e32 v39, v34
	v_mov_b32_e32 v3, v29
	s_mov_b32 s36, 0
.LBB89_4:                               ;   Parent Loop BB89_2 Depth=1
                                        ; =>  This Inner Loop Header: Depth=2
	s_delay_alu instid0(VALU_DEP_1) | instskip(NEXT) | instid1(VALU_DEP_1)
	v_sub_nc_u32_e32 v4, v3, v39
	v_lshrrev_b32_e32 v4, 1, v4
	s_delay_alu instid0(VALU_DEP_1) | instskip(NEXT) | instid1(VALU_DEP_1)
	v_add_nc_u32_e32 v4, v4, v39
	v_add_nc_u32_e32 v40, v6, v4
	v_xad_u32 v41, v4, -1, v24
	v_add_nc_u32_e32 v42, 1, v4
	ds_load_u8 v40, v40
	ds_load_u8 v41, v41
	s_wait_dscnt 0x0
	v_cmp_lt_u16_e64 s34, v41, v40
	s_wait_alu 0xf1ff
	s_delay_alu instid0(VALU_DEP_1) | instskip(SKIP_1) | instid1(VALU_DEP_1)
	v_cndmask_b32_e64 v3, v3, v4, s34
	v_cndmask_b32_e64 v39, v42, v39, s34
	v_cmp_ge_i32_e64 s34, v39, v3
	s_wait_alu 0xfffe
	s_or_b32 s36, s34, s36
	s_wait_alu 0xfffe
	s_and_not1_b32 exec_lo, exec_lo, s36
	s_cbranch_execnz .LBB89_4
; %bb.5:                                ;   in Loop: Header=BB89_2 Depth=1
	s_or_b32 exec_lo, exec_lo, s36
.LBB89_6:                               ;   in Loop: Header=BB89_2 Depth=1
	s_wait_alu 0xfffe
	s_or_b32 exec_lo, exec_lo, s35
	v_lshrrev_b64 v[3:4], 24, v[1:2]
	v_add_nc_u32_e32 v4, v39, v6
	v_sub_nc_u32_e32 v39, v24, v39
	v_lshrrev_b32_e32 v50, 8, v2
	v_lshrrev_b32_e32 v51, 16, v2
	;; [unrolled: 1-line block ×3, first 2 shown]
	ds_load_u8 v40, v4
	ds_load_u8 v41, v39
	v_cmp_le_i32_e64 s34, v14, v4
	v_cmp_gt_i32_e64 s36, v15, v39
	v_lshrrev_b32_e32 v53, 16, v1
	v_lshrrev_b32_e32 v55, 8, v1
	s_wait_dscnt 0x1
	v_and_b32_e32 v42, 0xff, v40
	s_wait_dscnt 0x0
	v_and_b32_e32 v43, 0xff, v41
	s_delay_alu instid0(VALU_DEP_1)
	v_cmp_lt_u16_e64 s35, v43, v42
                                        ; implicit-def: $vgpr42
	s_or_b32 s34, s34, s35
	s_wait_alu 0xfffe
	s_and_b32 s34, s36, s34
	s_wait_alu 0xfffe
	s_xor_b32 s35, s34, -1
	s_wait_alu 0xfffe
	s_and_saveexec_b32 s36, s35
	s_wait_alu 0xfffe
	s_xor_b32 s35, exec_lo, s36
; %bb.7:                                ;   in Loop: Header=BB89_2 Depth=1
	ds_load_u8 v42, v4 offset:1
; %bb.8:                                ;   in Loop: Header=BB89_2 Depth=1
	s_wait_alu 0xfffe
	s_or_saveexec_b32 s35, s35
	v_mov_b32_e32 v43, v41
	s_wait_alu 0xfffe
	s_xor_b32 exec_lo, exec_lo, s35
	s_cbranch_execz .LBB89_10
; %bb.9:                                ;   in Loop: Header=BB89_2 Depth=1
	ds_load_u8 v43, v39 offset:1
	s_wait_dscnt 0x1
	v_mov_b32_e32 v42, v40
.LBB89_10:                              ;   in Loop: Header=BB89_2 Depth=1
	s_or_b32 exec_lo, exec_lo, s35
	v_add_nc_u32_e32 v44, 1, v4
	v_add_nc_u32_e32 v45, 1, v39
	s_wait_dscnt 0x0
	v_and_b32_e32 v46, 0xff, v42
	v_and_b32_e32 v47, 0xff, v43
	v_cndmask_b32_e64 v44, v44, v4, s34
	v_cndmask_b32_e64 v45, v39, v45, s34
	s_delay_alu instid0(VALU_DEP_3) | instskip(NEXT) | instid1(VALU_DEP_3)
	v_cmp_lt_u16_e64 s36, v47, v46
                                        ; implicit-def: $vgpr46
	v_cmp_ge_i32_e64 s35, v44, v14
	s_delay_alu instid0(VALU_DEP_3)
	v_cmp_lt_i32_e64 s37, v45, v15
	s_or_b32 s35, s35, s36
	s_wait_alu 0xfffe
	s_and_b32 s35, s37, s35
	s_wait_alu 0xfffe
	s_xor_b32 s36, s35, -1
	s_wait_alu 0xfffe
	s_and_saveexec_b32 s37, s36
	s_wait_alu 0xfffe
	s_xor_b32 s36, exec_lo, s37
; %bb.11:                               ;   in Loop: Header=BB89_2 Depth=1
	ds_load_u8 v46, v44 offset:1
; %bb.12:                               ;   in Loop: Header=BB89_2 Depth=1
	s_wait_alu 0xfffe
	s_or_saveexec_b32 s36, s36
	v_mov_b32_e32 v47, v43
	s_wait_alu 0xfffe
	s_xor_b32 exec_lo, exec_lo, s36
	s_cbranch_execz .LBB89_14
; %bb.13:                               ;   in Loop: Header=BB89_2 Depth=1
	ds_load_u8 v47, v45 offset:1
	s_wait_dscnt 0x1
	v_mov_b32_e32 v46, v42
.LBB89_14:                              ;   in Loop: Header=BB89_2 Depth=1
	s_or_b32 exec_lo, exec_lo, s36
	v_add_nc_u32_e32 v48, 1, v44
	v_add_nc_u32_e32 v49, 1, v45
	s_wait_dscnt 0x0
	v_and_b32_e32 v54, 0xff, v46
	v_and_b32_e32 v56, 0xff, v47
	v_cndmask_b32_e64 v48, v48, v44, s35
	v_cndmask_b32_e64 v49, v45, v49, s35
	s_delay_alu instid0(VALU_DEP_3) | instskip(NEXT) | instid1(VALU_DEP_3)
	v_cmp_lt_u16_e64 s37, v56, v54
                                        ; implicit-def: $vgpr54
	v_cmp_ge_i32_e64 s36, v48, v14
	s_delay_alu instid0(VALU_DEP_3)
	v_cmp_lt_i32_e64 s38, v49, v15
	s_or_b32 s36, s36, s37
	s_wait_alu 0xfffe
	s_and_b32 s36, s38, s36
	s_wait_alu 0xfffe
	s_xor_b32 s37, s36, -1
	s_wait_alu 0xfffe
	s_and_saveexec_b32 s38, s37
	s_wait_alu 0xfffe
	s_xor_b32 s37, exec_lo, s38
; %bb.15:                               ;   in Loop: Header=BB89_2 Depth=1
	ds_load_u8 v54, v48 offset:1
; %bb.16:                               ;   in Loop: Header=BB89_2 Depth=1
	s_wait_alu 0xfffe
	s_or_saveexec_b32 s37, s37
	v_mov_b32_e32 v56, v47
	s_wait_alu 0xfffe
	s_xor_b32 exec_lo, exec_lo, s37
	s_cbranch_execz .LBB89_18
; %bb.17:                               ;   in Loop: Header=BB89_2 Depth=1
	ds_load_u8 v56, v49 offset:1
	s_wait_dscnt 0x1
	v_mov_b32_e32 v54, v46
.LBB89_18:                              ;   in Loop: Header=BB89_2 Depth=1
	s_or_b32 exec_lo, exec_lo, s37
	v_add_nc_u32_e32 v57, 1, v48
	v_add_nc_u32_e32 v58, 1, v49
	s_wait_dscnt 0x0
	v_and_b32_e32 v59, 0xff, v54
	v_and_b32_e32 v60, 0xff, v56
	v_cndmask_b32_e64 v57, v57, v48, s36
	v_cndmask_b32_e64 v58, v49, v58, s36
	s_delay_alu instid0(VALU_DEP_3) | instskip(NEXT) | instid1(VALU_DEP_3)
	v_cmp_lt_u16_e64 s38, v60, v59
                                        ; implicit-def: $vgpr59
	v_cmp_ge_i32_e64 s37, v57, v14
	s_delay_alu instid0(VALU_DEP_3)
	v_cmp_lt_i32_e64 s39, v58, v15
	s_or_b32 s37, s37, s38
	s_wait_alu 0xfffe
	s_and_b32 s37, s39, s37
	s_wait_alu 0xfffe
	s_xor_b32 s38, s37, -1
	s_wait_alu 0xfffe
	s_and_saveexec_b32 s39, s38
	s_wait_alu 0xfffe
	s_xor_b32 s38, exec_lo, s39
; %bb.19:                               ;   in Loop: Header=BB89_2 Depth=1
	ds_load_u8 v59, v57 offset:1
; %bb.20:                               ;   in Loop: Header=BB89_2 Depth=1
	s_wait_alu 0xfffe
	s_or_saveexec_b32 s38, s38
	v_mov_b32_e32 v60, v56
	s_wait_alu 0xfffe
	s_xor_b32 exec_lo, exec_lo, s38
	s_cbranch_execz .LBB89_22
; %bb.21:                               ;   in Loop: Header=BB89_2 Depth=1
	ds_load_u8 v60, v58 offset:1
	s_wait_dscnt 0x1
	v_mov_b32_e32 v59, v54
.LBB89_22:                              ;   in Loop: Header=BB89_2 Depth=1
	s_or_b32 exec_lo, exec_lo, s38
	v_add_nc_u32_e32 v61, 1, v57
	v_add_nc_u32_e32 v62, 1, v58
	s_wait_dscnt 0x0
	v_and_b32_e32 v63, 0xff, v59
	v_and_b32_e32 v64, 0xff, v60
	v_cndmask_b32_e64 v61, v61, v57, s37
	v_cndmask_b32_e64 v62, v58, v62, s37
	s_delay_alu instid0(VALU_DEP_3) | instskip(NEXT) | instid1(VALU_DEP_3)
	v_cmp_lt_u16_e64 s39, v64, v63
                                        ; implicit-def: $vgpr64
	v_cmp_ge_i32_e64 s38, v61, v14
	s_delay_alu instid0(VALU_DEP_3)
	v_cmp_lt_i32_e64 s40, v62, v15
	s_or_b32 s38, s38, s39
	s_wait_alu 0xfffe
	s_and_b32 s38, s40, s38
	s_wait_alu 0xfffe
	s_xor_b32 s39, s38, -1
	s_wait_alu 0xfffe
	s_and_saveexec_b32 s40, s39
	s_wait_alu 0xfffe
	s_xor_b32 s39, exec_lo, s40
; %bb.23:                               ;   in Loop: Header=BB89_2 Depth=1
	ds_load_u8 v64, v61 offset:1
; %bb.24:                               ;   in Loop: Header=BB89_2 Depth=1
	s_wait_alu 0xfffe
	s_or_saveexec_b32 s39, s39
	v_mov_b32_e32 v66, v60
	s_wait_alu 0xfffe
	s_xor_b32 exec_lo, exec_lo, s39
	s_cbranch_execz .LBB89_26
; %bb.25:                               ;   in Loop: Header=BB89_2 Depth=1
	ds_load_u8 v66, v62 offset:1
	s_wait_dscnt 0x1
	v_mov_b32_e32 v64, v59
.LBB89_26:                              ;   in Loop: Header=BB89_2 Depth=1
	s_or_b32 exec_lo, exec_lo, s39
	v_add_nc_u32_e32 v63, 1, v61
	v_add_nc_u32_e32 v65, 1, v62
	s_wait_dscnt 0x0
	v_and_b32_e32 v67, 0xff, v64
                                        ; implicit-def: $vgpr71
	s_delay_alu instid0(VALU_DEP_3) | instskip(SKIP_2) | instid1(VALU_DEP_3)
	v_cndmask_b32_e64 v69, v63, v61, s38
	v_and_b32_e32 v63, 0xff, v66
	v_cndmask_b32_e64 v70, v62, v65, s38
	v_cmp_ge_i32_e64 s39, v69, v14
	s_delay_alu instid0(VALU_DEP_3) | instskip(NEXT) | instid1(VALU_DEP_3)
	v_cmp_lt_u16_e64 s40, v63, v67
	v_cmp_lt_i32_e64 s41, v70, v15
	s_or_b32 s39, s39, s40
	s_wait_alu 0xfffe
	s_and_b32 s40, s41, s39
	s_wait_alu 0xfffe
	s_xor_b32 s39, s40, -1
	s_wait_alu 0xfffe
	s_and_saveexec_b32 s41, s39
	s_wait_alu 0xfffe
	s_xor_b32 s39, exec_lo, s41
; %bb.27:                               ;   in Loop: Header=BB89_2 Depth=1
	ds_load_u8 v71, v69 offset:1
; %bb.28:                               ;   in Loop: Header=BB89_2 Depth=1
	s_wait_alu 0xfffe
	s_or_saveexec_b32 s39, s39
	v_mov_b32_e32 v72, v66
	s_wait_alu 0xfffe
	s_xor_b32 exec_lo, exec_lo, s39
	s_cbranch_execz .LBB89_30
; %bb.29:                               ;   in Loop: Header=BB89_2 Depth=1
	ds_load_u8 v72, v70 offset:1
	s_wait_dscnt 0x1
	v_mov_b32_e32 v71, v64
.LBB89_30:                              ;   in Loop: Header=BB89_2 Depth=1
	s_or_b32 exec_lo, exec_lo, s39
	v_add_nc_u32_e32 v63, 1, v69
	v_add_nc_u32_e32 v65, 1, v70
	s_wait_dscnt 0x0
	v_and_b32_e32 v73, 0xff, v71
	s_delay_alu instid0(VALU_DEP_3) | instskip(SKIP_2) | instid1(VALU_DEP_3)
	v_cndmask_b32_e64 v67, v63, v69, s40
	v_and_b32_e32 v63, 0xff, v72
	v_cndmask_b32_e64 v68, v70, v65, s40
	v_cmp_ge_i32_e64 s39, v67, v14
	s_delay_alu instid0(VALU_DEP_3) | instskip(NEXT) | instid1(VALU_DEP_3)
	v_cmp_lt_u16_e64 s41, v63, v73
	v_cmp_lt_i32_e64 s42, v68, v15
                                        ; implicit-def: $vgpr63
	s_or_b32 s39, s39, s41
	s_wait_alu 0xfffe
	s_and_b32 s39, s42, s39
	s_wait_alu 0xfffe
	s_xor_b32 s41, s39, -1
	s_wait_alu 0xfffe
	s_and_saveexec_b32 s42, s41
	s_delay_alu instid0(SALU_CYCLE_1)
	s_xor_b32 s41, exec_lo, s42
; %bb.31:                               ;   in Loop: Header=BB89_2 Depth=1
	ds_load_u8 v63, v67 offset:1
; %bb.32:                               ;   in Loop: Header=BB89_2 Depth=1
	s_wait_alu 0xfffe
	s_or_saveexec_b32 s41, s41
	v_mov_b32_e32 v65, v72
	s_wait_alu 0xfffe
	s_xor_b32 exec_lo, exec_lo, s41
	s_cbranch_execz .LBB89_34
; %bb.33:                               ;   in Loop: Header=BB89_2 Depth=1
	ds_load_u8 v65, v68 offset:1
	s_wait_dscnt 0x1
	v_mov_b32_e32 v63, v71
.LBB89_34:                              ;   in Loop: Header=BB89_2 Depth=1
	s_or_b32 exec_lo, exec_lo, s41
	v_perm_b32 v73, v55, v1, 0xc0c0004
	v_perm_b32 v1, v1, v55, 0xc0c0004
	;; [unrolled: 1-line block ×5, first 2 shown]
	v_cndmask_b32_e64 v54, v54, v56, s37
	v_cndmask_b32_e64 v1, v1, v73, s5
	v_perm_b32 v53, 0, v3, 0xc0c0001
	v_cndmask_b32_e64 v40, v40, v41, s34
	v_lshl_or_b32 v2, v50, 16, v2
	v_cndmask_b32_e64 v42, v42, v43, s35
	v_lshl_or_b32 v1, v3, 16, v1
	v_lshlrev_b32_e32 v3, 16, v53
	v_cndmask_b32_e64 v43, v44, v45, s35
	v_perm_b32 v50, v2, v2, 0x7060405
	v_add_nc_u32_e32 v52, 1, v67
	v_add_nc_u32_e32 v51, 1, v68
	v_and_or_b32 v3, 0xffff, v1, v3
	v_cndmask_b32_e64 v46, v46, v47, s36
	v_cndmask_b32_e64 v2, v2, v50, s7
	;; [unrolled: 1-line block ×6, first 2 shown]
	v_perm_b32 v50, v2, v2, 0x6070504
	v_cndmask_b32_e64 v64, v64, v66, s40
	v_cmp_ge_i32_e64 s6, v48, v14
	v_perm_b32 v3, v1, v1, 0x7050604
	v_cmp_lt_i32_e64 s7, v45, v15
	v_cndmask_b32_e64 v2, v2, v50, s10
	v_cndmask_b32_e64 v57, v57, v58, s37
	;; [unrolled: 1-line block ×5, first 2 shown]
	v_lshlrev_b16 v50, 8, v2
	s_wait_loadcnt_dscnt 0x0
	s_barrier_signal -1
	v_lshrrev_b32_e32 v3, 16, v1
	s_barrier_wait -1
	global_inv scope:SCOPE_SE
	v_and_b32_e32 v3, 0xff, v3
	s_delay_alu instid0(VALU_DEP_1) | instskip(NEXT) | instid1(VALU_DEP_1)
	v_or_b32_e32 v3, v3, v50
	v_lshlrev_b32_e32 v3, 16, v3
	s_delay_alu instid0(VALU_DEP_1) | instskip(NEXT) | instid1(VALU_DEP_1)
	v_and_or_b32 v3, 0xffff, v1, v3
	v_cndmask_b32_e64 v3, v1, v3, s8
	v_perm_b32 v1, v1, v2, 0x3020107
	s_delay_alu instid0(VALU_DEP_2) | instskip(NEXT) | instid1(VALU_DEP_2)
	v_perm_b32 v50, 0, v3, 0xc0c0001
	v_cndmask_b32_e64 v1, v2, v1, s8
	s_delay_alu instid0(VALU_DEP_2) | instskip(NEXT) | instid1(VALU_DEP_1)
	v_and_or_b32 v50, 0xffff0000, v3, v50
	v_cndmask_b32_e64 v3, v3, v50, s11
	s_delay_alu instid0(VALU_DEP_1) | instskip(NEXT) | instid1(VALU_DEP_1)
	v_lshrrev_b32_e32 v50, 16, v3
	v_perm_b32 v2, 0, v50, 0xc0c0001
	v_perm_b32 v50, v1, v1, 0x7050604
	s_delay_alu instid0(VALU_DEP_2) | instskip(NEXT) | instid1(VALU_DEP_2)
	v_lshlrev_b32_e32 v2, 16, v2
	v_cndmask_b32_e64 v1, v1, v50, s12
	s_delay_alu instid0(VALU_DEP_2) | instskip(NEXT) | instid1(VALU_DEP_2)
	v_and_or_b32 v2, 0xffff, v3, v2
	v_perm_b32 v50, v1, v1, 0x7060405
	s_delay_alu instid0(VALU_DEP_2) | instskip(NEXT) | instid1(VALU_DEP_2)
	v_cndmask_b32_e64 v2, v3, v2, s13
	v_cndmask_b32_e64 v1, v1, v50, s14
	s_delay_alu instid0(VALU_DEP_2) | instskip(NEXT) | instid1(VALU_DEP_2)
	v_perm_b32 v3, v2, v2, 0x7050604
	v_perm_b32 v50, v1, v1, 0x6070504
	s_delay_alu instid0(VALU_DEP_2) | instskip(NEXT) | instid1(VALU_DEP_2)
	v_cndmask_b32_e64 v2, v2, v3, s16
	v_cndmask_b32_e64 v1, v1, v50, s17
	s_delay_alu instid0(VALU_DEP_2) | instskip(NEXT) | instid1(VALU_DEP_2)
	v_lshrrev_b32_e32 v3, 16, v2
	v_lshlrev_b16 v50, 8, v1
	s_delay_alu instid0(VALU_DEP_2) | instskip(NEXT) | instid1(VALU_DEP_1)
	v_and_b32_e32 v3, 0xff, v3
	v_or_b32_e32 v3, v3, v50
	s_delay_alu instid0(VALU_DEP_1) | instskip(NEXT) | instid1(VALU_DEP_1)
	v_lshlrev_b32_e32 v3, 16, v3
	v_and_or_b32 v3, 0xffff, v2, v3
	s_delay_alu instid0(VALU_DEP_1) | instskip(SKIP_1) | instid1(VALU_DEP_2)
	v_cndmask_b32_e64 v3, v2, v3, s15
	v_perm_b32 v2, v2, v1, 0x3020107
	v_perm_b32 v50, 0, v3, 0xc0c0001
	s_delay_alu instid0(VALU_DEP_2) | instskip(NEXT) | instid1(VALU_DEP_2)
	v_cndmask_b32_e64 v1, v1, v2, s15
	v_and_or_b32 v50, 0xffff0000, v3, v50
	s_delay_alu instid0(VALU_DEP_1) | instskip(NEXT) | instid1(VALU_DEP_1)
	v_cndmask_b32_e64 v3, v3, v50, s18
	v_lshrrev_b32_e32 v50, 16, v3
	s_delay_alu instid0(VALU_DEP_1) | instskip(SKIP_1) | instid1(VALU_DEP_2)
	v_perm_b32 v2, 0, v50, 0xc0c0001
	v_perm_b32 v50, v1, v1, 0x7050604
	v_lshlrev_b32_e32 v2, 16, v2
	s_delay_alu instid0(VALU_DEP_2) | instskip(NEXT) | instid1(VALU_DEP_2)
	v_cndmask_b32_e64 v1, v1, v50, s20
	v_and_or_b32 v2, 0xffff, v3, v2
	s_delay_alu instid0(VALU_DEP_2) | instskip(NEXT) | instid1(VALU_DEP_2)
	v_perm_b32 v50, v1, v1, 0x7060405
	v_cndmask_b32_e64 v2, v3, v2, s21
	s_delay_alu instid0(VALU_DEP_2) | instskip(NEXT) | instid1(VALU_DEP_2)
	v_cndmask_b32_e64 v1, v1, v50, s23
	v_perm_b32 v3, v2, v2, 0x7050604
	s_delay_alu instid0(VALU_DEP_2) | instskip(NEXT) | instid1(VALU_DEP_2)
	v_perm_b32 v50, v1, v1, 0x6070504
	v_cndmask_b32_e64 v2, v2, v3, s26
	s_delay_alu instid0(VALU_DEP_2) | instskip(NEXT) | instid1(VALU_DEP_2)
	v_cndmask_b32_e64 v1, v1, v50, s27
	v_lshrrev_b32_e32 v3, 16, v2
	s_delay_alu instid0(VALU_DEP_2) | instskip(NEXT) | instid1(VALU_DEP_2)
	v_lshlrev_b16 v50, 8, v1
	v_and_b32_e32 v3, 0xff, v3
	s_delay_alu instid0(VALU_DEP_1) | instskip(NEXT) | instid1(VALU_DEP_1)
	v_or_b32_e32 v3, v3, v50
	v_lshlrev_b32_e32 v3, 16, v3
	s_delay_alu instid0(VALU_DEP_1) | instskip(NEXT) | instid1(VALU_DEP_1)
	v_and_or_b32 v3, 0xffff, v2, v3
	v_cndmask_b32_e64 v3, v2, v3, s24
	v_perm_b32 v2, v2, v1, 0x3020107
	s_delay_alu instid0(VALU_DEP_2) | instskip(NEXT) | instid1(VALU_DEP_2)
	v_perm_b32 v50, 0, v3, 0xc0c0001
	v_cndmask_b32_e64 v1, v1, v2, s24
	s_delay_alu instid0(VALU_DEP_2) | instskip(NEXT) | instid1(VALU_DEP_2)
	v_and_or_b32 v50, 0xffff0000, v3, v50
	v_perm_b32 v56, v1, v1, 0x7050604
	s_delay_alu instid0(VALU_DEP_2) | instskip(NEXT) | instid1(VALU_DEP_2)
	v_cndmask_b32_e64 v3, v3, v50, s31
	v_cndmask_b32_e64 v1, v1, v56, s30
	;; [unrolled: 1-line block ×3, first 2 shown]
	s_delay_alu instid0(VALU_DEP_3) | instskip(NEXT) | instid1(VALU_DEP_3)
	v_lshrrev_b32_e32 v53, 16, v3
	v_perm_b32 v41, v1, v1, 0x7060405
	s_delay_alu instid0(VALU_DEP_3) | instskip(NEXT) | instid1(VALU_DEP_3)
	v_and_b32_e32 v50, 0xff, v50
	v_perm_b32 v2, 0, v53, 0xc0c0001
	s_delay_alu instid0(VALU_DEP_3) | instskip(SKIP_2) | instid1(VALU_DEP_4)
	v_cndmask_b32_e64 v1, v1, v41, s25
	v_cndmask_b32_e64 v53, v59, v60, s38
	;; [unrolled: 1-line block ×3, first 2 shown]
	v_lshlrev_b32_e32 v2, 16, v2
	s_delay_alu instid0(VALU_DEP_4) | instskip(NEXT) | instid1(VALU_DEP_2)
	v_perm_b32 v44, v1, v1, 0x6070504
	v_and_or_b32 v2, 0xffff, v3, v2
	s_delay_alu instid0(VALU_DEP_2) | instskip(SKIP_1) | instid1(VALU_DEP_3)
	v_cndmask_b32_e64 v1, v1, v44, s28
	v_and_b32_e32 v44, 0xff, v46
	v_cndmask_b32_e64 v2, v3, v2, s33
	v_cndmask_b32_e64 v3, v4, v39, s34
	v_and_b32_e32 v4, 0xff, v63
	v_and_b32_e32 v39, 0xff, v65
	s_delay_alu instid0(VALU_DEP_4) | instskip(NEXT) | instid1(VALU_DEP_2)
	v_perm_b32 v41, v2, v2, 0x7050604
	v_cmp_lt_u16_e64 s5, v39, v4
	v_and_b32_e32 v39, 0xff, v40
	s_delay_alu instid0(VALU_DEP_3)
	v_cndmask_b32_e64 v41, v2, v41, s29
	v_lshlrev_b16 v40, 8, v1
	v_lshlrev_b16 v4, 8, v42
	s_or_b32 s5, s6, s5
	v_lshlrev_b16 v42, 8, v54
	v_lshrrev_b32_e32 v2, 16, v41
	v_perm_b32 v46, v41, v1, 0x3020107
	s_wait_alu 0xfffe
	s_and_b32 s5, s7, s5
	s_wait_alu 0xfffe
	v_cndmask_b32_e64 v49, v63, v65, s5
	v_and_b32_e32 v2, 0xff, v2
	v_cndmask_b32_e64 v1, v1, v46, s19
	v_and_b32_e32 v46, 0xff, v53
	v_or_b32_e32 v53, v39, v4
	v_lshlrev_b16 v4, 8, v49
	v_or_b32_e32 v2, v2, v40
	v_perm_b32 v51, v1, v1, 0x7050604
	v_lshlrev_b16 v40, 8, v64
	v_cndmask_b32_e64 v39, v48, v45, s5
	v_or_b32_e32 v44, v44, v42
	v_lshlrev_b32_e32 v2, 16, v2
	v_or_b32_e32 v45, v50, v4
	v_or_b32_e32 v46, v46, v40
	s_delay_alu instid0(VALU_DEP_4) | instskip(NEXT) | instid1(VALU_DEP_4)
	v_lshlrev_b32_e32 v44, 16, v44
	v_and_or_b32 v52, 0xffff, v41, v2
	v_cndmask_b32_e64 v2, v1, v51, s22
	s_delay_alu instid0(VALU_DEP_4) | instskip(SKIP_1) | instid1(VALU_DEP_4)
	v_and_b32_e32 v46, 0xffff, v46
	v_lshlrev_b32_e32 v45, 16, v45
	v_cndmask_b32_e64 v1, v41, v52, s19
	ds_store_b64 v5, v[1:2]
	s_wait_loadcnt_dscnt 0x0
	s_barrier_signal -1
	s_barrier_wait -1
	global_inv scope:SCOPE_SE
	ds_load_u8 v1, v3
	ds_load_u8 v39, v39
	;; [unrolled: 1-line block ×8, first 2 shown]
	v_and_b32_e32 v43, 0xffff, v53
	s_wait_loadcnt_dscnt 0x0
	s_barrier_signal -1
	s_barrier_wait -1
	global_inv scope:SCOPE_SE
	v_or_b32_e32 v43, v43, v44
	v_or_b32_e32 v44, v46, v45
	ds_store_b64 v5, v[43:44]
	v_mov_b32_e32 v44, v35
	s_wait_loadcnt_dscnt 0x0
	s_barrier_signal -1
	s_barrier_wait -1
	global_inv scope:SCOPE_SE
	s_and_saveexec_b32 s6, s1
	s_cbranch_execz .LBB89_38
; %bb.35:                               ;   in Loop: Header=BB89_2 Depth=1
	v_dual_mov_b32 v44, v35 :: v_dual_mov_b32 v43, v30
	s_mov_b32 s7, 0
.LBB89_36:                              ;   Parent Loop BB89_2 Depth=1
                                        ; =>  This Inner Loop Header: Depth=2
	s_delay_alu instid0(VALU_DEP_1) | instskip(NEXT) | instid1(VALU_DEP_1)
	v_sub_nc_u32_e32 v45, v43, v44
	v_lshrrev_b32_e32 v45, 1, v45
	s_delay_alu instid0(VALU_DEP_1) | instskip(NEXT) | instid1(VALU_DEP_1)
	v_add_nc_u32_e32 v45, v45, v44
	v_add_nc_u32_e32 v46, v7, v45
	v_xad_u32 v47, v45, -1, v25
	v_add_nc_u32_e32 v48, 1, v45
	ds_load_u8 v46, v46
	ds_load_u8 v47, v47
	s_wait_dscnt 0x0
	v_cmp_lt_u16_e64 s5, v47, v46
	s_wait_alu 0xf1ff
	s_delay_alu instid0(VALU_DEP_1) | instskip(SKIP_1) | instid1(VALU_DEP_1)
	v_cndmask_b32_e64 v43, v43, v45, s5
	v_cndmask_b32_e64 v44, v48, v44, s5
	v_cmp_ge_i32_e64 s5, v44, v43
	s_wait_alu 0xfffe
	s_or_b32 s7, s5, s7
	s_wait_alu 0xfffe
	s_and_not1_b32 exec_lo, exec_lo, s7
	s_cbranch_execnz .LBB89_36
; %bb.37:                               ;   in Loop: Header=BB89_2 Depth=1
	s_or_b32 exec_lo, exec_lo, s7
.LBB89_38:                              ;   in Loop: Header=BB89_2 Depth=1
	s_wait_alu 0xfffe
	s_or_b32 exec_lo, exec_lo, s6
	v_add_nc_u32_e32 v43, v44, v7
	v_sub_nc_u32_e32 v44, v25, v44
	ds_load_u8 v45, v43
	ds_load_u8 v46, v44
	v_cmp_le_i32_e64 s5, v16, v43
	v_cmp_gt_i32_e64 s7, v17, v44
	s_wait_dscnt 0x1
	v_and_b32_e32 v47, 0xff, v45
	s_wait_dscnt 0x0
	v_and_b32_e32 v48, 0xff, v46
	s_delay_alu instid0(VALU_DEP_1)
	v_cmp_lt_u16_e64 s6, v48, v47
                                        ; implicit-def: $vgpr47
	s_or_b32 s5, s5, s6
	s_wait_alu 0xfffe
	s_and_b32 s5, s7, s5
	s_wait_alu 0xfffe
	s_xor_b32 s6, s5, -1
	s_wait_alu 0xfffe
	s_and_saveexec_b32 s7, s6
	s_wait_alu 0xfffe
	s_xor_b32 s6, exec_lo, s7
; %bb.39:                               ;   in Loop: Header=BB89_2 Depth=1
	ds_load_u8 v47, v43 offset:1
; %bb.40:                               ;   in Loop: Header=BB89_2 Depth=1
	s_wait_alu 0xfffe
	s_or_saveexec_b32 s6, s6
	v_mov_b32_e32 v48, v46
	s_wait_alu 0xfffe
	s_xor_b32 exec_lo, exec_lo, s6
	s_cbranch_execz .LBB89_42
; %bb.41:                               ;   in Loop: Header=BB89_2 Depth=1
	ds_load_u8 v48, v44 offset:1
	s_wait_dscnt 0x1
	v_mov_b32_e32 v47, v45
.LBB89_42:                              ;   in Loop: Header=BB89_2 Depth=1
	s_or_b32 exec_lo, exec_lo, s6
	v_add_nc_u32_e32 v49, 1, v43
	v_add_nc_u32_e32 v50, 1, v44
	s_wait_dscnt 0x0
	v_and_b32_e32 v51, 0xff, v47
	v_and_b32_e32 v52, 0xff, v48
	v_cndmask_b32_e64 v49, v49, v43, s5
	v_cndmask_b32_e64 v50, v44, v50, s5
	s_delay_alu instid0(VALU_DEP_3) | instskip(NEXT) | instid1(VALU_DEP_3)
	v_cmp_lt_u16_e64 s7, v52, v51
                                        ; implicit-def: $vgpr51
	v_cmp_ge_i32_e64 s6, v49, v16
	s_delay_alu instid0(VALU_DEP_3)
	v_cmp_lt_i32_e64 s8, v50, v17
	s_or_b32 s6, s6, s7
	s_wait_alu 0xfffe
	s_and_b32 s6, s8, s6
	s_wait_alu 0xfffe
	s_xor_b32 s7, s6, -1
	s_wait_alu 0xfffe
	s_and_saveexec_b32 s8, s7
	s_wait_alu 0xfffe
	s_xor_b32 s7, exec_lo, s8
; %bb.43:                               ;   in Loop: Header=BB89_2 Depth=1
	ds_load_u8 v51, v49 offset:1
; %bb.44:                               ;   in Loop: Header=BB89_2 Depth=1
	s_wait_alu 0xfffe
	s_or_saveexec_b32 s7, s7
	v_mov_b32_e32 v52, v48
	s_wait_alu 0xfffe
	s_xor_b32 exec_lo, exec_lo, s7
	s_cbranch_execz .LBB89_46
; %bb.45:                               ;   in Loop: Header=BB89_2 Depth=1
	ds_load_u8 v52, v50 offset:1
	s_wait_dscnt 0x1
	v_mov_b32_e32 v51, v47
.LBB89_46:                              ;   in Loop: Header=BB89_2 Depth=1
	s_or_b32 exec_lo, exec_lo, s7
	v_add_nc_u32_e32 v53, 1, v49
	v_add_nc_u32_e32 v54, 1, v50
	s_wait_dscnt 0x0
	v_and_b32_e32 v55, 0xff, v51
	v_and_b32_e32 v56, 0xff, v52
	v_cndmask_b32_e64 v53, v53, v49, s6
	v_cndmask_b32_e64 v54, v50, v54, s6
	s_delay_alu instid0(VALU_DEP_3) | instskip(NEXT) | instid1(VALU_DEP_3)
	v_cmp_lt_u16_e64 s8, v56, v55
                                        ; implicit-def: $vgpr55
	v_cmp_ge_i32_e64 s7, v53, v16
	s_delay_alu instid0(VALU_DEP_3)
	v_cmp_lt_i32_e64 s9, v54, v17
	s_or_b32 s7, s7, s8
	s_wait_alu 0xfffe
	s_and_b32 s7, s9, s7
	s_wait_alu 0xfffe
	s_xor_b32 s8, s7, -1
	s_wait_alu 0xfffe
	s_and_saveexec_b32 s9, s8
	s_wait_alu 0xfffe
	s_xor_b32 s8, exec_lo, s9
; %bb.47:                               ;   in Loop: Header=BB89_2 Depth=1
	ds_load_u8 v55, v53 offset:1
; %bb.48:                               ;   in Loop: Header=BB89_2 Depth=1
	s_wait_alu 0xfffe
	s_or_saveexec_b32 s8, s8
	v_mov_b32_e32 v56, v52
	s_wait_alu 0xfffe
	s_xor_b32 exec_lo, exec_lo, s8
	s_cbranch_execz .LBB89_50
; %bb.49:                               ;   in Loop: Header=BB89_2 Depth=1
	ds_load_u8 v56, v54 offset:1
	s_wait_dscnt 0x1
	v_mov_b32_e32 v55, v51
.LBB89_50:                              ;   in Loop: Header=BB89_2 Depth=1
	s_or_b32 exec_lo, exec_lo, s8
	v_add_nc_u32_e32 v57, 1, v53
	v_add_nc_u32_e32 v58, 1, v54
	s_wait_dscnt 0x0
	v_and_b32_e32 v59, 0xff, v55
	v_and_b32_e32 v60, 0xff, v56
	v_cndmask_b32_e64 v57, v57, v53, s7
	v_cndmask_b32_e64 v58, v54, v58, s7
	s_delay_alu instid0(VALU_DEP_3) | instskip(NEXT) | instid1(VALU_DEP_3)
	v_cmp_lt_u16_e64 s9, v60, v59
                                        ; implicit-def: $vgpr59
	v_cmp_ge_i32_e64 s8, v57, v16
	s_delay_alu instid0(VALU_DEP_3)
	v_cmp_lt_i32_e64 s10, v58, v17
	s_or_b32 s8, s8, s9
	s_wait_alu 0xfffe
	s_and_b32 s8, s10, s8
	s_wait_alu 0xfffe
	s_xor_b32 s9, s8, -1
	s_wait_alu 0xfffe
	s_and_saveexec_b32 s10, s9
	s_wait_alu 0xfffe
	s_xor_b32 s9, exec_lo, s10
; %bb.51:                               ;   in Loop: Header=BB89_2 Depth=1
	ds_load_u8 v59, v57 offset:1
; %bb.52:                               ;   in Loop: Header=BB89_2 Depth=1
	s_wait_alu 0xfffe
	s_or_saveexec_b32 s9, s9
	v_mov_b32_e32 v60, v56
	s_wait_alu 0xfffe
	s_xor_b32 exec_lo, exec_lo, s9
	s_cbranch_execz .LBB89_54
; %bb.53:                               ;   in Loop: Header=BB89_2 Depth=1
	ds_load_u8 v60, v58 offset:1
	s_wait_dscnt 0x1
	v_mov_b32_e32 v59, v55
.LBB89_54:                              ;   in Loop: Header=BB89_2 Depth=1
	s_or_b32 exec_lo, exec_lo, s9
	v_add_nc_u32_e32 v61, 1, v57
	v_add_nc_u32_e32 v62, 1, v58
	s_wait_dscnt 0x0
	v_and_b32_e32 v63, 0xff, v59
	v_and_b32_e32 v64, 0xff, v60
	v_cndmask_b32_e64 v61, v61, v57, s8
	v_cndmask_b32_e64 v62, v58, v62, s8
	s_delay_alu instid0(VALU_DEP_3) | instskip(NEXT) | instid1(VALU_DEP_3)
	v_cmp_lt_u16_e64 s10, v64, v63
                                        ; implicit-def: $vgpr63
	v_cmp_ge_i32_e64 s9, v61, v16
	s_delay_alu instid0(VALU_DEP_3)
	v_cmp_lt_i32_e64 s11, v62, v17
	s_or_b32 s9, s9, s10
	s_wait_alu 0xfffe
	s_and_b32 s9, s11, s9
	s_wait_alu 0xfffe
	s_xor_b32 s10, s9, -1
	s_wait_alu 0xfffe
	s_and_saveexec_b32 s11, s10
	s_wait_alu 0xfffe
	s_xor_b32 s10, exec_lo, s11
; %bb.55:                               ;   in Loop: Header=BB89_2 Depth=1
	ds_load_u8 v63, v61 offset:1
; %bb.56:                               ;   in Loop: Header=BB89_2 Depth=1
	s_wait_alu 0xfffe
	s_or_saveexec_b32 s10, s10
	v_mov_b32_e32 v64, v60
	s_wait_alu 0xfffe
	s_xor_b32 exec_lo, exec_lo, s10
	s_cbranch_execz .LBB89_58
; %bb.57:                               ;   in Loop: Header=BB89_2 Depth=1
	ds_load_u8 v64, v62 offset:1
	s_wait_dscnt 0x1
	v_mov_b32_e32 v63, v59
.LBB89_58:                              ;   in Loop: Header=BB89_2 Depth=1
	s_or_b32 exec_lo, exec_lo, s10
	v_add_nc_u32_e32 v65, 1, v61
	v_add_nc_u32_e32 v66, 1, v62
	s_wait_dscnt 0x0
	v_and_b32_e32 v67, 0xff, v63
	v_and_b32_e32 v68, 0xff, v64
	v_cndmask_b32_e64 v65, v65, v61, s9
	v_cndmask_b32_e64 v66, v62, v66, s9
	s_delay_alu instid0(VALU_DEP_3) | instskip(NEXT) | instid1(VALU_DEP_3)
	v_cmp_lt_u16_e64 s11, v68, v67
                                        ; implicit-def: $vgpr68
	v_cmp_ge_i32_e64 s10, v65, v16
	s_delay_alu instid0(VALU_DEP_3)
	v_cmp_lt_i32_e64 s12, v66, v17
	s_or_b32 s10, s10, s11
	s_wait_alu 0xfffe
	s_and_b32 s10, s12, s10
	s_wait_alu 0xfffe
	s_xor_b32 s11, s10, -1
	s_wait_alu 0xfffe
	s_and_saveexec_b32 s12, s11
	s_wait_alu 0xfffe
	s_xor_b32 s11, exec_lo, s12
; %bb.59:                               ;   in Loop: Header=BB89_2 Depth=1
	ds_load_u8 v68, v65 offset:1
; %bb.60:                               ;   in Loop: Header=BB89_2 Depth=1
	s_wait_alu 0xfffe
	s_or_saveexec_b32 s11, s11
	v_mov_b32_e32 v70, v64
	s_wait_alu 0xfffe
	s_xor_b32 exec_lo, exec_lo, s11
	s_cbranch_execz .LBB89_62
; %bb.61:                               ;   in Loop: Header=BB89_2 Depth=1
	ds_load_u8 v70, v66 offset:1
	s_wait_dscnt 0x1
	v_mov_b32_e32 v68, v63
.LBB89_62:                              ;   in Loop: Header=BB89_2 Depth=1
	s_or_b32 exec_lo, exec_lo, s11
	v_add_nc_u32_e32 v67, 1, v65
	v_add_nc_u32_e32 v69, 1, v66
	s_wait_dscnt 0x0
	v_and_b32_e32 v73, 0xff, v68
	s_delay_alu instid0(VALU_DEP_3) | instskip(SKIP_2) | instid1(VALU_DEP_3)
	v_cndmask_b32_e64 v71, v67, v65, s10
	v_and_b32_e32 v67, 0xff, v70
	v_cndmask_b32_e64 v72, v66, v69, s10
	v_cmp_ge_i32_e64 s11, v71, v16
	s_delay_alu instid0(VALU_DEP_3) | instskip(NEXT) | instid1(VALU_DEP_3)
	v_cmp_lt_u16_e64 s12, v67, v73
	v_cmp_lt_i32_e64 s13, v72, v17
                                        ; implicit-def: $vgpr67
	s_or_b32 s11, s11, s12
	s_wait_alu 0xfffe
	s_and_b32 s11, s13, s11
	s_wait_alu 0xfffe
	s_xor_b32 s12, s11, -1
	s_wait_alu 0xfffe
	s_and_saveexec_b32 s13, s12
	s_wait_alu 0xfffe
	s_xor_b32 s12, exec_lo, s13
; %bb.63:                               ;   in Loop: Header=BB89_2 Depth=1
	ds_load_u8 v67, v71 offset:1
; %bb.64:                               ;   in Loop: Header=BB89_2 Depth=1
	s_wait_alu 0xfffe
	s_or_saveexec_b32 s12, s12
	v_mov_b32_e32 v69, v70
	s_wait_alu 0xfffe
	s_xor_b32 exec_lo, exec_lo, s12
	s_cbranch_execz .LBB89_66
; %bb.65:                               ;   in Loop: Header=BB89_2 Depth=1
	ds_load_u8 v69, v72 offset:1
	s_wait_dscnt 0x1
	v_mov_b32_e32 v67, v68
.LBB89_66:                              ;   in Loop: Header=BB89_2 Depth=1
	s_or_b32 exec_lo, exec_lo, s12
	v_add_nc_u32_e32 v74, 1, v71
	v_add_nc_u32_e32 v73, 1, v72
	v_cndmask_b32_e64 v68, v68, v70, s11
	v_cndmask_b32_e64 v70, v71, v72, s11
	v_cndmask_b32_e64 v55, v55, v56, s8
	v_cndmask_b32_e64 v71, v74, v71, s11
	v_cndmask_b32_e64 v56, v57, v58, s8
	s_wait_dscnt 0x0
	v_and_b32_e32 v57, 0xff, v67
	v_and_b32_e32 v58, 0xff, v69
	v_cndmask_b32_e64 v72, v72, v73, s11
	v_cndmask_b32_e64 v51, v51, v52, s7
	;; [unrolled: 1-line block ×3, first 2 shown]
	v_cmp_ge_i32_e64 s7, v71, v16
	v_cmp_lt_u16_e64 s8, v58, v57
	v_cndmask_b32_e64 v45, v45, v46, s5
	v_cndmask_b32_e64 v43, v43, v44, s5
	v_cmp_lt_i32_e64 s5, v72, v17
	v_perm_b32 v40, v40, v41, 0xc0c0004
	v_perm_b32 v39, v42, v39, 0xc0c0004
	v_perm_b32 v1, v1, v2, 0xc0c0004
	v_perm_b32 v3, v3, v4, 0xc0c0004
	v_cndmask_b32_e64 v47, v47, v48, s6
	v_cndmask_b32_e64 v48, v49, v50, s6
	s_or_b32 s6, s7, s8
	v_cndmask_b32_e64 v63, v63, v64, s10
	s_wait_alu 0xfffe
	s_and_b32 s5, s5, s6
	v_cndmask_b32_e64 v59, v59, v60, s9
	s_wait_alu 0xfffe
	v_cndmask_b32_e64 v4, v67, v69, s5
	v_lshl_or_b32 v2, v39, 16, v40
	v_lshl_or_b32 v1, v3, 16, v1
	s_wait_loadcnt 0x0
	s_barrier_signal -1
	s_barrier_wait -1
	global_inv scope:SCOPE_SE
	ds_store_b64 v5, v[1:2]
	v_lshlrev_b16 v1, 8, v47
	v_and_b32_e32 v2, 0xff, v45
	v_lshlrev_b16 v3, 8, v55
	v_and_b32_e32 v39, 0xff, v51
	;; [unrolled: 2-line block ×3, first 2 shown]
	v_and_b32_e32 v44, 0xff, v68
	v_lshlrev_b16 v4, 8, v4
	v_cndmask_b32_e64 v41, v71, v72, s5
	v_cndmask_b32_e64 v64, v65, v66, s10
	;; [unrolled: 1-line block ×3, first 2 shown]
	s_wait_loadcnt_dscnt 0x0
	s_barrier_signal -1
	s_barrier_wait -1
	global_inv scope:SCOPE_SE
	v_or_b32_e32 v45, v2, v1
	v_or_b32_e32 v46, v39, v3
	;; [unrolled: 1-line block ×4, first 2 shown]
	ds_load_u8 v1, v43
	ds_load_u8 v39, v41
	;; [unrolled: 1-line block ×8, first 2 shown]
	v_and_b32_e32 v43, 0xffff, v45
	v_lshlrev_b32_e32 v45, 16, v46
	v_and_b32_e32 v46, 0xffff, v47
	v_lshlrev_b32_e32 v44, 16, v44
	s_wait_loadcnt_dscnt 0x0
	s_barrier_signal -1
	v_or_b32_e32 v43, v43, v45
	s_barrier_wait -1
	v_or_b32_e32 v44, v46, v44
	global_inv scope:SCOPE_SE
	ds_store_b64 v5, v[43:44]
	v_mov_b32_e32 v44, v36
	s_wait_loadcnt_dscnt 0x0
	s_barrier_signal -1
	s_barrier_wait -1
	global_inv scope:SCOPE_SE
	s_and_saveexec_b32 s6, s2
	s_cbranch_execz .LBB89_70
; %bb.67:                               ;   in Loop: Header=BB89_2 Depth=1
	v_dual_mov_b32 v44, v36 :: v_dual_mov_b32 v43, v31
	s_mov_b32 s7, 0
.LBB89_68:                              ;   Parent Loop BB89_2 Depth=1
                                        ; =>  This Inner Loop Header: Depth=2
	s_delay_alu instid0(VALU_DEP_1) | instskip(NEXT) | instid1(VALU_DEP_1)
	v_sub_nc_u32_e32 v45, v43, v44
	v_lshrrev_b32_e32 v45, 1, v45
	s_delay_alu instid0(VALU_DEP_1) | instskip(NEXT) | instid1(VALU_DEP_1)
	v_add_nc_u32_e32 v45, v45, v44
	v_add_nc_u32_e32 v46, v8, v45
	v_xad_u32 v47, v45, -1, v26
	v_add_nc_u32_e32 v48, 1, v45
	ds_load_u8 v46, v46
	ds_load_u8 v47, v47
	s_wait_dscnt 0x0
	v_cmp_lt_u16_e64 s5, v47, v46
	s_wait_alu 0xf1ff
	s_delay_alu instid0(VALU_DEP_1) | instskip(SKIP_1) | instid1(VALU_DEP_1)
	v_cndmask_b32_e64 v43, v43, v45, s5
	v_cndmask_b32_e64 v44, v48, v44, s5
	v_cmp_ge_i32_e64 s5, v44, v43
	s_wait_alu 0xfffe
	s_or_b32 s7, s5, s7
	s_wait_alu 0xfffe
	s_and_not1_b32 exec_lo, exec_lo, s7
	s_cbranch_execnz .LBB89_68
; %bb.69:                               ;   in Loop: Header=BB89_2 Depth=1
	s_or_b32 exec_lo, exec_lo, s7
.LBB89_70:                              ;   in Loop: Header=BB89_2 Depth=1
	s_wait_alu 0xfffe
	s_or_b32 exec_lo, exec_lo, s6
	v_add_nc_u32_e32 v43, v44, v8
	v_sub_nc_u32_e32 v44, v26, v44
	ds_load_u8 v45, v43
	ds_load_u8 v46, v44
	v_cmp_le_i32_e64 s5, v18, v43
	v_cmp_gt_i32_e64 s7, v19, v44
	s_wait_dscnt 0x1
	v_and_b32_e32 v47, 0xff, v45
	s_wait_dscnt 0x0
	v_and_b32_e32 v48, 0xff, v46
	s_delay_alu instid0(VALU_DEP_1)
	v_cmp_lt_u16_e64 s6, v48, v47
                                        ; implicit-def: $vgpr47
	s_or_b32 s5, s5, s6
	s_wait_alu 0xfffe
	s_and_b32 s5, s7, s5
	s_wait_alu 0xfffe
	s_xor_b32 s6, s5, -1
	s_wait_alu 0xfffe
	s_and_saveexec_b32 s7, s6
	s_wait_alu 0xfffe
	s_xor_b32 s6, exec_lo, s7
; %bb.71:                               ;   in Loop: Header=BB89_2 Depth=1
	ds_load_u8 v47, v43 offset:1
; %bb.72:                               ;   in Loop: Header=BB89_2 Depth=1
	s_wait_alu 0xfffe
	s_or_saveexec_b32 s6, s6
	v_mov_b32_e32 v48, v46
	s_wait_alu 0xfffe
	s_xor_b32 exec_lo, exec_lo, s6
	s_cbranch_execz .LBB89_74
; %bb.73:                               ;   in Loop: Header=BB89_2 Depth=1
	ds_load_u8 v48, v44 offset:1
	s_wait_dscnt 0x1
	v_mov_b32_e32 v47, v45
.LBB89_74:                              ;   in Loop: Header=BB89_2 Depth=1
	s_or_b32 exec_lo, exec_lo, s6
	v_add_nc_u32_e32 v49, 1, v43
	v_add_nc_u32_e32 v50, 1, v44
	s_wait_dscnt 0x0
	v_and_b32_e32 v51, 0xff, v47
	v_and_b32_e32 v52, 0xff, v48
	v_cndmask_b32_e64 v49, v49, v43, s5
	v_cndmask_b32_e64 v50, v44, v50, s5
	s_delay_alu instid0(VALU_DEP_3) | instskip(NEXT) | instid1(VALU_DEP_3)
	v_cmp_lt_u16_e64 s7, v52, v51
                                        ; implicit-def: $vgpr51
	v_cmp_ge_i32_e64 s6, v49, v18
	s_delay_alu instid0(VALU_DEP_3)
	v_cmp_lt_i32_e64 s8, v50, v19
	s_or_b32 s6, s6, s7
	s_wait_alu 0xfffe
	s_and_b32 s6, s8, s6
	s_wait_alu 0xfffe
	s_xor_b32 s7, s6, -1
	s_wait_alu 0xfffe
	s_and_saveexec_b32 s8, s7
	s_wait_alu 0xfffe
	s_xor_b32 s7, exec_lo, s8
; %bb.75:                               ;   in Loop: Header=BB89_2 Depth=1
	ds_load_u8 v51, v49 offset:1
; %bb.76:                               ;   in Loop: Header=BB89_2 Depth=1
	s_wait_alu 0xfffe
	s_or_saveexec_b32 s7, s7
	v_mov_b32_e32 v52, v48
	s_wait_alu 0xfffe
	s_xor_b32 exec_lo, exec_lo, s7
	s_cbranch_execz .LBB89_78
; %bb.77:                               ;   in Loop: Header=BB89_2 Depth=1
	ds_load_u8 v52, v50 offset:1
	s_wait_dscnt 0x1
	v_mov_b32_e32 v51, v47
.LBB89_78:                              ;   in Loop: Header=BB89_2 Depth=1
	s_or_b32 exec_lo, exec_lo, s7
	v_add_nc_u32_e32 v53, 1, v49
	v_add_nc_u32_e32 v54, 1, v50
	s_wait_dscnt 0x0
	v_and_b32_e32 v55, 0xff, v51
	v_and_b32_e32 v56, 0xff, v52
	v_cndmask_b32_e64 v53, v53, v49, s6
	v_cndmask_b32_e64 v54, v50, v54, s6
	s_delay_alu instid0(VALU_DEP_3) | instskip(NEXT) | instid1(VALU_DEP_3)
	v_cmp_lt_u16_e64 s8, v56, v55
                                        ; implicit-def: $vgpr55
	v_cmp_ge_i32_e64 s7, v53, v18
	s_delay_alu instid0(VALU_DEP_3)
	v_cmp_lt_i32_e64 s9, v54, v19
	s_or_b32 s7, s7, s8
	s_wait_alu 0xfffe
	s_and_b32 s7, s9, s7
	s_wait_alu 0xfffe
	s_xor_b32 s8, s7, -1
	s_wait_alu 0xfffe
	s_and_saveexec_b32 s9, s8
	s_wait_alu 0xfffe
	s_xor_b32 s8, exec_lo, s9
; %bb.79:                               ;   in Loop: Header=BB89_2 Depth=1
	ds_load_u8 v55, v53 offset:1
; %bb.80:                               ;   in Loop: Header=BB89_2 Depth=1
	s_wait_alu 0xfffe
	s_or_saveexec_b32 s8, s8
	v_mov_b32_e32 v56, v52
	s_wait_alu 0xfffe
	s_xor_b32 exec_lo, exec_lo, s8
	s_cbranch_execz .LBB89_82
; %bb.81:                               ;   in Loop: Header=BB89_2 Depth=1
	ds_load_u8 v56, v54 offset:1
	s_wait_dscnt 0x1
	v_mov_b32_e32 v55, v51
.LBB89_82:                              ;   in Loop: Header=BB89_2 Depth=1
	s_or_b32 exec_lo, exec_lo, s8
	v_add_nc_u32_e32 v57, 1, v53
	v_add_nc_u32_e32 v58, 1, v54
	s_wait_dscnt 0x0
	v_and_b32_e32 v59, 0xff, v55
	v_and_b32_e32 v60, 0xff, v56
	v_cndmask_b32_e64 v57, v57, v53, s7
	v_cndmask_b32_e64 v58, v54, v58, s7
	s_delay_alu instid0(VALU_DEP_3) | instskip(NEXT) | instid1(VALU_DEP_3)
	v_cmp_lt_u16_e64 s9, v60, v59
                                        ; implicit-def: $vgpr59
	v_cmp_ge_i32_e64 s8, v57, v18
	s_delay_alu instid0(VALU_DEP_3)
	v_cmp_lt_i32_e64 s10, v58, v19
	s_or_b32 s8, s8, s9
	s_wait_alu 0xfffe
	s_and_b32 s8, s10, s8
	s_wait_alu 0xfffe
	s_xor_b32 s9, s8, -1
	s_wait_alu 0xfffe
	s_and_saveexec_b32 s10, s9
	s_wait_alu 0xfffe
	s_xor_b32 s9, exec_lo, s10
; %bb.83:                               ;   in Loop: Header=BB89_2 Depth=1
	ds_load_u8 v59, v57 offset:1
; %bb.84:                               ;   in Loop: Header=BB89_2 Depth=1
	s_wait_alu 0xfffe
	s_or_saveexec_b32 s9, s9
	v_mov_b32_e32 v60, v56
	s_wait_alu 0xfffe
	s_xor_b32 exec_lo, exec_lo, s9
	s_cbranch_execz .LBB89_86
; %bb.85:                               ;   in Loop: Header=BB89_2 Depth=1
	ds_load_u8 v60, v58 offset:1
	s_wait_dscnt 0x1
	v_mov_b32_e32 v59, v55
.LBB89_86:                              ;   in Loop: Header=BB89_2 Depth=1
	s_or_b32 exec_lo, exec_lo, s9
	v_add_nc_u32_e32 v61, 1, v57
	v_add_nc_u32_e32 v62, 1, v58
	s_wait_dscnt 0x0
	v_and_b32_e32 v63, 0xff, v59
	v_and_b32_e32 v64, 0xff, v60
	v_cndmask_b32_e64 v61, v61, v57, s8
	v_cndmask_b32_e64 v62, v58, v62, s8
	s_delay_alu instid0(VALU_DEP_3) | instskip(NEXT) | instid1(VALU_DEP_3)
	v_cmp_lt_u16_e64 s10, v64, v63
                                        ; implicit-def: $vgpr63
	v_cmp_ge_i32_e64 s9, v61, v18
	s_delay_alu instid0(VALU_DEP_3)
	v_cmp_lt_i32_e64 s11, v62, v19
	s_or_b32 s9, s9, s10
	s_wait_alu 0xfffe
	s_and_b32 s9, s11, s9
	s_wait_alu 0xfffe
	s_xor_b32 s10, s9, -1
	s_wait_alu 0xfffe
	s_and_saveexec_b32 s11, s10
	s_wait_alu 0xfffe
	s_xor_b32 s10, exec_lo, s11
; %bb.87:                               ;   in Loop: Header=BB89_2 Depth=1
	ds_load_u8 v63, v61 offset:1
; %bb.88:                               ;   in Loop: Header=BB89_2 Depth=1
	s_wait_alu 0xfffe
	s_or_saveexec_b32 s10, s10
	v_mov_b32_e32 v64, v60
	s_wait_alu 0xfffe
	s_xor_b32 exec_lo, exec_lo, s10
	s_cbranch_execz .LBB89_90
; %bb.89:                               ;   in Loop: Header=BB89_2 Depth=1
	ds_load_u8 v64, v62 offset:1
	s_wait_dscnt 0x1
	v_mov_b32_e32 v63, v59
.LBB89_90:                              ;   in Loop: Header=BB89_2 Depth=1
	s_or_b32 exec_lo, exec_lo, s10
	v_add_nc_u32_e32 v65, 1, v61
	v_add_nc_u32_e32 v66, 1, v62
	s_wait_dscnt 0x0
	v_and_b32_e32 v67, 0xff, v63
	v_and_b32_e32 v68, 0xff, v64
	v_cndmask_b32_e64 v65, v65, v61, s9
	v_cndmask_b32_e64 v66, v62, v66, s9
	s_delay_alu instid0(VALU_DEP_3) | instskip(NEXT) | instid1(VALU_DEP_3)
	v_cmp_lt_u16_e64 s11, v68, v67
                                        ; implicit-def: $vgpr68
	v_cmp_ge_i32_e64 s10, v65, v18
	s_delay_alu instid0(VALU_DEP_3)
	v_cmp_lt_i32_e64 s12, v66, v19
	s_or_b32 s10, s10, s11
	s_wait_alu 0xfffe
	s_and_b32 s10, s12, s10
	s_wait_alu 0xfffe
	s_xor_b32 s11, s10, -1
	s_wait_alu 0xfffe
	s_and_saveexec_b32 s12, s11
	s_wait_alu 0xfffe
	s_xor_b32 s11, exec_lo, s12
; %bb.91:                               ;   in Loop: Header=BB89_2 Depth=1
	ds_load_u8 v68, v65 offset:1
; %bb.92:                               ;   in Loop: Header=BB89_2 Depth=1
	s_wait_alu 0xfffe
	s_or_saveexec_b32 s11, s11
	v_mov_b32_e32 v70, v64
	s_wait_alu 0xfffe
	s_xor_b32 exec_lo, exec_lo, s11
	s_cbranch_execz .LBB89_94
; %bb.93:                               ;   in Loop: Header=BB89_2 Depth=1
	ds_load_u8 v70, v66 offset:1
	s_wait_dscnt 0x1
	v_mov_b32_e32 v68, v63
.LBB89_94:                              ;   in Loop: Header=BB89_2 Depth=1
	s_or_b32 exec_lo, exec_lo, s11
	v_add_nc_u32_e32 v67, 1, v65
	v_add_nc_u32_e32 v69, 1, v66
	s_wait_dscnt 0x0
	v_and_b32_e32 v73, 0xff, v68
	s_delay_alu instid0(VALU_DEP_3) | instskip(SKIP_2) | instid1(VALU_DEP_3)
	v_cndmask_b32_e64 v71, v67, v65, s10
	v_and_b32_e32 v67, 0xff, v70
	v_cndmask_b32_e64 v72, v66, v69, s10
	v_cmp_ge_i32_e64 s11, v71, v18
	s_delay_alu instid0(VALU_DEP_3) | instskip(NEXT) | instid1(VALU_DEP_3)
	v_cmp_lt_u16_e64 s12, v67, v73
	v_cmp_lt_i32_e64 s13, v72, v19
                                        ; implicit-def: $vgpr67
	s_or_b32 s11, s11, s12
	s_wait_alu 0xfffe
	s_and_b32 s11, s13, s11
	s_wait_alu 0xfffe
	s_xor_b32 s12, s11, -1
	s_wait_alu 0xfffe
	s_and_saveexec_b32 s13, s12
	s_wait_alu 0xfffe
	s_xor_b32 s12, exec_lo, s13
; %bb.95:                               ;   in Loop: Header=BB89_2 Depth=1
	ds_load_u8 v67, v71 offset:1
; %bb.96:                               ;   in Loop: Header=BB89_2 Depth=1
	s_wait_alu 0xfffe
	s_or_saveexec_b32 s12, s12
	v_mov_b32_e32 v69, v70
	s_wait_alu 0xfffe
	s_xor_b32 exec_lo, exec_lo, s12
	s_cbranch_execz .LBB89_98
; %bb.97:                               ;   in Loop: Header=BB89_2 Depth=1
	ds_load_u8 v69, v72 offset:1
	s_wait_dscnt 0x1
	v_mov_b32_e32 v67, v68
.LBB89_98:                              ;   in Loop: Header=BB89_2 Depth=1
	s_or_b32 exec_lo, exec_lo, s12
	v_add_nc_u32_e32 v74, 1, v71
	v_add_nc_u32_e32 v73, 1, v72
	v_cndmask_b32_e64 v68, v68, v70, s11
	v_cndmask_b32_e64 v70, v71, v72, s11
	;; [unrolled: 1-line block ×5, first 2 shown]
	s_wait_dscnt 0x0
	v_and_b32_e32 v57, 0xff, v67
	v_and_b32_e32 v58, 0xff, v69
	v_cndmask_b32_e64 v72, v72, v73, s11
	v_cndmask_b32_e64 v51, v51, v52, s7
	;; [unrolled: 1-line block ×3, first 2 shown]
	v_cmp_ge_i32_e64 s7, v71, v18
	v_cmp_lt_u16_e64 s8, v58, v57
	v_cndmask_b32_e64 v45, v45, v46, s5
	v_cndmask_b32_e64 v43, v43, v44, s5
	v_cmp_lt_i32_e64 s5, v72, v19
	v_perm_b32 v40, v40, v41, 0xc0c0004
	v_perm_b32 v39, v42, v39, 0xc0c0004
	;; [unrolled: 1-line block ×4, first 2 shown]
	v_cndmask_b32_e64 v47, v47, v48, s6
	v_cndmask_b32_e64 v48, v49, v50, s6
	s_or_b32 s6, s7, s8
	v_cndmask_b32_e64 v63, v63, v64, s10
	s_wait_alu 0xfffe
	s_and_b32 s5, s5, s6
	v_cndmask_b32_e64 v59, v59, v60, s9
	s_wait_alu 0xfffe
	v_cndmask_b32_e64 v4, v67, v69, s5
	v_lshl_or_b32 v2, v39, 16, v40
	v_lshl_or_b32 v1, v3, 16, v1
	s_wait_loadcnt 0x0
	s_barrier_signal -1
	s_barrier_wait -1
	global_inv scope:SCOPE_SE
	ds_store_b64 v5, v[1:2]
	v_lshlrev_b16 v1, 8, v47
	v_and_b32_e32 v2, 0xff, v45
	v_lshlrev_b16 v3, 8, v55
	v_and_b32_e32 v39, 0xff, v51
	;; [unrolled: 2-line block ×3, first 2 shown]
	v_and_b32_e32 v44, 0xff, v68
	v_lshlrev_b16 v4, 8, v4
	v_cndmask_b32_e64 v41, v71, v72, s5
	v_cndmask_b32_e64 v64, v65, v66, s10
	;; [unrolled: 1-line block ×3, first 2 shown]
	s_wait_loadcnt_dscnt 0x0
	s_barrier_signal -1
	s_barrier_wait -1
	global_inv scope:SCOPE_SE
	v_or_b32_e32 v45, v2, v1
	v_or_b32_e32 v46, v39, v3
	v_or_b32_e32 v47, v42, v40
	v_or_b32_e32 v44, v44, v4
	ds_load_u8 v1, v43
	ds_load_u8 v39, v41
	ds_load_u8 v2, v48
	ds_load_u8 v3, v52
	ds_load_u8 v4, v56
	ds_load_u8 v40, v60
	ds_load_u8 v41, v64
	ds_load_u8 v42, v70
	v_and_b32_e32 v43, 0xffff, v45
	v_lshlrev_b32_e32 v45, 16, v46
	v_and_b32_e32 v46, 0xffff, v47
	v_lshlrev_b32_e32 v44, 16, v44
	s_wait_loadcnt_dscnt 0x0
	s_barrier_signal -1
	v_or_b32_e32 v43, v43, v45
	s_barrier_wait -1
	v_or_b32_e32 v44, v46, v44
	global_inv scope:SCOPE_SE
	ds_store_b64 v5, v[43:44]
	v_mov_b32_e32 v44, v37
	s_wait_loadcnt_dscnt 0x0
	s_barrier_signal -1
	s_barrier_wait -1
	global_inv scope:SCOPE_SE
	s_and_saveexec_b32 s6, s3
	s_cbranch_execz .LBB89_102
; %bb.99:                               ;   in Loop: Header=BB89_2 Depth=1
	v_dual_mov_b32 v44, v37 :: v_dual_mov_b32 v43, v32
	s_mov_b32 s7, 0
.LBB89_100:                             ;   Parent Loop BB89_2 Depth=1
                                        ; =>  This Inner Loop Header: Depth=2
	s_delay_alu instid0(VALU_DEP_1) | instskip(NEXT) | instid1(VALU_DEP_1)
	v_sub_nc_u32_e32 v45, v43, v44
	v_lshrrev_b32_e32 v45, 1, v45
	s_delay_alu instid0(VALU_DEP_1) | instskip(NEXT) | instid1(VALU_DEP_1)
	v_add_nc_u32_e32 v45, v45, v44
	v_add_nc_u32_e32 v46, v9, v45
	v_xad_u32 v47, v45, -1, v27
	v_add_nc_u32_e32 v48, 1, v45
	ds_load_u8 v46, v46
	ds_load_u8 v47, v47
	s_wait_dscnt 0x0
	v_cmp_lt_u16_e64 s5, v47, v46
	s_wait_alu 0xf1ff
	s_delay_alu instid0(VALU_DEP_1) | instskip(SKIP_1) | instid1(VALU_DEP_1)
	v_cndmask_b32_e64 v43, v43, v45, s5
	v_cndmask_b32_e64 v44, v48, v44, s5
	v_cmp_ge_i32_e64 s5, v44, v43
	s_wait_alu 0xfffe
	s_or_b32 s7, s5, s7
	s_wait_alu 0xfffe
	s_and_not1_b32 exec_lo, exec_lo, s7
	s_cbranch_execnz .LBB89_100
; %bb.101:                              ;   in Loop: Header=BB89_2 Depth=1
	s_or_b32 exec_lo, exec_lo, s7
.LBB89_102:                             ;   in Loop: Header=BB89_2 Depth=1
	s_wait_alu 0xfffe
	s_or_b32 exec_lo, exec_lo, s6
	v_add_nc_u32_e32 v43, v44, v9
	v_sub_nc_u32_e32 v44, v27, v44
	ds_load_u8 v45, v43
	ds_load_u8 v46, v44
	v_cmp_le_i32_e64 s5, v20, v43
	v_cmp_gt_i32_e64 s7, v21, v44
	s_wait_dscnt 0x1
	v_and_b32_e32 v47, 0xff, v45
	s_wait_dscnt 0x0
	v_and_b32_e32 v48, 0xff, v46
	s_delay_alu instid0(VALU_DEP_1)
	v_cmp_lt_u16_e64 s6, v48, v47
                                        ; implicit-def: $vgpr47
	s_or_b32 s5, s5, s6
	s_wait_alu 0xfffe
	s_and_b32 s5, s7, s5
	s_wait_alu 0xfffe
	s_xor_b32 s6, s5, -1
	s_wait_alu 0xfffe
	s_and_saveexec_b32 s7, s6
	s_wait_alu 0xfffe
	s_xor_b32 s6, exec_lo, s7
; %bb.103:                              ;   in Loop: Header=BB89_2 Depth=1
	ds_load_u8 v47, v43 offset:1
; %bb.104:                              ;   in Loop: Header=BB89_2 Depth=1
	s_wait_alu 0xfffe
	s_or_saveexec_b32 s6, s6
	v_mov_b32_e32 v48, v46
	s_wait_alu 0xfffe
	s_xor_b32 exec_lo, exec_lo, s6
	s_cbranch_execz .LBB89_106
; %bb.105:                              ;   in Loop: Header=BB89_2 Depth=1
	ds_load_u8 v48, v44 offset:1
	s_wait_dscnt 0x1
	v_mov_b32_e32 v47, v45
.LBB89_106:                             ;   in Loop: Header=BB89_2 Depth=1
	s_or_b32 exec_lo, exec_lo, s6
	v_add_nc_u32_e32 v49, 1, v43
	v_add_nc_u32_e32 v50, 1, v44
	s_wait_dscnt 0x0
	v_and_b32_e32 v51, 0xff, v47
	v_and_b32_e32 v52, 0xff, v48
	v_cndmask_b32_e64 v49, v49, v43, s5
	v_cndmask_b32_e64 v50, v44, v50, s5
	s_delay_alu instid0(VALU_DEP_3) | instskip(NEXT) | instid1(VALU_DEP_3)
	v_cmp_lt_u16_e64 s7, v52, v51
                                        ; implicit-def: $vgpr51
	v_cmp_ge_i32_e64 s6, v49, v20
	s_delay_alu instid0(VALU_DEP_3)
	v_cmp_lt_i32_e64 s8, v50, v21
	s_or_b32 s6, s6, s7
	s_wait_alu 0xfffe
	s_and_b32 s6, s8, s6
	s_wait_alu 0xfffe
	s_xor_b32 s7, s6, -1
	s_wait_alu 0xfffe
	s_and_saveexec_b32 s8, s7
	s_wait_alu 0xfffe
	s_xor_b32 s7, exec_lo, s8
; %bb.107:                              ;   in Loop: Header=BB89_2 Depth=1
	ds_load_u8 v51, v49 offset:1
; %bb.108:                              ;   in Loop: Header=BB89_2 Depth=1
	s_wait_alu 0xfffe
	s_or_saveexec_b32 s7, s7
	v_mov_b32_e32 v52, v48
	s_wait_alu 0xfffe
	s_xor_b32 exec_lo, exec_lo, s7
	s_cbranch_execz .LBB89_110
; %bb.109:                              ;   in Loop: Header=BB89_2 Depth=1
	ds_load_u8 v52, v50 offset:1
	s_wait_dscnt 0x1
	v_mov_b32_e32 v51, v47
.LBB89_110:                             ;   in Loop: Header=BB89_2 Depth=1
	s_or_b32 exec_lo, exec_lo, s7
	v_add_nc_u32_e32 v53, 1, v49
	v_add_nc_u32_e32 v54, 1, v50
	s_wait_dscnt 0x0
	v_and_b32_e32 v55, 0xff, v51
	v_and_b32_e32 v56, 0xff, v52
	v_cndmask_b32_e64 v53, v53, v49, s6
	v_cndmask_b32_e64 v54, v50, v54, s6
	s_delay_alu instid0(VALU_DEP_3) | instskip(NEXT) | instid1(VALU_DEP_3)
	v_cmp_lt_u16_e64 s8, v56, v55
                                        ; implicit-def: $vgpr55
	v_cmp_ge_i32_e64 s7, v53, v20
	s_delay_alu instid0(VALU_DEP_3)
	v_cmp_lt_i32_e64 s9, v54, v21
	s_or_b32 s7, s7, s8
	s_wait_alu 0xfffe
	s_and_b32 s7, s9, s7
	s_wait_alu 0xfffe
	s_xor_b32 s8, s7, -1
	s_wait_alu 0xfffe
	s_and_saveexec_b32 s9, s8
	s_wait_alu 0xfffe
	s_xor_b32 s8, exec_lo, s9
; %bb.111:                              ;   in Loop: Header=BB89_2 Depth=1
	ds_load_u8 v55, v53 offset:1
; %bb.112:                              ;   in Loop: Header=BB89_2 Depth=1
	s_wait_alu 0xfffe
	s_or_saveexec_b32 s8, s8
	v_mov_b32_e32 v56, v52
	s_wait_alu 0xfffe
	s_xor_b32 exec_lo, exec_lo, s8
	s_cbranch_execz .LBB89_114
; %bb.113:                              ;   in Loop: Header=BB89_2 Depth=1
	ds_load_u8 v56, v54 offset:1
	s_wait_dscnt 0x1
	v_mov_b32_e32 v55, v51
.LBB89_114:                             ;   in Loop: Header=BB89_2 Depth=1
	s_or_b32 exec_lo, exec_lo, s8
	v_add_nc_u32_e32 v57, 1, v53
	v_add_nc_u32_e32 v58, 1, v54
	s_wait_dscnt 0x0
	v_and_b32_e32 v59, 0xff, v55
	v_and_b32_e32 v60, 0xff, v56
	v_cndmask_b32_e64 v57, v57, v53, s7
	v_cndmask_b32_e64 v58, v54, v58, s7
	s_delay_alu instid0(VALU_DEP_3) | instskip(NEXT) | instid1(VALU_DEP_3)
	v_cmp_lt_u16_e64 s9, v60, v59
                                        ; implicit-def: $vgpr59
	v_cmp_ge_i32_e64 s8, v57, v20
	s_delay_alu instid0(VALU_DEP_3)
	v_cmp_lt_i32_e64 s10, v58, v21
	s_or_b32 s8, s8, s9
	s_wait_alu 0xfffe
	s_and_b32 s8, s10, s8
	s_wait_alu 0xfffe
	s_xor_b32 s9, s8, -1
	s_wait_alu 0xfffe
	s_and_saveexec_b32 s10, s9
	s_wait_alu 0xfffe
	s_xor_b32 s9, exec_lo, s10
; %bb.115:                              ;   in Loop: Header=BB89_2 Depth=1
	ds_load_u8 v59, v57 offset:1
; %bb.116:                              ;   in Loop: Header=BB89_2 Depth=1
	s_wait_alu 0xfffe
	s_or_saveexec_b32 s9, s9
	v_mov_b32_e32 v60, v56
	s_wait_alu 0xfffe
	s_xor_b32 exec_lo, exec_lo, s9
	s_cbranch_execz .LBB89_118
; %bb.117:                              ;   in Loop: Header=BB89_2 Depth=1
	ds_load_u8 v60, v58 offset:1
	s_wait_dscnt 0x1
	v_mov_b32_e32 v59, v55
.LBB89_118:                             ;   in Loop: Header=BB89_2 Depth=1
	s_or_b32 exec_lo, exec_lo, s9
	v_add_nc_u32_e32 v61, 1, v57
	v_add_nc_u32_e32 v62, 1, v58
	s_wait_dscnt 0x0
	v_and_b32_e32 v63, 0xff, v59
	v_and_b32_e32 v64, 0xff, v60
	v_cndmask_b32_e64 v61, v61, v57, s8
	v_cndmask_b32_e64 v62, v58, v62, s8
	s_delay_alu instid0(VALU_DEP_3) | instskip(NEXT) | instid1(VALU_DEP_3)
	v_cmp_lt_u16_e64 s10, v64, v63
                                        ; implicit-def: $vgpr63
	v_cmp_ge_i32_e64 s9, v61, v20
	s_delay_alu instid0(VALU_DEP_3)
	v_cmp_lt_i32_e64 s11, v62, v21
	s_or_b32 s9, s9, s10
	s_wait_alu 0xfffe
	s_and_b32 s9, s11, s9
	s_wait_alu 0xfffe
	s_xor_b32 s10, s9, -1
	s_wait_alu 0xfffe
	s_and_saveexec_b32 s11, s10
	s_wait_alu 0xfffe
	s_xor_b32 s10, exec_lo, s11
; %bb.119:                              ;   in Loop: Header=BB89_2 Depth=1
	ds_load_u8 v63, v61 offset:1
; %bb.120:                              ;   in Loop: Header=BB89_2 Depth=1
	s_wait_alu 0xfffe
	s_or_saveexec_b32 s10, s10
	v_mov_b32_e32 v64, v60
	s_wait_alu 0xfffe
	s_xor_b32 exec_lo, exec_lo, s10
	s_cbranch_execz .LBB89_122
; %bb.121:                              ;   in Loop: Header=BB89_2 Depth=1
	ds_load_u8 v64, v62 offset:1
	s_wait_dscnt 0x1
	v_mov_b32_e32 v63, v59
.LBB89_122:                             ;   in Loop: Header=BB89_2 Depth=1
	s_or_b32 exec_lo, exec_lo, s10
	v_add_nc_u32_e32 v65, 1, v61
	v_add_nc_u32_e32 v66, 1, v62
	s_wait_dscnt 0x0
	v_and_b32_e32 v67, 0xff, v63
	v_and_b32_e32 v68, 0xff, v64
	v_cndmask_b32_e64 v65, v65, v61, s9
	v_cndmask_b32_e64 v66, v62, v66, s9
	s_delay_alu instid0(VALU_DEP_3) | instskip(NEXT) | instid1(VALU_DEP_3)
	v_cmp_lt_u16_e64 s11, v68, v67
                                        ; implicit-def: $vgpr68
	v_cmp_ge_i32_e64 s10, v65, v20
	s_delay_alu instid0(VALU_DEP_3)
	v_cmp_lt_i32_e64 s12, v66, v21
	s_or_b32 s10, s10, s11
	s_wait_alu 0xfffe
	s_and_b32 s10, s12, s10
	s_wait_alu 0xfffe
	s_xor_b32 s11, s10, -1
	s_wait_alu 0xfffe
	s_and_saveexec_b32 s12, s11
	s_wait_alu 0xfffe
	s_xor_b32 s11, exec_lo, s12
; %bb.123:                              ;   in Loop: Header=BB89_2 Depth=1
	ds_load_u8 v68, v65 offset:1
; %bb.124:                              ;   in Loop: Header=BB89_2 Depth=1
	s_wait_alu 0xfffe
	s_or_saveexec_b32 s11, s11
	v_mov_b32_e32 v70, v64
	s_wait_alu 0xfffe
	s_xor_b32 exec_lo, exec_lo, s11
	s_cbranch_execz .LBB89_126
; %bb.125:                              ;   in Loop: Header=BB89_2 Depth=1
	ds_load_u8 v70, v66 offset:1
	s_wait_dscnt 0x1
	v_mov_b32_e32 v68, v63
.LBB89_126:                             ;   in Loop: Header=BB89_2 Depth=1
	s_or_b32 exec_lo, exec_lo, s11
	v_add_nc_u32_e32 v67, 1, v65
	v_add_nc_u32_e32 v69, 1, v66
	s_wait_dscnt 0x0
	v_and_b32_e32 v73, 0xff, v68
	s_delay_alu instid0(VALU_DEP_3) | instskip(SKIP_2) | instid1(VALU_DEP_3)
	v_cndmask_b32_e64 v71, v67, v65, s10
	v_and_b32_e32 v67, 0xff, v70
	v_cndmask_b32_e64 v72, v66, v69, s10
	v_cmp_ge_i32_e64 s11, v71, v20
	s_delay_alu instid0(VALU_DEP_3) | instskip(NEXT) | instid1(VALU_DEP_3)
	v_cmp_lt_u16_e64 s12, v67, v73
	v_cmp_lt_i32_e64 s13, v72, v21
                                        ; implicit-def: $vgpr67
	s_or_b32 s11, s11, s12
	s_wait_alu 0xfffe
	s_and_b32 s11, s13, s11
	s_wait_alu 0xfffe
	s_xor_b32 s12, s11, -1
	s_wait_alu 0xfffe
	s_and_saveexec_b32 s13, s12
	s_wait_alu 0xfffe
	s_xor_b32 s12, exec_lo, s13
; %bb.127:                              ;   in Loop: Header=BB89_2 Depth=1
	ds_load_u8 v67, v71 offset:1
; %bb.128:                              ;   in Loop: Header=BB89_2 Depth=1
	s_wait_alu 0xfffe
	s_or_saveexec_b32 s12, s12
	v_mov_b32_e32 v69, v70
	s_wait_alu 0xfffe
	s_xor_b32 exec_lo, exec_lo, s12
	s_cbranch_execz .LBB89_130
; %bb.129:                              ;   in Loop: Header=BB89_2 Depth=1
	ds_load_u8 v69, v72 offset:1
	s_wait_dscnt 0x1
	v_mov_b32_e32 v67, v68
.LBB89_130:                             ;   in Loop: Header=BB89_2 Depth=1
	s_or_b32 exec_lo, exec_lo, s12
	v_add_nc_u32_e32 v74, 1, v71
	v_add_nc_u32_e32 v73, 1, v72
	v_cndmask_b32_e64 v68, v68, v70, s11
	v_cndmask_b32_e64 v70, v71, v72, s11
	;; [unrolled: 1-line block ×5, first 2 shown]
	s_wait_dscnt 0x0
	v_and_b32_e32 v57, 0xff, v67
	v_and_b32_e32 v58, 0xff, v69
	v_cndmask_b32_e64 v72, v72, v73, s11
	v_cndmask_b32_e64 v51, v51, v52, s7
	;; [unrolled: 1-line block ×3, first 2 shown]
	v_cmp_ge_i32_e64 s7, v71, v20
	v_cmp_lt_u16_e64 s8, v58, v57
	v_cndmask_b32_e64 v45, v45, v46, s5
	v_cndmask_b32_e64 v43, v43, v44, s5
	v_cmp_lt_i32_e64 s5, v72, v21
	v_perm_b32 v40, v40, v41, 0xc0c0004
	v_perm_b32 v39, v42, v39, 0xc0c0004
	;; [unrolled: 1-line block ×4, first 2 shown]
	v_cndmask_b32_e64 v47, v47, v48, s6
	v_cndmask_b32_e64 v48, v49, v50, s6
	s_or_b32 s6, s7, s8
	v_cndmask_b32_e64 v63, v63, v64, s10
	s_wait_alu 0xfffe
	s_and_b32 s5, s5, s6
	v_cndmask_b32_e64 v59, v59, v60, s9
	s_wait_alu 0xfffe
	v_cndmask_b32_e64 v4, v67, v69, s5
	v_lshl_or_b32 v2, v39, 16, v40
	v_lshl_or_b32 v1, v3, 16, v1
	s_wait_loadcnt 0x0
	s_barrier_signal -1
	s_barrier_wait -1
	global_inv scope:SCOPE_SE
	ds_store_b64 v5, v[1:2]
	v_lshlrev_b16 v1, 8, v47
	v_and_b32_e32 v2, 0xff, v45
	v_lshlrev_b16 v3, 8, v55
	v_and_b32_e32 v39, 0xff, v51
	;; [unrolled: 2-line block ×3, first 2 shown]
	v_and_b32_e32 v44, 0xff, v68
	v_lshlrev_b16 v4, 8, v4
	v_cndmask_b32_e64 v41, v71, v72, s5
	v_cndmask_b32_e64 v64, v65, v66, s10
	;; [unrolled: 1-line block ×3, first 2 shown]
	s_wait_loadcnt_dscnt 0x0
	s_barrier_signal -1
	s_barrier_wait -1
	global_inv scope:SCOPE_SE
	v_or_b32_e32 v45, v2, v1
	v_or_b32_e32 v46, v39, v3
	;; [unrolled: 1-line block ×4, first 2 shown]
	ds_load_u8 v1, v43
	ds_load_u8 v39, v41
	;; [unrolled: 1-line block ×8, first 2 shown]
	v_and_b32_e32 v43, 0xffff, v45
	v_lshlrev_b32_e32 v45, 16, v46
	v_and_b32_e32 v46, 0xffff, v47
	v_lshlrev_b32_e32 v44, 16, v44
	s_wait_loadcnt_dscnt 0x0
	s_barrier_signal -1
	v_or_b32_e32 v43, v43, v45
	s_barrier_wait -1
	v_or_b32_e32 v44, v46, v44
	global_inv scope:SCOPE_SE
	ds_store_b64 v5, v[43:44]
	v_mov_b32_e32 v44, v38
	s_wait_loadcnt_dscnt 0x0
	s_barrier_signal -1
	s_barrier_wait -1
	global_inv scope:SCOPE_SE
	s_and_saveexec_b32 s6, s4
	s_cbranch_execz .LBB89_134
; %bb.131:                              ;   in Loop: Header=BB89_2 Depth=1
	v_dual_mov_b32 v44, v38 :: v_dual_mov_b32 v43, v33
	s_mov_b32 s7, 0
.LBB89_132:                             ;   Parent Loop BB89_2 Depth=1
                                        ; =>  This Inner Loop Header: Depth=2
	s_delay_alu instid0(VALU_DEP_1) | instskip(NEXT) | instid1(VALU_DEP_1)
	v_sub_nc_u32_e32 v45, v43, v44
	v_lshrrev_b32_e32 v45, 1, v45
	s_delay_alu instid0(VALU_DEP_1) | instskip(NEXT) | instid1(VALU_DEP_1)
	v_add_nc_u32_e32 v45, v45, v44
	v_add_nc_u32_e32 v46, v10, v45
	v_xad_u32 v47, v45, -1, v28
	v_add_nc_u32_e32 v48, 1, v45
	ds_load_u8 v46, v46
	ds_load_u8 v47, v47
	s_wait_dscnt 0x0
	v_cmp_lt_u16_e64 s5, v47, v46
	s_wait_alu 0xf1ff
	s_delay_alu instid0(VALU_DEP_1) | instskip(SKIP_1) | instid1(VALU_DEP_1)
	v_cndmask_b32_e64 v43, v43, v45, s5
	v_cndmask_b32_e64 v44, v48, v44, s5
	v_cmp_ge_i32_e64 s5, v44, v43
	s_wait_alu 0xfffe
	s_or_b32 s7, s5, s7
	s_wait_alu 0xfffe
	s_and_not1_b32 exec_lo, exec_lo, s7
	s_cbranch_execnz .LBB89_132
; %bb.133:                              ;   in Loop: Header=BB89_2 Depth=1
	s_or_b32 exec_lo, exec_lo, s7
.LBB89_134:                             ;   in Loop: Header=BB89_2 Depth=1
	s_wait_alu 0xfffe
	s_or_b32 exec_lo, exec_lo, s6
	v_add_nc_u32_e32 v43, v44, v10
	v_sub_nc_u32_e32 v44, v28, v44
	ds_load_u8 v45, v43
	ds_load_u8 v46, v44
	v_cmp_le_i32_e64 s5, v22, v43
	v_cmp_gt_i32_e64 s7, v23, v44
	s_wait_dscnt 0x1
	v_and_b32_e32 v47, 0xff, v45
	s_wait_dscnt 0x0
	v_and_b32_e32 v48, 0xff, v46
	s_delay_alu instid0(VALU_DEP_1)
	v_cmp_lt_u16_e64 s6, v48, v47
                                        ; implicit-def: $vgpr47
	s_or_b32 s5, s5, s6
	s_wait_alu 0xfffe
	s_and_b32 s5, s7, s5
	s_wait_alu 0xfffe
	s_xor_b32 s6, s5, -1
	s_wait_alu 0xfffe
	s_and_saveexec_b32 s7, s6
	s_wait_alu 0xfffe
	s_xor_b32 s6, exec_lo, s7
; %bb.135:                              ;   in Loop: Header=BB89_2 Depth=1
	ds_load_u8 v47, v43 offset:1
; %bb.136:                              ;   in Loop: Header=BB89_2 Depth=1
	s_wait_alu 0xfffe
	s_or_saveexec_b32 s6, s6
	v_mov_b32_e32 v48, v46
	s_wait_alu 0xfffe
	s_xor_b32 exec_lo, exec_lo, s6
	s_cbranch_execz .LBB89_138
; %bb.137:                              ;   in Loop: Header=BB89_2 Depth=1
	ds_load_u8 v48, v44 offset:1
	s_wait_dscnt 0x1
	v_mov_b32_e32 v47, v45
.LBB89_138:                             ;   in Loop: Header=BB89_2 Depth=1
	s_or_b32 exec_lo, exec_lo, s6
	v_add_nc_u32_e32 v49, 1, v43
	v_add_nc_u32_e32 v50, 1, v44
	s_wait_dscnt 0x0
	v_and_b32_e32 v51, 0xff, v47
	v_and_b32_e32 v52, 0xff, v48
	v_cndmask_b32_e64 v49, v49, v43, s5
	v_cndmask_b32_e64 v50, v44, v50, s5
	s_delay_alu instid0(VALU_DEP_3) | instskip(NEXT) | instid1(VALU_DEP_3)
	v_cmp_lt_u16_e64 s7, v52, v51
                                        ; implicit-def: $vgpr51
	v_cmp_ge_i32_e64 s6, v49, v22
	s_delay_alu instid0(VALU_DEP_3)
	v_cmp_lt_i32_e64 s8, v50, v23
	s_or_b32 s6, s6, s7
	s_wait_alu 0xfffe
	s_and_b32 s6, s8, s6
	s_wait_alu 0xfffe
	s_xor_b32 s7, s6, -1
	s_wait_alu 0xfffe
	s_and_saveexec_b32 s8, s7
	s_wait_alu 0xfffe
	s_xor_b32 s7, exec_lo, s8
; %bb.139:                              ;   in Loop: Header=BB89_2 Depth=1
	ds_load_u8 v51, v49 offset:1
; %bb.140:                              ;   in Loop: Header=BB89_2 Depth=1
	s_wait_alu 0xfffe
	s_or_saveexec_b32 s7, s7
	v_mov_b32_e32 v52, v48
	s_wait_alu 0xfffe
	s_xor_b32 exec_lo, exec_lo, s7
	s_cbranch_execz .LBB89_142
; %bb.141:                              ;   in Loop: Header=BB89_2 Depth=1
	ds_load_u8 v52, v50 offset:1
	s_wait_dscnt 0x1
	v_mov_b32_e32 v51, v47
.LBB89_142:                             ;   in Loop: Header=BB89_2 Depth=1
	s_or_b32 exec_lo, exec_lo, s7
	v_add_nc_u32_e32 v53, 1, v49
	v_add_nc_u32_e32 v54, 1, v50
	s_wait_dscnt 0x0
	v_and_b32_e32 v55, 0xff, v51
	v_and_b32_e32 v56, 0xff, v52
	v_cndmask_b32_e64 v53, v53, v49, s6
	v_cndmask_b32_e64 v54, v50, v54, s6
	s_delay_alu instid0(VALU_DEP_3) | instskip(NEXT) | instid1(VALU_DEP_3)
	v_cmp_lt_u16_e64 s8, v56, v55
                                        ; implicit-def: $vgpr55
	v_cmp_ge_i32_e64 s7, v53, v22
	s_delay_alu instid0(VALU_DEP_3)
	v_cmp_lt_i32_e64 s9, v54, v23
	s_or_b32 s7, s7, s8
	s_wait_alu 0xfffe
	s_and_b32 s7, s9, s7
	s_wait_alu 0xfffe
	s_xor_b32 s8, s7, -1
	s_wait_alu 0xfffe
	s_and_saveexec_b32 s9, s8
	s_wait_alu 0xfffe
	s_xor_b32 s8, exec_lo, s9
; %bb.143:                              ;   in Loop: Header=BB89_2 Depth=1
	ds_load_u8 v55, v53 offset:1
; %bb.144:                              ;   in Loop: Header=BB89_2 Depth=1
	s_wait_alu 0xfffe
	s_or_saveexec_b32 s8, s8
	v_mov_b32_e32 v56, v52
	s_wait_alu 0xfffe
	s_xor_b32 exec_lo, exec_lo, s8
	s_cbranch_execz .LBB89_146
; %bb.145:                              ;   in Loop: Header=BB89_2 Depth=1
	ds_load_u8 v56, v54 offset:1
	s_wait_dscnt 0x1
	v_mov_b32_e32 v55, v51
.LBB89_146:                             ;   in Loop: Header=BB89_2 Depth=1
	s_or_b32 exec_lo, exec_lo, s8
	v_add_nc_u32_e32 v57, 1, v53
	v_add_nc_u32_e32 v58, 1, v54
	s_wait_dscnt 0x0
	v_and_b32_e32 v59, 0xff, v55
	v_and_b32_e32 v60, 0xff, v56
	v_cndmask_b32_e64 v57, v57, v53, s7
	v_cndmask_b32_e64 v58, v54, v58, s7
	s_delay_alu instid0(VALU_DEP_3) | instskip(NEXT) | instid1(VALU_DEP_3)
	v_cmp_lt_u16_e64 s9, v60, v59
                                        ; implicit-def: $vgpr59
	v_cmp_ge_i32_e64 s8, v57, v22
	s_delay_alu instid0(VALU_DEP_3)
	v_cmp_lt_i32_e64 s10, v58, v23
	s_or_b32 s8, s8, s9
	s_wait_alu 0xfffe
	s_and_b32 s8, s10, s8
	s_wait_alu 0xfffe
	s_xor_b32 s9, s8, -1
	s_wait_alu 0xfffe
	s_and_saveexec_b32 s10, s9
	s_wait_alu 0xfffe
	s_xor_b32 s9, exec_lo, s10
; %bb.147:                              ;   in Loop: Header=BB89_2 Depth=1
	ds_load_u8 v59, v57 offset:1
; %bb.148:                              ;   in Loop: Header=BB89_2 Depth=1
	s_wait_alu 0xfffe
	s_or_saveexec_b32 s9, s9
	v_mov_b32_e32 v60, v56
	s_wait_alu 0xfffe
	s_xor_b32 exec_lo, exec_lo, s9
	s_cbranch_execz .LBB89_150
; %bb.149:                              ;   in Loop: Header=BB89_2 Depth=1
	ds_load_u8 v60, v58 offset:1
	s_wait_dscnt 0x1
	v_mov_b32_e32 v59, v55
.LBB89_150:                             ;   in Loop: Header=BB89_2 Depth=1
	s_or_b32 exec_lo, exec_lo, s9
	v_add_nc_u32_e32 v61, 1, v57
	v_add_nc_u32_e32 v62, 1, v58
	s_wait_dscnt 0x0
	v_and_b32_e32 v63, 0xff, v59
	v_and_b32_e32 v64, 0xff, v60
	v_cndmask_b32_e64 v61, v61, v57, s8
	v_cndmask_b32_e64 v62, v58, v62, s8
	s_delay_alu instid0(VALU_DEP_3) | instskip(NEXT) | instid1(VALU_DEP_3)
	v_cmp_lt_u16_e64 s10, v64, v63
                                        ; implicit-def: $vgpr63
	v_cmp_ge_i32_e64 s9, v61, v22
	s_delay_alu instid0(VALU_DEP_3)
	v_cmp_lt_i32_e64 s11, v62, v23
	s_or_b32 s9, s9, s10
	s_wait_alu 0xfffe
	s_and_b32 s9, s11, s9
	s_wait_alu 0xfffe
	s_xor_b32 s10, s9, -1
	s_wait_alu 0xfffe
	s_and_saveexec_b32 s11, s10
	s_wait_alu 0xfffe
	s_xor_b32 s10, exec_lo, s11
; %bb.151:                              ;   in Loop: Header=BB89_2 Depth=1
	ds_load_u8 v63, v61 offset:1
; %bb.152:                              ;   in Loop: Header=BB89_2 Depth=1
	s_wait_alu 0xfffe
	s_or_saveexec_b32 s10, s10
	v_mov_b32_e32 v64, v60
	s_wait_alu 0xfffe
	s_xor_b32 exec_lo, exec_lo, s10
	s_cbranch_execz .LBB89_154
; %bb.153:                              ;   in Loop: Header=BB89_2 Depth=1
	ds_load_u8 v64, v62 offset:1
	s_wait_dscnt 0x1
	v_mov_b32_e32 v63, v59
.LBB89_154:                             ;   in Loop: Header=BB89_2 Depth=1
	s_or_b32 exec_lo, exec_lo, s10
	v_add_nc_u32_e32 v65, 1, v61
	v_add_nc_u32_e32 v66, 1, v62
	s_wait_dscnt 0x0
	v_and_b32_e32 v67, 0xff, v63
	v_and_b32_e32 v68, 0xff, v64
	v_cndmask_b32_e64 v65, v65, v61, s9
	v_cndmask_b32_e64 v66, v62, v66, s9
	s_delay_alu instid0(VALU_DEP_3) | instskip(NEXT) | instid1(VALU_DEP_3)
	v_cmp_lt_u16_e64 s11, v68, v67
                                        ; implicit-def: $vgpr68
	v_cmp_ge_i32_e64 s10, v65, v22
	s_delay_alu instid0(VALU_DEP_3)
	v_cmp_lt_i32_e64 s12, v66, v23
	s_or_b32 s10, s10, s11
	s_wait_alu 0xfffe
	s_and_b32 s10, s12, s10
	s_wait_alu 0xfffe
	s_xor_b32 s11, s10, -1
	s_wait_alu 0xfffe
	s_and_saveexec_b32 s12, s11
	s_wait_alu 0xfffe
	s_xor_b32 s11, exec_lo, s12
; %bb.155:                              ;   in Loop: Header=BB89_2 Depth=1
	ds_load_u8 v68, v65 offset:1
; %bb.156:                              ;   in Loop: Header=BB89_2 Depth=1
	s_wait_alu 0xfffe
	s_or_saveexec_b32 s11, s11
	v_mov_b32_e32 v70, v64
	s_wait_alu 0xfffe
	s_xor_b32 exec_lo, exec_lo, s11
	s_cbranch_execz .LBB89_158
; %bb.157:                              ;   in Loop: Header=BB89_2 Depth=1
	ds_load_u8 v70, v66 offset:1
	s_wait_dscnt 0x1
	v_mov_b32_e32 v68, v63
.LBB89_158:                             ;   in Loop: Header=BB89_2 Depth=1
	s_or_b32 exec_lo, exec_lo, s11
	v_add_nc_u32_e32 v67, 1, v65
	v_add_nc_u32_e32 v69, 1, v66
	s_wait_dscnt 0x0
	v_and_b32_e32 v73, 0xff, v68
	s_delay_alu instid0(VALU_DEP_3) | instskip(SKIP_2) | instid1(VALU_DEP_3)
	v_cndmask_b32_e64 v71, v67, v65, s10
	v_and_b32_e32 v67, 0xff, v70
	v_cndmask_b32_e64 v72, v66, v69, s10
	v_cmp_ge_i32_e64 s11, v71, v22
	s_delay_alu instid0(VALU_DEP_3) | instskip(NEXT) | instid1(VALU_DEP_3)
	v_cmp_lt_u16_e64 s12, v67, v73
	v_cmp_lt_i32_e64 s13, v72, v23
                                        ; implicit-def: $vgpr67
	s_or_b32 s11, s11, s12
	s_wait_alu 0xfffe
	s_and_b32 s11, s13, s11
	s_wait_alu 0xfffe
	s_xor_b32 s12, s11, -1
	s_wait_alu 0xfffe
	s_and_saveexec_b32 s13, s12
	s_wait_alu 0xfffe
	s_xor_b32 s12, exec_lo, s13
; %bb.159:                              ;   in Loop: Header=BB89_2 Depth=1
	ds_load_u8 v67, v71 offset:1
; %bb.160:                              ;   in Loop: Header=BB89_2 Depth=1
	s_wait_alu 0xfffe
	s_or_saveexec_b32 s12, s12
	v_mov_b32_e32 v69, v70
	s_wait_alu 0xfffe
	s_xor_b32 exec_lo, exec_lo, s12
	s_cbranch_execz .LBB89_162
; %bb.161:                              ;   in Loop: Header=BB89_2 Depth=1
	ds_load_u8 v69, v72 offset:1
	s_wait_dscnt 0x1
	v_mov_b32_e32 v67, v68
.LBB89_162:                             ;   in Loop: Header=BB89_2 Depth=1
	s_or_b32 exec_lo, exec_lo, s12
	v_add_nc_u32_e32 v74, 1, v71
	v_add_nc_u32_e32 v73, 1, v72
	v_cndmask_b32_e64 v68, v68, v70, s11
	v_cndmask_b32_e64 v70, v71, v72, s11
	;; [unrolled: 1-line block ×5, first 2 shown]
	s_wait_dscnt 0x0
	v_and_b32_e32 v57, 0xff, v67
	v_and_b32_e32 v58, 0xff, v69
	v_cndmask_b32_e64 v72, v72, v73, s11
	v_cndmask_b32_e64 v51, v51, v52, s7
	;; [unrolled: 1-line block ×3, first 2 shown]
	v_cmp_ge_i32_e64 s7, v71, v22
	v_cmp_lt_u16_e64 s8, v58, v57
	v_cndmask_b32_e64 v45, v45, v46, s5
	v_cndmask_b32_e64 v43, v43, v44, s5
	v_cmp_lt_i32_e64 s5, v72, v23
	v_perm_b32 v40, v40, v41, 0xc0c0004
	v_perm_b32 v39, v42, v39, 0xc0c0004
	;; [unrolled: 1-line block ×4, first 2 shown]
	v_cndmask_b32_e64 v47, v47, v48, s6
	v_cndmask_b32_e64 v48, v49, v50, s6
	s_or_b32 s6, s7, s8
	v_cndmask_b32_e64 v63, v63, v64, s10
	s_wait_alu 0xfffe
	s_and_b32 s5, s5, s6
	v_cndmask_b32_e64 v59, v59, v60, s9
	s_wait_alu 0xfffe
	v_cndmask_b32_e64 v4, v67, v69, s5
	v_lshl_or_b32 v2, v39, 16, v40
	v_lshl_or_b32 v1, v3, 16, v1
	s_wait_loadcnt 0x0
	s_barrier_signal -1
	s_barrier_wait -1
	global_inv scope:SCOPE_SE
	ds_store_b64 v5, v[1:2]
	v_lshlrev_b16 v1, 8, v47
	v_and_b32_e32 v2, 0xff, v45
	v_lshlrev_b16 v3, 8, v55
	v_and_b32_e32 v39, 0xff, v51
	;; [unrolled: 2-line block ×3, first 2 shown]
	v_and_b32_e32 v44, 0xff, v68
	v_lshlrev_b16 v4, 8, v4
	v_cndmask_b32_e64 v41, v71, v72, s5
	v_cndmask_b32_e64 v64, v65, v66, s10
	;; [unrolled: 1-line block ×3, first 2 shown]
	s_wait_loadcnt_dscnt 0x0
	s_barrier_signal -1
	s_barrier_wait -1
	global_inv scope:SCOPE_SE
	v_or_b32_e32 v45, v2, v1
	v_or_b32_e32 v46, v39, v3
	;; [unrolled: 1-line block ×4, first 2 shown]
	ds_load_u8 v1, v43
	ds_load_u8 v39, v41
	;; [unrolled: 1-line block ×8, first 2 shown]
	v_and_b32_e32 v43, 0xffff, v45
	v_lshlrev_b32_e32 v45, 16, v46
	v_and_b32_e32 v46, 0xffff, v47
	v_lshlrev_b32_e32 v44, 16, v44
	s_wait_loadcnt_dscnt 0x0
	s_barrier_signal -1
	v_or_b32_e32 v43, v43, v45
	s_barrier_wait -1
	v_or_b32_e32 v44, v46, v44
	global_inv scope:SCOPE_SE
	ds_store_b64 v5, v[43:44]
	v_mov_b32_e32 v43, v11
	s_wait_loadcnt_dscnt 0x0
	s_barrier_signal -1
	s_barrier_wait -1
	global_inv scope:SCOPE_SE
	s_and_saveexec_b32 s6, vcc_lo
	s_cbranch_execz .LBB89_166
; %bb.163:                              ;   in Loop: Header=BB89_2 Depth=1
	v_dual_mov_b32 v43, v11 :: v_dual_mov_b32 v44, v12
	s_mov_b32 s7, 0
.LBB89_164:                             ;   Parent Loop BB89_2 Depth=1
                                        ; =>  This Inner Loop Header: Depth=2
	s_delay_alu instid0(VALU_DEP_1) | instskip(NEXT) | instid1(VALU_DEP_1)
	v_sub_nc_u32_e32 v45, v44, v43
	v_lshrrev_b32_e32 v45, 1, v45
	s_delay_alu instid0(VALU_DEP_1) | instskip(NEXT) | instid1(VALU_DEP_1)
	v_add_nc_u32_e32 v45, v45, v43
	v_xad_u32 v46, v45, -1, v13
	v_add_nc_u32_e32 v48, 1, v45
	ds_load_u8 v47, v45
	ds_load_u8 v46, v46
	s_wait_dscnt 0x0
	v_cmp_lt_u16_e64 s5, v46, v47
	s_wait_alu 0xf1ff
	s_delay_alu instid0(VALU_DEP_1) | instskip(SKIP_1) | instid1(VALU_DEP_1)
	v_cndmask_b32_e64 v44, v44, v45, s5
	v_cndmask_b32_e64 v43, v48, v43, s5
	v_cmp_ge_i32_e64 s5, v43, v44
	s_wait_alu 0xfffe
	s_or_b32 s7, s5, s7
	s_wait_alu 0xfffe
	s_and_not1_b32 exec_lo, exec_lo, s7
	s_cbranch_execnz .LBB89_164
; %bb.165:                              ;   in Loop: Header=BB89_2 Depth=1
	s_or_b32 exec_lo, exec_lo, s7
.LBB89_166:                             ;   in Loop: Header=BB89_2 Depth=1
	s_wait_alu 0xfffe
	s_or_b32 exec_lo, exec_lo, s6
	v_sub_nc_u32_e32 v44, v13, v43
	v_cmp_le_i32_e64 s5, 0x100, v43
	ds_load_u8 v45, v43
	ds_load_u8 v46, v44
	v_cmp_gt_i32_e64 s7, 0x200, v44
	s_wait_dscnt 0x1
	v_and_b32_e32 v47, 0xff, v45
	s_wait_dscnt 0x0
	v_and_b32_e32 v48, 0xff, v46
	s_delay_alu instid0(VALU_DEP_1)
	v_cmp_lt_u16_e64 s6, v48, v47
                                        ; implicit-def: $vgpr47
	s_or_b32 s5, s5, s6
	s_wait_alu 0xfffe
	s_and_b32 s5, s7, s5
	s_wait_alu 0xfffe
	s_xor_b32 s6, s5, -1
	s_wait_alu 0xfffe
	s_and_saveexec_b32 s7, s6
	s_wait_alu 0xfffe
	s_xor_b32 s6, exec_lo, s7
; %bb.167:                              ;   in Loop: Header=BB89_2 Depth=1
	ds_load_u8 v47, v43 offset:1
; %bb.168:                              ;   in Loop: Header=BB89_2 Depth=1
	s_wait_alu 0xfffe
	s_or_saveexec_b32 s6, s6
	v_mov_b32_e32 v50, v46
	s_wait_alu 0xfffe
	s_xor_b32 exec_lo, exec_lo, s6
	s_cbranch_execz .LBB89_170
; %bb.169:                              ;   in Loop: Header=BB89_2 Depth=1
	ds_load_u8 v50, v44 offset:1
	s_wait_dscnt 0x1
	v_mov_b32_e32 v47, v45
.LBB89_170:                             ;   in Loop: Header=BB89_2 Depth=1
	s_or_b32 exec_lo, exec_lo, s6
	v_add_nc_u32_e32 v48, 1, v43
	v_add_nc_u32_e32 v49, 1, v44
	s_wait_dscnt 0x0
	v_and_b32_e32 v51, 0xff, v47
	v_and_b32_e32 v52, 0xff, v50
	v_cndmask_b32_e64 v48, v48, v43, s5
	v_cndmask_b32_e64 v49, v44, v49, s5
	s_delay_alu instid0(VALU_DEP_3) | instskip(NEXT) | instid1(VALU_DEP_3)
	v_cmp_lt_u16_e64 s7, v52, v51
                                        ; implicit-def: $vgpr51
	v_cmp_le_i32_e64 s6, 0x100, v48
	s_delay_alu instid0(VALU_DEP_3)
	v_cmp_gt_i32_e64 s8, 0x200, v49
	s_or_b32 s6, s6, s7
	s_wait_alu 0xfffe
	s_and_b32 s6, s8, s6
	s_wait_alu 0xfffe
	s_xor_b32 s7, s6, -1
	s_wait_alu 0xfffe
	s_and_saveexec_b32 s8, s7
	s_wait_alu 0xfffe
	s_xor_b32 s7, exec_lo, s8
; %bb.171:                              ;   in Loop: Header=BB89_2 Depth=1
	ds_load_u8 v51, v48 offset:1
; %bb.172:                              ;   in Loop: Header=BB89_2 Depth=1
	s_wait_alu 0xfffe
	s_or_saveexec_b32 s7, s7
	v_mov_b32_e32 v53, v50
	s_wait_alu 0xfffe
	s_xor_b32 exec_lo, exec_lo, s7
	s_cbranch_execz .LBB89_174
; %bb.173:                              ;   in Loop: Header=BB89_2 Depth=1
	ds_load_u8 v53, v49 offset:1
	s_wait_dscnt 0x1
	v_mov_b32_e32 v51, v47
.LBB89_174:                             ;   in Loop: Header=BB89_2 Depth=1
	s_or_b32 exec_lo, exec_lo, s7
	v_add_nc_u32_e32 v52, 1, v48
	v_add_nc_u32_e32 v54, 1, v49
	s_wait_dscnt 0x0
	v_and_b32_e32 v55, 0xff, v51
	v_and_b32_e32 v56, 0xff, v53
	v_cndmask_b32_e64 v52, v52, v48, s6
	v_cndmask_b32_e64 v54, v49, v54, s6
	s_delay_alu instid0(VALU_DEP_3) | instskip(NEXT) | instid1(VALU_DEP_3)
	v_cmp_lt_u16_e64 s8, v56, v55
                                        ; implicit-def: $vgpr55
	v_cmp_le_i32_e64 s7, 0x100, v52
	s_delay_alu instid0(VALU_DEP_3)
	v_cmp_gt_i32_e64 s9, 0x200, v54
	s_or_b32 s7, s7, s8
	s_wait_alu 0xfffe
	s_and_b32 s7, s9, s7
	s_wait_alu 0xfffe
	s_xor_b32 s8, s7, -1
	s_wait_alu 0xfffe
	s_and_saveexec_b32 s9, s8
	s_wait_alu 0xfffe
	s_xor_b32 s8, exec_lo, s9
; %bb.175:                              ;   in Loop: Header=BB89_2 Depth=1
	ds_load_u8 v55, v52 offset:1
; %bb.176:                              ;   in Loop: Header=BB89_2 Depth=1
	s_wait_alu 0xfffe
	s_or_saveexec_b32 s8, s8
	v_mov_b32_e32 v56, v53
	s_wait_alu 0xfffe
	s_xor_b32 exec_lo, exec_lo, s8
	s_cbranch_execz .LBB89_178
; %bb.177:                              ;   in Loop: Header=BB89_2 Depth=1
	ds_load_u8 v56, v54 offset:1
	s_wait_dscnt 0x1
	v_mov_b32_e32 v55, v51
.LBB89_178:                             ;   in Loop: Header=BB89_2 Depth=1
	s_or_b32 exec_lo, exec_lo, s8
	v_add_nc_u32_e32 v57, 1, v52
	v_add_nc_u32_e32 v58, 1, v54
	s_wait_dscnt 0x0
	v_and_b32_e32 v59, 0xff, v55
	v_and_b32_e32 v60, 0xff, v56
	v_cndmask_b32_e64 v57, v57, v52, s7
	v_cndmask_b32_e64 v58, v54, v58, s7
	s_delay_alu instid0(VALU_DEP_3) | instskip(NEXT) | instid1(VALU_DEP_3)
	v_cmp_lt_u16_e64 s9, v60, v59
                                        ; implicit-def: $vgpr59
	v_cmp_le_i32_e64 s8, 0x100, v57
	s_delay_alu instid0(VALU_DEP_3)
	v_cmp_gt_i32_e64 s10, 0x200, v58
	s_or_b32 s8, s8, s9
	s_wait_alu 0xfffe
	s_and_b32 s8, s10, s8
	s_wait_alu 0xfffe
	s_xor_b32 s9, s8, -1
	s_wait_alu 0xfffe
	s_and_saveexec_b32 s10, s9
	s_wait_alu 0xfffe
	s_xor_b32 s9, exec_lo, s10
; %bb.179:                              ;   in Loop: Header=BB89_2 Depth=1
	ds_load_u8 v59, v57 offset:1
; %bb.180:                              ;   in Loop: Header=BB89_2 Depth=1
	s_wait_alu 0xfffe
	s_or_saveexec_b32 s9, s9
	v_mov_b32_e32 v60, v56
	s_wait_alu 0xfffe
	s_xor_b32 exec_lo, exec_lo, s9
	s_cbranch_execz .LBB89_182
; %bb.181:                              ;   in Loop: Header=BB89_2 Depth=1
	ds_load_u8 v60, v58 offset:1
	s_wait_dscnt 0x1
	v_mov_b32_e32 v59, v55
.LBB89_182:                             ;   in Loop: Header=BB89_2 Depth=1
	s_or_b32 exec_lo, exec_lo, s9
	v_add_nc_u32_e32 v61, 1, v57
	v_add_nc_u32_e32 v62, 1, v58
	s_wait_dscnt 0x0
	v_and_b32_e32 v63, 0xff, v59
	v_and_b32_e32 v64, 0xff, v60
	v_cndmask_b32_e64 v61, v61, v57, s8
	v_cndmask_b32_e64 v62, v58, v62, s8
	s_delay_alu instid0(VALU_DEP_3) | instskip(NEXT) | instid1(VALU_DEP_3)
	v_cmp_lt_u16_e64 s10, v64, v63
                                        ; implicit-def: $vgpr63
	v_cmp_le_i32_e64 s9, 0x100, v61
	s_delay_alu instid0(VALU_DEP_3)
	v_cmp_gt_i32_e64 s11, 0x200, v62
	s_or_b32 s9, s9, s10
	s_wait_alu 0xfffe
	s_and_b32 s9, s11, s9
	s_wait_alu 0xfffe
	s_xor_b32 s10, s9, -1
	s_wait_alu 0xfffe
	s_and_saveexec_b32 s11, s10
	s_wait_alu 0xfffe
	s_xor_b32 s10, exec_lo, s11
; %bb.183:                              ;   in Loop: Header=BB89_2 Depth=1
	ds_load_u8 v63, v61 offset:1
; %bb.184:                              ;   in Loop: Header=BB89_2 Depth=1
	s_wait_alu 0xfffe
	s_or_saveexec_b32 s10, s10
	v_mov_b32_e32 v64, v60
	s_wait_alu 0xfffe
	s_xor_b32 exec_lo, exec_lo, s10
	s_cbranch_execz .LBB89_186
; %bb.185:                              ;   in Loop: Header=BB89_2 Depth=1
	ds_load_u8 v64, v62 offset:1
	s_wait_dscnt 0x1
	v_mov_b32_e32 v63, v59
.LBB89_186:                             ;   in Loop: Header=BB89_2 Depth=1
	s_or_b32 exec_lo, exec_lo, s10
	v_add_nc_u32_e32 v65, 1, v61
	v_add_nc_u32_e32 v67, 1, v62
	s_wait_dscnt 0x0
	v_and_b32_e32 v68, 0xff, v63
	s_delay_alu instid0(VALU_DEP_3) | instskip(SKIP_2) | instid1(VALU_DEP_3)
	v_cndmask_b32_e64 v66, v65, v61, s9
	v_and_b32_e32 v65, 0xff, v64
	v_cndmask_b32_e64 v67, v62, v67, s9
	v_cmp_le_i32_e64 s10, 0x100, v66
	s_delay_alu instid0(VALU_DEP_3) | instskip(NEXT) | instid1(VALU_DEP_3)
	v_cmp_lt_u16_e64 s11, v65, v68
	v_cmp_gt_i32_e64 s12, 0x200, v67
                                        ; implicit-def: $vgpr68
	s_or_b32 s10, s10, s11
	s_wait_alu 0xfffe
	s_and_b32 s10, s12, s10
	s_wait_alu 0xfffe
	s_xor_b32 s11, s10, -1
	s_wait_alu 0xfffe
	s_and_saveexec_b32 s12, s11
	s_wait_alu 0xfffe
	s_xor_b32 s11, exec_lo, s12
; %bb.187:                              ;   in Loop: Header=BB89_2 Depth=1
	ds_load_u8 v68, v66 offset:1
; %bb.188:                              ;   in Loop: Header=BB89_2 Depth=1
	s_wait_alu 0xfffe
	s_or_saveexec_b32 s11, s11
	v_mov_b32_e32 v71, v64
	s_wait_alu 0xfffe
	s_xor_b32 exec_lo, exec_lo, s11
	s_cbranch_execz .LBB89_190
; %bb.189:                              ;   in Loop: Header=BB89_2 Depth=1
	ds_load_u8 v71, v67 offset:1
	s_wait_dscnt 0x1
	v_mov_b32_e32 v68, v63
.LBB89_190:                             ;   in Loop: Header=BB89_2 Depth=1
	s_or_b32 exec_lo, exec_lo, s11
	v_add_nc_u32_e32 v65, 1, v66
	v_add_nc_u32_e32 v69, 1, v67
	s_wait_dscnt 0x0
	v_and_b32_e32 v70, 0xff, v68
	v_and_b32_e32 v72, 0xff, v71
                                        ; implicit-def: $vgpr73
	v_cndmask_b32_e64 v65, v65, v66, s10
	v_cndmask_b32_e64 v69, v67, v69, s10
	s_delay_alu instid0(VALU_DEP_3) | instskip(NEXT) | instid1(VALU_DEP_3)
	v_cmp_lt_u16_e64 s12, v72, v70
                                        ; implicit-def: $vgpr72
	v_cmp_le_i32_e64 s11, 0x100, v65
	s_delay_alu instid0(VALU_DEP_3)
	v_cmp_gt_i32_e64 s13, 0x200, v69
	s_or_b32 s11, s11, s12
	s_wait_alu 0xfffe
	s_and_b32 s11, s13, s11
	s_wait_alu 0xfffe
	s_xor_b32 s12, s11, -1
	s_wait_alu 0xfffe
	s_and_saveexec_b32 s13, s12
	s_wait_alu 0xfffe
	s_xor_b32 s12, exec_lo, s13
; %bb.191:                              ;   in Loop: Header=BB89_2 Depth=1
	ds_load_u8 v73, v65 offset:1
	v_add_nc_u32_e32 v72, 1, v65
; %bb.192:                              ;   in Loop: Header=BB89_2 Depth=1
	s_wait_alu 0xfffe
	s_or_saveexec_b32 s12, s12
	v_mov_b32_e32 v70, v65
	v_mov_b32_e32 v74, v71
	s_wait_alu 0xfffe
	s_xor_b32 exec_lo, exec_lo, s12
	s_cbranch_execz .LBB89_1
; %bb.193:                              ;   in Loop: Header=BB89_2 Depth=1
	ds_load_u8 v74, v69 offset:1
	s_wait_dscnt 0x1
	v_dual_mov_b32 v70, v69 :: v_dual_add_nc_u32 v73, 1, v69
	s_delay_alu instid0(VALU_DEP_1)
	v_dual_mov_b32 v72, v65 :: v_dual_mov_b32 v69, v73
	v_mov_b32_e32 v73, v68
	s_branch .LBB89_1
.LBB89_194:
	s_add_nc_u64 s[0:1], s[46:47], s[48:49]
	v_add_nc_u16 v2, v65, v40
	s_wait_alu 0xfffe
	v_add_co_u32 v0, s0, s0, v0
	s_wait_alu 0xf1ff
	v_add_co_ci_u32_e64 v1, null, s1, 0, s0
	v_add_nc_u16 v5, v50, v44
	v_add_nc_u16 v6, v51, v48
	v_add_nc_u16 v7, v53, v49
	v_add_nc_u16 v8, v45, v41
	v_add_nc_u16 v9, v46, v42
	v_add_nc_u16 v4, v47, v4
	v_add_nc_u16 v3, v3, v39
	s_clause 0x7
	global_store_b8 v[0:1], v2, off
	global_store_b8 v[0:1], v5, off offset:64
	global_store_b8 v[0:1], v6, off offset:128
	;; [unrolled: 1-line block ×7, first 2 shown]
	s_endpgm
	.section	.rodata,"a",@progbits
	.p2align	6, 0x0
	.amdhsa_kernel _Z17sort_pairs_kernelIhLj64ELj8EN10test_utils4lessELj10EEvPKT_PS2_T2_
		.amdhsa_group_segment_fixed_size 513
		.amdhsa_private_segment_fixed_size 0
		.amdhsa_kernarg_size 20
		.amdhsa_user_sgpr_count 2
		.amdhsa_user_sgpr_dispatch_ptr 0
		.amdhsa_user_sgpr_queue_ptr 0
		.amdhsa_user_sgpr_kernarg_segment_ptr 1
		.amdhsa_user_sgpr_dispatch_id 0
		.amdhsa_user_sgpr_private_segment_size 0
		.amdhsa_wavefront_size32 1
		.amdhsa_uses_dynamic_stack 0
		.amdhsa_enable_private_segment 0
		.amdhsa_system_sgpr_workgroup_id_x 1
		.amdhsa_system_sgpr_workgroup_id_y 0
		.amdhsa_system_sgpr_workgroup_id_z 0
		.amdhsa_system_sgpr_workgroup_info 0
		.amdhsa_system_vgpr_workitem_id 0
		.amdhsa_next_free_vgpr 75
		.amdhsa_next_free_sgpr 50
		.amdhsa_reserve_vcc 1
		.amdhsa_float_round_mode_32 0
		.amdhsa_float_round_mode_16_64 0
		.amdhsa_float_denorm_mode_32 3
		.amdhsa_float_denorm_mode_16_64 3
		.amdhsa_fp16_overflow 0
		.amdhsa_workgroup_processor_mode 1
		.amdhsa_memory_ordered 1
		.amdhsa_forward_progress 1
		.amdhsa_inst_pref_size 120
		.amdhsa_round_robin_scheduling 0
		.amdhsa_exception_fp_ieee_invalid_op 0
		.amdhsa_exception_fp_denorm_src 0
		.amdhsa_exception_fp_ieee_div_zero 0
		.amdhsa_exception_fp_ieee_overflow 0
		.amdhsa_exception_fp_ieee_underflow 0
		.amdhsa_exception_fp_ieee_inexact 0
		.amdhsa_exception_int_div_zero 0
	.end_amdhsa_kernel
	.section	.text._Z17sort_pairs_kernelIhLj64ELj8EN10test_utils4lessELj10EEvPKT_PS2_T2_,"axG",@progbits,_Z17sort_pairs_kernelIhLj64ELj8EN10test_utils4lessELj10EEvPKT_PS2_T2_,comdat
.Lfunc_end89:
	.size	_Z17sort_pairs_kernelIhLj64ELj8EN10test_utils4lessELj10EEvPKT_PS2_T2_, .Lfunc_end89-_Z17sort_pairs_kernelIhLj64ELj8EN10test_utils4lessELj10EEvPKT_PS2_T2_
                                        ; -- End function
	.set _Z17sort_pairs_kernelIhLj64ELj8EN10test_utils4lessELj10EEvPKT_PS2_T2_.num_vgpr, 75
	.set _Z17sort_pairs_kernelIhLj64ELj8EN10test_utils4lessELj10EEvPKT_PS2_T2_.num_agpr, 0
	.set _Z17sort_pairs_kernelIhLj64ELj8EN10test_utils4lessELj10EEvPKT_PS2_T2_.numbered_sgpr, 50
	.set _Z17sort_pairs_kernelIhLj64ELj8EN10test_utils4lessELj10EEvPKT_PS2_T2_.num_named_barrier, 0
	.set _Z17sort_pairs_kernelIhLj64ELj8EN10test_utils4lessELj10EEvPKT_PS2_T2_.private_seg_size, 0
	.set _Z17sort_pairs_kernelIhLj64ELj8EN10test_utils4lessELj10EEvPKT_PS2_T2_.uses_vcc, 1
	.set _Z17sort_pairs_kernelIhLj64ELj8EN10test_utils4lessELj10EEvPKT_PS2_T2_.uses_flat_scratch, 0
	.set _Z17sort_pairs_kernelIhLj64ELj8EN10test_utils4lessELj10EEvPKT_PS2_T2_.has_dyn_sized_stack, 0
	.set _Z17sort_pairs_kernelIhLj64ELj8EN10test_utils4lessELj10EEvPKT_PS2_T2_.has_recursion, 0
	.set _Z17sort_pairs_kernelIhLj64ELj8EN10test_utils4lessELj10EEvPKT_PS2_T2_.has_indirect_call, 0
	.section	.AMDGPU.csdata,"",@progbits
; Kernel info:
; codeLenInByte = 15340
; TotalNumSgprs: 52
; NumVgprs: 75
; ScratchSize: 0
; MemoryBound: 0
; FloatMode: 240
; IeeeMode: 1
; LDSByteSize: 513 bytes/workgroup (compile time only)
; SGPRBlocks: 0
; VGPRBlocks: 9
; NumSGPRsForWavesPerEU: 52
; NumVGPRsForWavesPerEU: 75
; Occupancy: 16
; WaveLimiterHint : 0
; COMPUTE_PGM_RSRC2:SCRATCH_EN: 0
; COMPUTE_PGM_RSRC2:USER_SGPR: 2
; COMPUTE_PGM_RSRC2:TRAP_HANDLER: 0
; COMPUTE_PGM_RSRC2:TGID_X_EN: 1
; COMPUTE_PGM_RSRC2:TGID_Y_EN: 0
; COMPUTE_PGM_RSRC2:TGID_Z_EN: 0
; COMPUTE_PGM_RSRC2:TIDIG_COMP_CNT: 0
	.section	.text._Z16sort_keys_kernelIhLj128ELj1EN10test_utils4lessELj10EEvPKT_PS2_T2_,"axG",@progbits,_Z16sort_keys_kernelIhLj128ELj1EN10test_utils4lessELj10EEvPKT_PS2_T2_,comdat
	.protected	_Z16sort_keys_kernelIhLj128ELj1EN10test_utils4lessELj10EEvPKT_PS2_T2_ ; -- Begin function _Z16sort_keys_kernelIhLj128ELj1EN10test_utils4lessELj10EEvPKT_PS2_T2_
	.globl	_Z16sort_keys_kernelIhLj128ELj1EN10test_utils4lessELj10EEvPKT_PS2_T2_
	.p2align	8
	.type	_Z16sort_keys_kernelIhLj128ELj1EN10test_utils4lessELj10EEvPKT_PS2_T2_,@function
_Z16sort_keys_kernelIhLj128ELj1EN10test_utils4lessELj10EEvPKT_PS2_T2_: ; @_Z16sort_keys_kernelIhLj128ELj1EN10test_utils4lessELj10EEvPKT_PS2_T2_
; %bb.0:
	s_load_b128 s[8:11], s[0:1], 0x0
	s_lshl_b32 s12, ttmp9, 7
	s_mov_b32 s13, 0
	v_and_b32_e32 v4, 0x7c, v0
	v_and_b32_e32 v12, 0x70, v0
	v_and_b32_e32 v8, 0x78, v0
	v_and_b32_e32 v20, 3, v0
	v_and_b32_e32 v22, 7, v0
	v_or_b32_e32 v19, 2, v4
	v_add_nc_u32_e32 v7, 4, v4
	v_or_b32_e32 v28, 8, v12
	v_add_nc_u32_e32 v16, 16, v12
	;; [unrolled: 2-line block ×3, first 2 shown]
	v_sub_nc_u32_e32 v13, v7, v19
	v_sub_nc_u32_e32 v11, v19, v4
	v_and_b32_e32 v29, 15, v0
	v_sub_nc_u32_e32 v24, v16, v28
	v_sub_nc_u32_e32 v17, v9, v21
	;; [unrolled: 1-line block ×3, first 2 shown]
	s_wait_kmcnt 0x0
	s_add_nc_u64 s[0:1], s[8:9], s[12:13]
	v_sub_nc_u32_e32 v15, v21, v8
	global_load_u8 v40, v0, s[0:1]
	v_cmp_ge_i32_e64 s0, v20, v13
	v_add_nc_u32_e32 v19, v19, v20
	v_sub_nc_u32_e32 v25, v29, v24
	v_cmp_ge_i32_e64 s2, v29, v24
	v_and_b32_e32 v23, 64, v0
	v_cndmask_b32_e64 v13, 0, v14, s0
	v_min_i32_e32 v14, v20, v11
	v_add_nc_u32_e32 v20, v21, v22
	v_and_b32_e32 v21, 0x60, v0
	v_cndmask_b32_e64 v24, 0, v25, s2
	v_sub_nc_u32_e32 v18, v22, v17
	v_cmp_ge_i32_e64 s0, v22, v17
	v_or_b32_e32 v38, 32, v23
	v_or_b32_e32 v37, 16, v21
	v_add_nc_u32_e32 v25, 32, v21
	v_add_nc_u32_e32 v27, 64, v23
	v_and_b32_e32 v39, 31, v0
	v_and_b32_e32 v1, 0x7e, v0
	s_wait_alu 0xf1ff
	v_cndmask_b32_e64 v17, 0, v18, s0
	v_sub_nc_u32_e32 v31, v25, v37
	v_min_i32_e32 v18, v22, v15
	v_sub_nc_u32_e32 v22, v28, v12
	v_and_b32_e32 v41, 63, v0
	v_sub_nc_u32_e32 v33, v27, v38
	v_sub_nc_u32_e32 v32, v39, v31
	v_cmp_ge_i32_e64 s3, v39, v31
	v_and_b32_e32 v10, 1, v0
	v_or_b32_e32 v2, 1, v1
	v_min_i32_e32 v26, v29, v22
	v_add_nc_u32_e32 v28, v28, v29
	v_sub_nc_u32_e32 v29, v37, v21
	v_sub_nc_u32_e32 v30, v38, v23
	;; [unrolled: 1-line block ×3, first 2 shown]
	s_wait_alu 0xf1ff
	v_cndmask_b32_e64 v31, 0, v32, s3
	v_cmp_ge_i32_e64 s3, v41, v33
	v_add_nc_u32_e32 v5, -1, v10
	v_sub_nc_u32_e32 v3, v2, v1
	v_cmp_lt_i32_e32 vcc_lo, 0, v10
	v_min_i32_e32 v32, v39, v29
	s_wait_alu 0xf1ff
	v_cndmask_b32_e64 v33, 0, v34, s3
	v_min_i32_e32 v34, v41, v30
	v_sub_nc_u32_e64 v35, v0, 64 clamp
	v_min_i32_e32 v36, 64, v0
	v_cndmask_b32_e32 v5, 0, v5, vcc_lo
	v_min_i32_e32 v6, v10, v3
	v_add_nc_u32_e32 v10, v2, v10
	v_cmp_lt_i32_e64 s0, v13, v14
	v_cmp_lt_i32_e64 s1, v17, v18
	;; [unrolled: 1-line block ×4, first 2 shown]
	v_add_nc_u32_e32 v37, v37, v39
	v_cmp_lt_i32_e64 s4, v33, v34
	v_add_nc_u32_e32 v38, v38, v41
	v_cmp_lt_i32_e64 s5, v35, v36
	v_add_nc_u32_e32 v39, 64, v0
	s_mov_b32 s9, s13
	v_cmp_lt_i32_e32 vcc_lo, v5, v6
	s_branch .LBB90_2
.LBB90_1:                               ;   in Loop: Header=BB90_2 Depth=1
	s_wait_alu 0xfffe
	s_or_b32 exec_lo, exec_lo, s7
	v_sub_nc_u32_e32 v41, v39, v40
	v_cmp_le_i32_e64 s6, 64, v40
	s_add_co_i32 s9, s9, 1
	ds_load_u8 v42, v40
	ds_load_u8 v43, v41
	v_cmp_gt_i32_e64 s8, 0x80, v41
	s_wait_dscnt 0x1
	v_and_b32_e32 v44, 0xff, v42
	s_wait_dscnt 0x0
	v_and_b32_e32 v45, 0xff, v43
	s_delay_alu instid0(VALU_DEP_1)
	v_cmp_lt_u16_e64 s7, v45, v44
	s_or_b32 s6, s6, s7
	s_wait_alu 0xfffe
	s_and_b32 s6, s8, s6
	s_cmp_eq_u32 s9, 10
	s_wait_alu 0xfffe
	v_cndmask_b32_e64 v40, v42, v43, s6
	s_cbranch_scc1 .LBB90_30
.LBB90_2:                               ; =>This Loop Header: Depth=1
                                        ;     Child Loop BB90_4 Depth 2
                                        ;     Child Loop BB90_8 Depth 2
	;; [unrolled: 1-line block ×7, first 2 shown]
	s_wait_loadcnt 0x0
	s_barrier_signal -1
	s_barrier_wait -1
	global_inv scope:SCOPE_SE
	ds_store_b8 v0, v40
	v_mov_b32_e32 v40, v5
	s_wait_loadcnt_dscnt 0x0
	s_barrier_signal -1
	s_barrier_wait -1
	global_inv scope:SCOPE_SE
	s_and_saveexec_b32 s7, vcc_lo
	s_cbranch_execz .LBB90_6
; %bb.3:                                ;   in Loop: Header=BB90_2 Depth=1
	v_dual_mov_b32 v40, v5 :: v_dual_mov_b32 v41, v6
	s_mov_b32 s8, 0
.LBB90_4:                               ;   Parent Loop BB90_2 Depth=1
                                        ; =>  This Inner Loop Header: Depth=2
	s_delay_alu instid0(VALU_DEP_1) | instskip(NEXT) | instid1(VALU_DEP_1)
	v_sub_nc_u32_e32 v42, v41, v40
	v_lshrrev_b32_e32 v42, 1, v42
	s_delay_alu instid0(VALU_DEP_1) | instskip(NEXT) | instid1(VALU_DEP_1)
	v_add_nc_u32_e32 v42, v42, v40
	v_add_nc_u32_e32 v43, v1, v42
	v_xad_u32 v44, v42, -1, v10
	v_add_nc_u32_e32 v45, 1, v42
	ds_load_u8 v43, v43
	ds_load_u8 v44, v44
	s_wait_dscnt 0x0
	v_cmp_lt_u16_e64 s6, v44, v43
	s_wait_alu 0xf1ff
	s_delay_alu instid0(VALU_DEP_1) | instskip(SKIP_1) | instid1(VALU_DEP_1)
	v_cndmask_b32_e64 v41, v41, v42, s6
	v_cndmask_b32_e64 v40, v45, v40, s6
	v_cmp_ge_i32_e64 s6, v40, v41
	s_or_b32 s8, s6, s8
	s_delay_alu instid0(SALU_CYCLE_1)
	s_and_not1_b32 exec_lo, exec_lo, s8
	s_cbranch_execnz .LBB90_4
; %bb.5:                                ;   in Loop: Header=BB90_2 Depth=1
	s_or_b32 exec_lo, exec_lo, s8
.LBB90_6:                               ;   in Loop: Header=BB90_2 Depth=1
	s_wait_alu 0xfffe
	s_or_b32 exec_lo, exec_lo, s7
	v_add_nc_u32_e32 v41, v1, v40
	v_sub_nc_u32_e32 v42, v10, v40
	v_cmp_ge_i32_e64 s6, v40, v3
	ds_load_u8 v41, v41
	ds_load_u8 v43, v42
	v_cmp_ge_i32_e64 s8, v2, v42
	s_wait_loadcnt_dscnt 0x0
	s_barrier_signal -1
	s_barrier_wait -1
	global_inv scope:SCOPE_SE
	v_mov_b32_e32 v40, v13
	v_and_b32_e32 v44, 0xff, v41
	v_and_b32_e32 v45, 0xff, v43
	s_delay_alu instid0(VALU_DEP_1)
	v_cmp_lt_u16_e64 s7, v45, v44
	s_or_b32 s6, s6, s7
	s_wait_alu 0xfffe
	s_and_b32 s6, s8, s6
	s_wait_alu 0xfffe
	v_cndmask_b32_e64 v41, v41, v43, s6
	ds_store_b8 v0, v41
	s_wait_loadcnt_dscnt 0x0
	s_barrier_signal -1
	s_barrier_wait -1
	global_inv scope:SCOPE_SE
	s_and_saveexec_b32 s7, s0
	s_cbranch_execz .LBB90_10
; %bb.7:                                ;   in Loop: Header=BB90_2 Depth=1
	v_dual_mov_b32 v40, v13 :: v_dual_mov_b32 v41, v14
	s_mov_b32 s8, 0
.LBB90_8:                               ;   Parent Loop BB90_2 Depth=1
                                        ; =>  This Inner Loop Header: Depth=2
	s_delay_alu instid0(VALU_DEP_1) | instskip(NEXT) | instid1(VALU_DEP_1)
	v_sub_nc_u32_e32 v42, v41, v40
	v_lshrrev_b32_e32 v42, 1, v42
	s_delay_alu instid0(VALU_DEP_1) | instskip(NEXT) | instid1(VALU_DEP_1)
	v_add_nc_u32_e32 v42, v42, v40
	v_add_nc_u32_e32 v43, v4, v42
	v_xad_u32 v44, v42, -1, v19
	v_add_nc_u32_e32 v45, 1, v42
	ds_load_u8 v43, v43
	ds_load_u8 v44, v44
	s_wait_dscnt 0x0
	v_cmp_lt_u16_e64 s6, v44, v43
	s_wait_alu 0xf1ff
	s_delay_alu instid0(VALU_DEP_1) | instskip(SKIP_1) | instid1(VALU_DEP_1)
	v_cndmask_b32_e64 v41, v41, v42, s6
	v_cndmask_b32_e64 v40, v45, v40, s6
	v_cmp_ge_i32_e64 s6, v40, v41
	s_or_b32 s8, s6, s8
	s_delay_alu instid0(SALU_CYCLE_1)
	s_and_not1_b32 exec_lo, exec_lo, s8
	s_cbranch_execnz .LBB90_8
; %bb.9:                                ;   in Loop: Header=BB90_2 Depth=1
	s_or_b32 exec_lo, exec_lo, s8
.LBB90_10:                              ;   in Loop: Header=BB90_2 Depth=1
	s_wait_alu 0xfffe
	s_or_b32 exec_lo, exec_lo, s7
	v_add_nc_u32_e32 v41, v4, v40
	v_sub_nc_u32_e32 v42, v19, v40
	v_cmp_ge_i32_e64 s6, v40, v11
	v_mov_b32_e32 v40, v17
	ds_load_u8 v41, v41
	ds_load_u8 v43, v42
	v_cmp_gt_i32_e64 s8, v7, v42
	s_wait_loadcnt_dscnt 0x0
	s_barrier_signal -1
	s_barrier_wait -1
	global_inv scope:SCOPE_SE
	v_and_b32_e32 v44, 0xff, v41
	v_and_b32_e32 v45, 0xff, v43
	s_delay_alu instid0(VALU_DEP_1)
	v_cmp_lt_u16_e64 s7, v45, v44
	s_or_b32 s6, s6, s7
	s_wait_alu 0xfffe
	s_and_b32 s6, s8, s6
	s_wait_alu 0xfffe
	v_cndmask_b32_e64 v41, v41, v43, s6
	ds_store_b8 v0, v41
	s_wait_loadcnt_dscnt 0x0
	s_barrier_signal -1
	s_barrier_wait -1
	global_inv scope:SCOPE_SE
	s_and_saveexec_b32 s7, s1
	s_cbranch_execz .LBB90_14
; %bb.11:                               ;   in Loop: Header=BB90_2 Depth=1
	v_dual_mov_b32 v40, v17 :: v_dual_mov_b32 v41, v18
	s_mov_b32 s8, 0
.LBB90_12:                              ;   Parent Loop BB90_2 Depth=1
                                        ; =>  This Inner Loop Header: Depth=2
	s_delay_alu instid0(VALU_DEP_1) | instskip(NEXT) | instid1(VALU_DEP_1)
	v_sub_nc_u32_e32 v42, v41, v40
	v_lshrrev_b32_e32 v42, 1, v42
	s_delay_alu instid0(VALU_DEP_1) | instskip(NEXT) | instid1(VALU_DEP_1)
	v_add_nc_u32_e32 v42, v42, v40
	v_add_nc_u32_e32 v43, v8, v42
	v_xad_u32 v44, v42, -1, v20
	v_add_nc_u32_e32 v45, 1, v42
	ds_load_u8 v43, v43
	ds_load_u8 v44, v44
	s_wait_dscnt 0x0
	v_cmp_lt_u16_e64 s6, v44, v43
	s_wait_alu 0xf1ff
	s_delay_alu instid0(VALU_DEP_1) | instskip(SKIP_1) | instid1(VALU_DEP_1)
	v_cndmask_b32_e64 v41, v41, v42, s6
	v_cndmask_b32_e64 v40, v45, v40, s6
	v_cmp_ge_i32_e64 s6, v40, v41
	s_or_b32 s8, s6, s8
	s_delay_alu instid0(SALU_CYCLE_1)
	s_and_not1_b32 exec_lo, exec_lo, s8
	s_cbranch_execnz .LBB90_12
; %bb.13:                               ;   in Loop: Header=BB90_2 Depth=1
	s_or_b32 exec_lo, exec_lo, s8
.LBB90_14:                              ;   in Loop: Header=BB90_2 Depth=1
	s_wait_alu 0xfffe
	s_or_b32 exec_lo, exec_lo, s7
	v_add_nc_u32_e32 v41, v8, v40
	v_sub_nc_u32_e32 v42, v20, v40
	v_cmp_ge_i32_e64 s6, v40, v15
	ds_load_u8 v41, v41
	ds_load_u8 v43, v42
	v_cmp_gt_i32_e64 s8, v9, v42
	s_wait_loadcnt_dscnt 0x0
	s_barrier_signal -1
	s_barrier_wait -1
	global_inv scope:SCOPE_SE
	v_mov_b32_e32 v40, v24
	v_and_b32_e32 v44, 0xff, v41
	v_and_b32_e32 v45, 0xff, v43
	s_delay_alu instid0(VALU_DEP_1)
	v_cmp_lt_u16_e64 s7, v45, v44
	s_or_b32 s6, s6, s7
	s_wait_alu 0xfffe
	s_and_b32 s6, s8, s6
	s_wait_alu 0xfffe
	v_cndmask_b32_e64 v41, v41, v43, s6
	ds_store_b8 v0, v41
	s_wait_loadcnt_dscnt 0x0
	s_barrier_signal -1
	s_barrier_wait -1
	global_inv scope:SCOPE_SE
	s_and_saveexec_b32 s7, s2
	s_cbranch_execz .LBB90_18
; %bb.15:                               ;   in Loop: Header=BB90_2 Depth=1
	v_dual_mov_b32 v40, v24 :: v_dual_mov_b32 v41, v26
	s_mov_b32 s8, 0
.LBB90_16:                              ;   Parent Loop BB90_2 Depth=1
                                        ; =>  This Inner Loop Header: Depth=2
	s_delay_alu instid0(VALU_DEP_1) | instskip(NEXT) | instid1(VALU_DEP_1)
	v_sub_nc_u32_e32 v42, v41, v40
	v_lshrrev_b32_e32 v42, 1, v42
	s_delay_alu instid0(VALU_DEP_1) | instskip(NEXT) | instid1(VALU_DEP_1)
	v_add_nc_u32_e32 v42, v42, v40
	v_add_nc_u32_e32 v43, v12, v42
	v_xad_u32 v44, v42, -1, v28
	v_add_nc_u32_e32 v45, 1, v42
	ds_load_u8 v43, v43
	ds_load_u8 v44, v44
	s_wait_dscnt 0x0
	v_cmp_lt_u16_e64 s6, v44, v43
	s_wait_alu 0xf1ff
	s_delay_alu instid0(VALU_DEP_1) | instskip(SKIP_1) | instid1(VALU_DEP_1)
	v_cndmask_b32_e64 v41, v41, v42, s6
	v_cndmask_b32_e64 v40, v45, v40, s6
	v_cmp_ge_i32_e64 s6, v40, v41
	s_or_b32 s8, s6, s8
	s_delay_alu instid0(SALU_CYCLE_1)
	s_and_not1_b32 exec_lo, exec_lo, s8
	s_cbranch_execnz .LBB90_16
; %bb.17:                               ;   in Loop: Header=BB90_2 Depth=1
	s_or_b32 exec_lo, exec_lo, s8
.LBB90_18:                              ;   in Loop: Header=BB90_2 Depth=1
	s_wait_alu 0xfffe
	s_or_b32 exec_lo, exec_lo, s7
	v_add_nc_u32_e32 v41, v12, v40
	v_sub_nc_u32_e32 v42, v28, v40
	v_cmp_ge_i32_e64 s6, v40, v22
	v_mov_b32_e32 v40, v31
	ds_load_u8 v41, v41
	ds_load_u8 v43, v42
	v_cmp_gt_i32_e64 s8, v16, v42
	s_wait_loadcnt_dscnt 0x0
	s_barrier_signal -1
	s_barrier_wait -1
	global_inv scope:SCOPE_SE
	v_and_b32_e32 v44, 0xff, v41
	v_and_b32_e32 v45, 0xff, v43
	s_delay_alu instid0(VALU_DEP_1)
	v_cmp_lt_u16_e64 s7, v45, v44
	s_or_b32 s6, s6, s7
	s_wait_alu 0xfffe
	s_and_b32 s6, s8, s6
	s_wait_alu 0xfffe
	v_cndmask_b32_e64 v41, v41, v43, s6
	ds_store_b8 v0, v41
	s_wait_loadcnt_dscnt 0x0
	s_barrier_signal -1
	s_barrier_wait -1
	global_inv scope:SCOPE_SE
	s_and_saveexec_b32 s7, s3
	s_cbranch_execz .LBB90_22
; %bb.19:                               ;   in Loop: Header=BB90_2 Depth=1
	v_dual_mov_b32 v40, v31 :: v_dual_mov_b32 v41, v32
	s_mov_b32 s8, 0
.LBB90_20:                              ;   Parent Loop BB90_2 Depth=1
                                        ; =>  This Inner Loop Header: Depth=2
	s_delay_alu instid0(VALU_DEP_1) | instskip(NEXT) | instid1(VALU_DEP_1)
	v_sub_nc_u32_e32 v42, v41, v40
	v_lshrrev_b32_e32 v42, 1, v42
	s_delay_alu instid0(VALU_DEP_1) | instskip(NEXT) | instid1(VALU_DEP_1)
	v_add_nc_u32_e32 v42, v42, v40
	v_add_nc_u32_e32 v43, v21, v42
	v_xad_u32 v44, v42, -1, v37
	v_add_nc_u32_e32 v45, 1, v42
	ds_load_u8 v43, v43
	ds_load_u8 v44, v44
	s_wait_dscnt 0x0
	v_cmp_lt_u16_e64 s6, v44, v43
	s_wait_alu 0xf1ff
	s_delay_alu instid0(VALU_DEP_1) | instskip(SKIP_1) | instid1(VALU_DEP_1)
	v_cndmask_b32_e64 v41, v41, v42, s6
	v_cndmask_b32_e64 v40, v45, v40, s6
	v_cmp_ge_i32_e64 s6, v40, v41
	s_or_b32 s8, s6, s8
	s_delay_alu instid0(SALU_CYCLE_1)
	s_and_not1_b32 exec_lo, exec_lo, s8
	s_cbranch_execnz .LBB90_20
; %bb.21:                               ;   in Loop: Header=BB90_2 Depth=1
	s_or_b32 exec_lo, exec_lo, s8
.LBB90_22:                              ;   in Loop: Header=BB90_2 Depth=1
	s_wait_alu 0xfffe
	s_or_b32 exec_lo, exec_lo, s7
	v_add_nc_u32_e32 v41, v21, v40
	v_sub_nc_u32_e32 v42, v37, v40
	v_cmp_ge_i32_e64 s6, v40, v29
	ds_load_u8 v41, v41
	ds_load_u8 v43, v42
	v_cmp_gt_i32_e64 s8, v25, v42
	s_wait_loadcnt_dscnt 0x0
	s_barrier_signal -1
	s_barrier_wait -1
	global_inv scope:SCOPE_SE
	v_mov_b32_e32 v40, v33
	v_and_b32_e32 v44, 0xff, v41
	v_and_b32_e32 v45, 0xff, v43
	s_delay_alu instid0(VALU_DEP_1)
	v_cmp_lt_u16_e64 s7, v45, v44
	s_or_b32 s6, s6, s7
	s_wait_alu 0xfffe
	s_and_b32 s6, s8, s6
	s_wait_alu 0xfffe
	v_cndmask_b32_e64 v41, v41, v43, s6
	ds_store_b8 v0, v41
	s_wait_loadcnt_dscnt 0x0
	s_barrier_signal -1
	s_barrier_wait -1
	global_inv scope:SCOPE_SE
	s_and_saveexec_b32 s7, s4
	s_cbranch_execz .LBB90_26
; %bb.23:                               ;   in Loop: Header=BB90_2 Depth=1
	v_dual_mov_b32 v40, v33 :: v_dual_mov_b32 v41, v34
	s_mov_b32 s8, 0
.LBB90_24:                              ;   Parent Loop BB90_2 Depth=1
                                        ; =>  This Inner Loop Header: Depth=2
	s_delay_alu instid0(VALU_DEP_1) | instskip(NEXT) | instid1(VALU_DEP_1)
	v_sub_nc_u32_e32 v42, v41, v40
	v_lshrrev_b32_e32 v42, 1, v42
	s_delay_alu instid0(VALU_DEP_1) | instskip(NEXT) | instid1(VALU_DEP_1)
	v_add_nc_u32_e32 v42, v42, v40
	v_add_nc_u32_e32 v43, v23, v42
	v_xad_u32 v44, v42, -1, v38
	v_add_nc_u32_e32 v45, 1, v42
	ds_load_u8 v43, v43
	ds_load_u8 v44, v44
	s_wait_dscnt 0x0
	v_cmp_lt_u16_e64 s6, v44, v43
	s_wait_alu 0xf1ff
	s_delay_alu instid0(VALU_DEP_1) | instskip(SKIP_1) | instid1(VALU_DEP_1)
	v_cndmask_b32_e64 v41, v41, v42, s6
	v_cndmask_b32_e64 v40, v45, v40, s6
	v_cmp_ge_i32_e64 s6, v40, v41
	s_or_b32 s8, s6, s8
	s_delay_alu instid0(SALU_CYCLE_1)
	s_and_not1_b32 exec_lo, exec_lo, s8
	s_cbranch_execnz .LBB90_24
; %bb.25:                               ;   in Loop: Header=BB90_2 Depth=1
	s_or_b32 exec_lo, exec_lo, s8
.LBB90_26:                              ;   in Loop: Header=BB90_2 Depth=1
	s_wait_alu 0xfffe
	s_or_b32 exec_lo, exec_lo, s7
	v_add_nc_u32_e32 v41, v23, v40
	v_sub_nc_u32_e32 v42, v38, v40
	v_cmp_ge_i32_e64 s6, v40, v30
	ds_load_u8 v41, v41
	ds_load_u8 v43, v42
	v_cmp_gt_i32_e64 s8, v27, v42
	s_wait_loadcnt_dscnt 0x0
	s_barrier_signal -1
	s_barrier_wait -1
	global_inv scope:SCOPE_SE
	v_mov_b32_e32 v40, v35
	v_and_b32_e32 v44, 0xff, v41
	v_and_b32_e32 v45, 0xff, v43
	s_delay_alu instid0(VALU_DEP_1)
	v_cmp_lt_u16_e64 s7, v45, v44
	s_or_b32 s6, s6, s7
	s_wait_alu 0xfffe
	s_and_b32 s6, s8, s6
	s_wait_alu 0xfffe
	v_cndmask_b32_e64 v41, v41, v43, s6
	ds_store_b8 v0, v41
	s_wait_loadcnt_dscnt 0x0
	s_barrier_signal -1
	s_barrier_wait -1
	global_inv scope:SCOPE_SE
	s_and_saveexec_b32 s7, s5
	s_cbranch_execz .LBB90_1
; %bb.27:                               ;   in Loop: Header=BB90_2 Depth=1
	v_dual_mov_b32 v40, v35 :: v_dual_mov_b32 v41, v36
	s_mov_b32 s8, 0
.LBB90_28:                              ;   Parent Loop BB90_2 Depth=1
                                        ; =>  This Inner Loop Header: Depth=2
	s_delay_alu instid0(VALU_DEP_1) | instskip(NEXT) | instid1(VALU_DEP_1)
	v_sub_nc_u32_e32 v42, v41, v40
	v_lshrrev_b32_e32 v42, 1, v42
	s_delay_alu instid0(VALU_DEP_1) | instskip(NEXT) | instid1(VALU_DEP_1)
	v_add_nc_u32_e32 v42, v42, v40
	v_xad_u32 v43, v42, -1, v39
	v_add_nc_u32_e32 v45, 1, v42
	ds_load_u8 v44, v42
	ds_load_u8 v43, v43
	s_wait_dscnt 0x0
	v_cmp_lt_u16_e64 s6, v43, v44
	s_wait_alu 0xf1ff
	s_delay_alu instid0(VALU_DEP_1) | instskip(SKIP_1) | instid1(VALU_DEP_1)
	v_cndmask_b32_e64 v41, v41, v42, s6
	v_cndmask_b32_e64 v40, v45, v40, s6
	v_cmp_ge_i32_e64 s6, v40, v41
	s_or_b32 s8, s6, s8
	s_delay_alu instid0(SALU_CYCLE_1)
	s_and_not1_b32 exec_lo, exec_lo, s8
	s_cbranch_execnz .LBB90_28
; %bb.29:                               ;   in Loop: Header=BB90_2 Depth=1
	s_or_b32 exec_lo, exec_lo, s8
	s_branch .LBB90_1
.LBB90_30:
	s_add_nc_u64 s[0:1], s[10:11], s[12:13]
	s_wait_alu 0xfffe
	v_add_co_u32 v0, s0, s0, v0
	s_wait_alu 0xf1ff
	v_add_co_ci_u32_e64 v1, null, s1, 0, s0
	global_store_b8 v[0:1], v40, off
	s_endpgm
	.section	.rodata,"a",@progbits
	.p2align	6, 0x0
	.amdhsa_kernel _Z16sort_keys_kernelIhLj128ELj1EN10test_utils4lessELj10EEvPKT_PS2_T2_
		.amdhsa_group_segment_fixed_size 129
		.amdhsa_private_segment_fixed_size 0
		.amdhsa_kernarg_size 20
		.amdhsa_user_sgpr_count 2
		.amdhsa_user_sgpr_dispatch_ptr 0
		.amdhsa_user_sgpr_queue_ptr 0
		.amdhsa_user_sgpr_kernarg_segment_ptr 1
		.amdhsa_user_sgpr_dispatch_id 0
		.amdhsa_user_sgpr_private_segment_size 0
		.amdhsa_wavefront_size32 1
		.amdhsa_uses_dynamic_stack 0
		.amdhsa_enable_private_segment 0
		.amdhsa_system_sgpr_workgroup_id_x 1
		.amdhsa_system_sgpr_workgroup_id_y 0
		.amdhsa_system_sgpr_workgroup_id_z 0
		.amdhsa_system_sgpr_workgroup_info 0
		.amdhsa_system_vgpr_workitem_id 0
		.amdhsa_next_free_vgpr 46
		.amdhsa_next_free_sgpr 14
		.amdhsa_reserve_vcc 1
		.amdhsa_float_round_mode_32 0
		.amdhsa_float_round_mode_16_64 0
		.amdhsa_float_denorm_mode_32 3
		.amdhsa_float_denorm_mode_16_64 3
		.amdhsa_fp16_overflow 0
		.amdhsa_workgroup_processor_mode 1
		.amdhsa_memory_ordered 1
		.amdhsa_forward_progress 1
		.amdhsa_inst_pref_size 21
		.amdhsa_round_robin_scheduling 0
		.amdhsa_exception_fp_ieee_invalid_op 0
		.amdhsa_exception_fp_denorm_src 0
		.amdhsa_exception_fp_ieee_div_zero 0
		.amdhsa_exception_fp_ieee_overflow 0
		.amdhsa_exception_fp_ieee_underflow 0
		.amdhsa_exception_fp_ieee_inexact 0
		.amdhsa_exception_int_div_zero 0
	.end_amdhsa_kernel
	.section	.text._Z16sort_keys_kernelIhLj128ELj1EN10test_utils4lessELj10EEvPKT_PS2_T2_,"axG",@progbits,_Z16sort_keys_kernelIhLj128ELj1EN10test_utils4lessELj10EEvPKT_PS2_T2_,comdat
.Lfunc_end90:
	.size	_Z16sort_keys_kernelIhLj128ELj1EN10test_utils4lessELj10EEvPKT_PS2_T2_, .Lfunc_end90-_Z16sort_keys_kernelIhLj128ELj1EN10test_utils4lessELj10EEvPKT_PS2_T2_
                                        ; -- End function
	.set _Z16sort_keys_kernelIhLj128ELj1EN10test_utils4lessELj10EEvPKT_PS2_T2_.num_vgpr, 46
	.set _Z16sort_keys_kernelIhLj128ELj1EN10test_utils4lessELj10EEvPKT_PS2_T2_.num_agpr, 0
	.set _Z16sort_keys_kernelIhLj128ELj1EN10test_utils4lessELj10EEvPKT_PS2_T2_.numbered_sgpr, 14
	.set _Z16sort_keys_kernelIhLj128ELj1EN10test_utils4lessELj10EEvPKT_PS2_T2_.num_named_barrier, 0
	.set _Z16sort_keys_kernelIhLj128ELj1EN10test_utils4lessELj10EEvPKT_PS2_T2_.private_seg_size, 0
	.set _Z16sort_keys_kernelIhLj128ELj1EN10test_utils4lessELj10EEvPKT_PS2_T2_.uses_vcc, 1
	.set _Z16sort_keys_kernelIhLj128ELj1EN10test_utils4lessELj10EEvPKT_PS2_T2_.uses_flat_scratch, 0
	.set _Z16sort_keys_kernelIhLj128ELj1EN10test_utils4lessELj10EEvPKT_PS2_T2_.has_dyn_sized_stack, 0
	.set _Z16sort_keys_kernelIhLj128ELj1EN10test_utils4lessELj10EEvPKT_PS2_T2_.has_recursion, 0
	.set _Z16sort_keys_kernelIhLj128ELj1EN10test_utils4lessELj10EEvPKT_PS2_T2_.has_indirect_call, 0
	.section	.AMDGPU.csdata,"",@progbits
; Kernel info:
; codeLenInByte = 2576
; TotalNumSgprs: 16
; NumVgprs: 46
; ScratchSize: 0
; MemoryBound: 0
; FloatMode: 240
; IeeeMode: 1
; LDSByteSize: 129 bytes/workgroup (compile time only)
; SGPRBlocks: 0
; VGPRBlocks: 5
; NumSGPRsForWavesPerEU: 16
; NumVGPRsForWavesPerEU: 46
; Occupancy: 16
; WaveLimiterHint : 0
; COMPUTE_PGM_RSRC2:SCRATCH_EN: 0
; COMPUTE_PGM_RSRC2:USER_SGPR: 2
; COMPUTE_PGM_RSRC2:TRAP_HANDLER: 0
; COMPUTE_PGM_RSRC2:TGID_X_EN: 1
; COMPUTE_PGM_RSRC2:TGID_Y_EN: 0
; COMPUTE_PGM_RSRC2:TGID_Z_EN: 0
; COMPUTE_PGM_RSRC2:TIDIG_COMP_CNT: 0
	.section	.text._Z17sort_pairs_kernelIhLj128ELj1EN10test_utils4lessELj10EEvPKT_PS2_T2_,"axG",@progbits,_Z17sort_pairs_kernelIhLj128ELj1EN10test_utils4lessELj10EEvPKT_PS2_T2_,comdat
	.protected	_Z17sort_pairs_kernelIhLj128ELj1EN10test_utils4lessELj10EEvPKT_PS2_T2_ ; -- Begin function _Z17sort_pairs_kernelIhLj128ELj1EN10test_utils4lessELj10EEvPKT_PS2_T2_
	.globl	_Z17sort_pairs_kernelIhLj128ELj1EN10test_utils4lessELj10EEvPKT_PS2_T2_
	.p2align	8
	.type	_Z17sort_pairs_kernelIhLj128ELj1EN10test_utils4lessELj10EEvPKT_PS2_T2_,@function
_Z17sort_pairs_kernelIhLj128ELj1EN10test_utils4lessELj10EEvPKT_PS2_T2_: ; @_Z17sort_pairs_kernelIhLj128ELj1EN10test_utils4lessELj10EEvPKT_PS2_T2_
; %bb.0:
	s_load_b128 s[8:11], s[0:1], 0x0
	s_lshl_b32 s12, ttmp9, 7
	s_mov_b32 s13, 0
	v_and_b32_e32 v2, 0x7c, v0
	v_and_b32_e32 v1, 0x7e, v0
	;; [unrolled: 1-line block ×5, first 2 shown]
	v_or_b32_e32 v10, 2, v2
	v_add_nc_u32_e32 v11, 4, v2
	v_or_b32_e32 v9, 1, v1
	v_or_b32_e32 v12, 4, v3
	v_add_nc_u32_e32 v13, 8, v3
	v_and_b32_e32 v27, 1, v0
	v_sub_nc_u32_e32 v38, v11, v10
	v_and_b32_e32 v34, 7, v0
	v_and_b32_e32 v5, 0x60, v0
	v_or_b32_e32 v14, 8, v4
	v_add_nc_u32_e32 v15, 16, v4
	v_sub_nc_u32_e32 v28, v9, v1
	s_wait_kmcnt 0x0
	s_add_nc_u64 s[0:1], s[8:9], s[12:13]
	v_sub_nc_u32_e32 v29, v10, v2
	global_load_u8 v39, v0, s[0:1]
	v_sub_nc_u32_e32 v40, v13, v12
	v_sub_nc_u32_e32 v45, v33, v38
	v_cmp_ge_i32_e64 s1, v33, v38
	v_and_b32_e32 v35, 15, v0
	v_and_b32_e32 v6, 64, v0
	v_add_nc_u32_e32 v20, -1, v27
	v_or_b32_e32 v16, 16, v5
	v_add_nc_u32_e32 v17, 32, v5
	v_cmp_lt_i32_e64 s0, 0, v27
	v_add_nc_u32_e32 v21, v9, v27
	v_add_nc_u32_e32 v22, v10, v33
	v_sub_nc_u32_e32 v30, v12, v3
	v_sub_nc_u32_e32 v41, v15, v14
	v_min_i32_e32 v27, v27, v28
	v_min_i32_e32 v28, v33, v29
	v_sub_nc_u32_e32 v46, v34, v40
	v_cndmask_b32_e64 v33, 0, v45, s1
	v_cmp_ge_i32_e64 s1, v34, v40
	v_and_b32_e32 v36, 31, v0
	v_or_b32_e32 v18, 32, v6
	v_add_nc_u32_e32 v19, 64, v6
	v_add_nc_u32_e32 v23, v12, v34
	v_sub_nc_u32_e32 v31, v14, v4
	v_sub_nc_u32_e32 v42, v17, v16
	v_min_i32_e32 v29, v34, v30
	v_sub_nc_u32_e32 v47, v35, v41
	s_wait_alu 0xf1ff
	v_cndmask_b32_e64 v34, 0, v46, s1
	v_cmp_ge_i32_e64 s1, v35, v41
	v_and_b32_e32 v37, 63, v0
	v_add_nc_u32_e32 v24, v14, v35
	v_sub_nc_u32_e32 v32, v16, v5
	v_sub_nc_u32_e32 v44, v19, v18
	v_min_i32_e32 v30, v35, v31
	v_sub_nc_u32_e32 v48, v36, v42
	s_wait_alu 0xf1ff
	v_cndmask_b32_e64 v35, 0, v47, s1
	v_cmp_ge_i32_e64 s1, v36, v42
	v_add_nc_u32_e32 v25, v16, v36
	v_sub_nc_u32_e32 v43, v18, v6
	v_min_i32_e32 v31, v36, v32
	v_sub_nc_u32_e32 v49, v37, v44
	s_wait_alu 0xf1ff
	v_cndmask_b32_e64 v36, 0, v48, s1
	v_cmp_ge_i32_e64 s1, v37, v44
	v_cndmask_b32_e64 v20, 0, v20, s0
	v_add_nc_u32_e32 v26, v18, v37
	v_min_i32_e32 v32, v37, v43
	v_sub_nc_u32_e64 v7, v0, 64 clamp
	s_wait_alu 0xf1ff
	v_cndmask_b32_e64 v37, 0, v49, s1
	v_min_i32_e32 v8, 64, v0
	v_cmp_lt_i32_e64 s0, v20, v27
	v_cmp_lt_i32_e64 s1, v33, v28
	;; [unrolled: 1-line block ×6, first 2 shown]
	v_add_nc_u32_e32 v38, 64, v0
	s_mov_b32 s9, s13
	v_cmp_lt_i32_e32 vcc_lo, v7, v8
	s_wait_loadcnt 0x0
	v_add_nc_u16 v40, v39, 1
	s_branch .LBB91_2
.LBB91_1:                               ;   in Loop: Header=BB91_2 Depth=1
	s_wait_alu 0xfffe
	s_or_b32 exec_lo, exec_lo, s7
	v_sub_nc_u32_e32 v42, v38, v41
	v_cmp_le_i32_e64 s6, 64, v41
	s_add_co_i32 s9, s9, 1
	ds_load_u8 v39, v41
	ds_load_u8 v43, v42
	v_cmp_gt_i32_e64 s8, 0x80, v42
	s_wait_loadcnt_dscnt 0x0
	s_barrier_signal -1
	s_barrier_wait -1
	global_inv scope:SCOPE_SE
	ds_store_b8 v0, v40
	s_wait_loadcnt_dscnt 0x0
	s_barrier_signal -1
	s_barrier_wait -1
	global_inv scope:SCOPE_SE
	v_and_b32_e32 v44, 0xff, v39
	v_and_b32_e32 v45, 0xff, v43
	s_delay_alu instid0(VALU_DEP_1)
	v_cmp_lt_u16_e64 s7, v45, v44
	s_or_b32 s6, s6, s7
	s_wait_alu 0xfffe
	s_and_b32 s6, s8, s6
	s_cmp_eq_u32 s9, 10
	s_wait_alu 0xfffe
	v_cndmask_b32_e64 v41, v41, v42, s6
	v_cndmask_b32_e64 v39, v39, v43, s6
	ds_load_u8 v40, v41
	s_cbranch_scc1 .LBB91_30
.LBB91_2:                               ; =>This Loop Header: Depth=1
                                        ;     Child Loop BB91_4 Depth 2
                                        ;     Child Loop BB91_8 Depth 2
	;; [unrolled: 1-line block ×7, first 2 shown]
	s_barrier_signal -1
	s_barrier_wait -1
	global_inv scope:SCOPE_SE
	ds_store_b8 v0, v39
	v_mov_b32_e32 v39, v20
	s_wait_loadcnt_dscnt 0x0
	s_barrier_signal -1
	s_barrier_wait -1
	global_inv scope:SCOPE_SE
	s_and_saveexec_b32 s7, s0
	s_cbranch_execz .LBB91_6
; %bb.3:                                ;   in Loop: Header=BB91_2 Depth=1
	v_mov_b32_e32 v39, v20
	v_mov_b32_e32 v41, v27
	s_mov_b32 s8, 0
.LBB91_4:                               ;   Parent Loop BB91_2 Depth=1
                                        ; =>  This Inner Loop Header: Depth=2
	s_delay_alu instid0(VALU_DEP_1) | instskip(NEXT) | instid1(VALU_DEP_1)
	v_sub_nc_u32_e32 v42, v41, v39
	v_lshrrev_b32_e32 v42, 1, v42
	s_delay_alu instid0(VALU_DEP_1) | instskip(NEXT) | instid1(VALU_DEP_1)
	v_add_nc_u32_e32 v42, v42, v39
	v_add_nc_u32_e32 v43, v1, v42
	v_xad_u32 v44, v42, -1, v21
	v_add_nc_u32_e32 v45, 1, v42
	ds_load_u8 v43, v43
	ds_load_u8 v44, v44
	s_wait_dscnt 0x0
	v_cmp_lt_u16_e64 s6, v44, v43
	s_wait_alu 0xf1ff
	s_delay_alu instid0(VALU_DEP_1) | instskip(SKIP_1) | instid1(VALU_DEP_1)
	v_cndmask_b32_e64 v41, v41, v42, s6
	v_cndmask_b32_e64 v39, v45, v39, s6
	v_cmp_ge_i32_e64 s6, v39, v41
	s_or_b32 s8, s6, s8
	s_delay_alu instid0(SALU_CYCLE_1)
	s_and_not1_b32 exec_lo, exec_lo, s8
	s_cbranch_execnz .LBB91_4
; %bb.5:                                ;   in Loop: Header=BB91_2 Depth=1
	s_or_b32 exec_lo, exec_lo, s8
.LBB91_6:                               ;   in Loop: Header=BB91_2 Depth=1
	s_wait_alu 0xfffe
	s_or_b32 exec_lo, exec_lo, s7
	v_add_nc_u32_e32 v41, v39, v1
	v_sub_nc_u32_e32 v39, v21, v39
	ds_load_u8 v42, v41
	ds_load_u8 v43, v39
	s_wait_loadcnt_dscnt 0x0
	s_barrier_signal -1
	s_barrier_wait -1
	global_inv scope:SCOPE_SE
	ds_store_b8 v0, v40
	v_mov_b32_e32 v40, v33
	v_cmp_le_i32_e64 s6, v9, v41
	v_cmp_ge_i32_e64 s8, v9, v39
	s_wait_loadcnt_dscnt 0x0
	s_barrier_signal -1
	s_barrier_wait -1
	global_inv scope:SCOPE_SE
	v_and_b32_e32 v44, 0xff, v42
	v_and_b32_e32 v45, 0xff, v43
	s_delay_alu instid0(VALU_DEP_1)
	v_cmp_lt_u16_e64 s7, v45, v44
	s_or_b32 s6, s6, s7
	s_wait_alu 0xfffe
	s_and_b32 s6, s8, s6
	s_wait_alu 0xfffe
	v_cndmask_b32_e64 v39, v41, v39, s6
	v_cndmask_b32_e64 v42, v42, v43, s6
	ds_load_u8 v39, v39
	s_wait_loadcnt_dscnt 0x0
	s_barrier_signal -1
	s_barrier_wait -1
	global_inv scope:SCOPE_SE
	ds_store_b8 v0, v42
	s_wait_loadcnt_dscnt 0x0
	s_barrier_signal -1
	s_barrier_wait -1
	global_inv scope:SCOPE_SE
	s_and_saveexec_b32 s7, s1
	s_cbranch_execz .LBB91_10
; %bb.7:                                ;   in Loop: Header=BB91_2 Depth=1
	v_dual_mov_b32 v40, v33 :: v_dual_mov_b32 v41, v28
	s_mov_b32 s8, 0
.LBB91_8:                               ;   Parent Loop BB91_2 Depth=1
                                        ; =>  This Inner Loop Header: Depth=2
	s_delay_alu instid0(VALU_DEP_1) | instskip(NEXT) | instid1(VALU_DEP_1)
	v_sub_nc_u32_e32 v42, v41, v40
	v_lshrrev_b32_e32 v42, 1, v42
	s_delay_alu instid0(VALU_DEP_1) | instskip(NEXT) | instid1(VALU_DEP_1)
	v_add_nc_u32_e32 v42, v42, v40
	v_add_nc_u32_e32 v43, v2, v42
	v_xad_u32 v44, v42, -1, v22
	v_add_nc_u32_e32 v45, 1, v42
	ds_load_u8 v43, v43
	ds_load_u8 v44, v44
	s_wait_dscnt 0x0
	v_cmp_lt_u16_e64 s6, v44, v43
	s_wait_alu 0xf1ff
	s_delay_alu instid0(VALU_DEP_1) | instskip(SKIP_1) | instid1(VALU_DEP_1)
	v_cndmask_b32_e64 v41, v41, v42, s6
	v_cndmask_b32_e64 v40, v45, v40, s6
	v_cmp_ge_i32_e64 s6, v40, v41
	s_or_b32 s8, s6, s8
	s_delay_alu instid0(SALU_CYCLE_1)
	s_and_not1_b32 exec_lo, exec_lo, s8
	s_cbranch_execnz .LBB91_8
; %bb.9:                                ;   in Loop: Header=BB91_2 Depth=1
	s_or_b32 exec_lo, exec_lo, s8
.LBB91_10:                              ;   in Loop: Header=BB91_2 Depth=1
	s_wait_alu 0xfffe
	s_or_b32 exec_lo, exec_lo, s7
	v_add_nc_u32_e32 v41, v40, v2
	v_sub_nc_u32_e32 v40, v22, v40
	ds_load_u8 v42, v41
	ds_load_u8 v43, v40
	v_cmp_le_i32_e64 s6, v10, v41
	v_cmp_gt_i32_e64 s8, v11, v40
	s_wait_loadcnt_dscnt 0x0
	s_barrier_signal -1
	s_barrier_wait -1
	global_inv scope:SCOPE_SE
	ds_store_b8 v0, v39
	s_wait_loadcnt_dscnt 0x0
	s_barrier_signal -1
	s_barrier_wait -1
	global_inv scope:SCOPE_SE
	v_and_b32_e32 v44, 0xff, v42
	v_and_b32_e32 v45, 0xff, v43
	s_delay_alu instid0(VALU_DEP_1)
	v_cmp_lt_u16_e64 s7, v45, v44
	s_or_b32 s6, s6, s7
	s_wait_alu 0xfffe
	s_and_b32 s6, s8, s6
	s_wait_alu 0xfffe
	v_cndmask_b32_e64 v40, v41, v40, s6
	v_cndmask_b32_e64 v42, v42, v43, s6
	ds_load_u8 v39, v40
	v_mov_b32_e32 v40, v34
	s_wait_loadcnt_dscnt 0x0
	s_barrier_signal -1
	s_barrier_wait -1
	global_inv scope:SCOPE_SE
	ds_store_b8 v0, v42
	s_wait_loadcnt_dscnt 0x0
	s_barrier_signal -1
	s_barrier_wait -1
	global_inv scope:SCOPE_SE
	s_and_saveexec_b32 s7, s2
	s_cbranch_execz .LBB91_14
; %bb.11:                               ;   in Loop: Header=BB91_2 Depth=1
	v_dual_mov_b32 v40, v34 :: v_dual_mov_b32 v41, v29
	s_mov_b32 s8, 0
.LBB91_12:                              ;   Parent Loop BB91_2 Depth=1
                                        ; =>  This Inner Loop Header: Depth=2
	s_delay_alu instid0(VALU_DEP_1) | instskip(NEXT) | instid1(VALU_DEP_1)
	v_sub_nc_u32_e32 v42, v41, v40
	v_lshrrev_b32_e32 v42, 1, v42
	s_delay_alu instid0(VALU_DEP_1) | instskip(NEXT) | instid1(VALU_DEP_1)
	v_add_nc_u32_e32 v42, v42, v40
	v_add_nc_u32_e32 v43, v3, v42
	v_xad_u32 v44, v42, -1, v23
	v_add_nc_u32_e32 v45, 1, v42
	ds_load_u8 v43, v43
	ds_load_u8 v44, v44
	s_wait_dscnt 0x0
	v_cmp_lt_u16_e64 s6, v44, v43
	s_wait_alu 0xf1ff
	s_delay_alu instid0(VALU_DEP_1) | instskip(SKIP_1) | instid1(VALU_DEP_1)
	v_cndmask_b32_e64 v41, v41, v42, s6
	v_cndmask_b32_e64 v40, v45, v40, s6
	v_cmp_ge_i32_e64 s6, v40, v41
	s_or_b32 s8, s6, s8
	s_delay_alu instid0(SALU_CYCLE_1)
	s_and_not1_b32 exec_lo, exec_lo, s8
	s_cbranch_execnz .LBB91_12
; %bb.13:                               ;   in Loop: Header=BB91_2 Depth=1
	s_or_b32 exec_lo, exec_lo, s8
.LBB91_14:                              ;   in Loop: Header=BB91_2 Depth=1
	s_wait_alu 0xfffe
	s_or_b32 exec_lo, exec_lo, s7
	v_add_nc_u32_e32 v41, v40, v3
	v_sub_nc_u32_e32 v40, v23, v40
	ds_load_u8 v42, v41
	ds_load_u8 v43, v40
	v_cmp_le_i32_e64 s6, v12, v41
	v_cmp_gt_i32_e64 s8, v13, v40
	s_wait_loadcnt_dscnt 0x0
	s_barrier_signal -1
	s_barrier_wait -1
	global_inv scope:SCOPE_SE
	ds_store_b8 v0, v39
	s_wait_loadcnt_dscnt 0x0
	s_barrier_signal -1
	s_barrier_wait -1
	global_inv scope:SCOPE_SE
	v_and_b32_e32 v44, 0xff, v42
	v_and_b32_e32 v45, 0xff, v43
	s_delay_alu instid0(VALU_DEP_1)
	v_cmp_lt_u16_e64 s7, v45, v44
	s_or_b32 s6, s6, s7
	s_wait_alu 0xfffe
	s_and_b32 s6, s8, s6
	s_wait_alu 0xfffe
	v_cndmask_b32_e64 v40, v41, v40, s6
	v_cndmask_b32_e64 v42, v42, v43, s6
	ds_load_u8 v39, v40
	v_mov_b32_e32 v40, v35
	s_wait_loadcnt_dscnt 0x0
	s_barrier_signal -1
	s_barrier_wait -1
	global_inv scope:SCOPE_SE
	ds_store_b8 v0, v42
	s_wait_loadcnt_dscnt 0x0
	s_barrier_signal -1
	s_barrier_wait -1
	global_inv scope:SCOPE_SE
	s_and_saveexec_b32 s7, s3
	s_cbranch_execz .LBB91_18
; %bb.15:                               ;   in Loop: Header=BB91_2 Depth=1
	v_dual_mov_b32 v40, v35 :: v_dual_mov_b32 v41, v30
	s_mov_b32 s8, 0
.LBB91_16:                              ;   Parent Loop BB91_2 Depth=1
                                        ; =>  This Inner Loop Header: Depth=2
	s_delay_alu instid0(VALU_DEP_1) | instskip(NEXT) | instid1(VALU_DEP_1)
	v_sub_nc_u32_e32 v42, v41, v40
	v_lshrrev_b32_e32 v42, 1, v42
	s_delay_alu instid0(VALU_DEP_1) | instskip(NEXT) | instid1(VALU_DEP_1)
	v_add_nc_u32_e32 v42, v42, v40
	v_add_nc_u32_e32 v43, v4, v42
	v_xad_u32 v44, v42, -1, v24
	v_add_nc_u32_e32 v45, 1, v42
	ds_load_u8 v43, v43
	ds_load_u8 v44, v44
	s_wait_dscnt 0x0
	v_cmp_lt_u16_e64 s6, v44, v43
	s_wait_alu 0xf1ff
	s_delay_alu instid0(VALU_DEP_1) | instskip(SKIP_1) | instid1(VALU_DEP_1)
	v_cndmask_b32_e64 v41, v41, v42, s6
	v_cndmask_b32_e64 v40, v45, v40, s6
	v_cmp_ge_i32_e64 s6, v40, v41
	s_or_b32 s8, s6, s8
	s_delay_alu instid0(SALU_CYCLE_1)
	s_and_not1_b32 exec_lo, exec_lo, s8
	s_cbranch_execnz .LBB91_16
; %bb.17:                               ;   in Loop: Header=BB91_2 Depth=1
	s_or_b32 exec_lo, exec_lo, s8
.LBB91_18:                              ;   in Loop: Header=BB91_2 Depth=1
	s_wait_alu 0xfffe
	s_or_b32 exec_lo, exec_lo, s7
	v_add_nc_u32_e32 v41, v40, v4
	v_sub_nc_u32_e32 v40, v24, v40
	ds_load_u8 v42, v41
	ds_load_u8 v43, v40
	v_cmp_le_i32_e64 s6, v14, v41
	v_cmp_gt_i32_e64 s8, v15, v40
	s_wait_loadcnt_dscnt 0x0
	s_barrier_signal -1
	s_barrier_wait -1
	global_inv scope:SCOPE_SE
	ds_store_b8 v0, v39
	s_wait_loadcnt_dscnt 0x0
	s_barrier_signal -1
	s_barrier_wait -1
	global_inv scope:SCOPE_SE
	v_and_b32_e32 v44, 0xff, v42
	v_and_b32_e32 v45, 0xff, v43
	s_delay_alu instid0(VALU_DEP_1)
	v_cmp_lt_u16_e64 s7, v45, v44
	s_or_b32 s6, s6, s7
	s_wait_alu 0xfffe
	s_and_b32 s6, s8, s6
	s_wait_alu 0xfffe
	v_cndmask_b32_e64 v40, v41, v40, s6
	v_cndmask_b32_e64 v42, v42, v43, s6
	ds_load_u8 v39, v40
	v_mov_b32_e32 v40, v36
	s_wait_loadcnt_dscnt 0x0
	s_barrier_signal -1
	s_barrier_wait -1
	global_inv scope:SCOPE_SE
	ds_store_b8 v0, v42
	s_wait_loadcnt_dscnt 0x0
	s_barrier_signal -1
	s_barrier_wait -1
	global_inv scope:SCOPE_SE
	s_and_saveexec_b32 s7, s4
	s_cbranch_execz .LBB91_22
; %bb.19:                               ;   in Loop: Header=BB91_2 Depth=1
	v_dual_mov_b32 v40, v36 :: v_dual_mov_b32 v41, v31
	s_mov_b32 s8, 0
.LBB91_20:                              ;   Parent Loop BB91_2 Depth=1
                                        ; =>  This Inner Loop Header: Depth=2
	s_delay_alu instid0(VALU_DEP_1) | instskip(NEXT) | instid1(VALU_DEP_1)
	v_sub_nc_u32_e32 v42, v41, v40
	v_lshrrev_b32_e32 v42, 1, v42
	s_delay_alu instid0(VALU_DEP_1) | instskip(NEXT) | instid1(VALU_DEP_1)
	v_add_nc_u32_e32 v42, v42, v40
	v_add_nc_u32_e32 v43, v5, v42
	v_xad_u32 v44, v42, -1, v25
	v_add_nc_u32_e32 v45, 1, v42
	ds_load_u8 v43, v43
	ds_load_u8 v44, v44
	s_wait_dscnt 0x0
	v_cmp_lt_u16_e64 s6, v44, v43
	s_wait_alu 0xf1ff
	s_delay_alu instid0(VALU_DEP_1) | instskip(SKIP_1) | instid1(VALU_DEP_1)
	v_cndmask_b32_e64 v41, v41, v42, s6
	v_cndmask_b32_e64 v40, v45, v40, s6
	v_cmp_ge_i32_e64 s6, v40, v41
	s_or_b32 s8, s6, s8
	s_delay_alu instid0(SALU_CYCLE_1)
	s_and_not1_b32 exec_lo, exec_lo, s8
	s_cbranch_execnz .LBB91_20
; %bb.21:                               ;   in Loop: Header=BB91_2 Depth=1
	s_or_b32 exec_lo, exec_lo, s8
.LBB91_22:                              ;   in Loop: Header=BB91_2 Depth=1
	s_wait_alu 0xfffe
	s_or_b32 exec_lo, exec_lo, s7
	v_add_nc_u32_e32 v41, v40, v5
	v_sub_nc_u32_e32 v40, v25, v40
	ds_load_u8 v42, v41
	ds_load_u8 v43, v40
	v_cmp_le_i32_e64 s6, v16, v41
	v_cmp_gt_i32_e64 s8, v17, v40
	s_wait_loadcnt_dscnt 0x0
	s_barrier_signal -1
	s_barrier_wait -1
	global_inv scope:SCOPE_SE
	ds_store_b8 v0, v39
	s_wait_loadcnt_dscnt 0x0
	s_barrier_signal -1
	s_barrier_wait -1
	global_inv scope:SCOPE_SE
	v_and_b32_e32 v44, 0xff, v42
	v_and_b32_e32 v45, 0xff, v43
	s_delay_alu instid0(VALU_DEP_1)
	v_cmp_lt_u16_e64 s7, v45, v44
	s_or_b32 s6, s6, s7
	s_wait_alu 0xfffe
	s_and_b32 s6, s8, s6
	s_wait_alu 0xfffe
	v_cndmask_b32_e64 v40, v41, v40, s6
	v_cndmask_b32_e64 v42, v42, v43, s6
	ds_load_u8 v39, v40
	v_mov_b32_e32 v40, v37
	s_wait_loadcnt_dscnt 0x0
	s_barrier_signal -1
	s_barrier_wait -1
	global_inv scope:SCOPE_SE
	ds_store_b8 v0, v42
	s_wait_loadcnt_dscnt 0x0
	s_barrier_signal -1
	s_barrier_wait -1
	global_inv scope:SCOPE_SE
	s_and_saveexec_b32 s7, s5
	s_cbranch_execz .LBB91_26
; %bb.23:                               ;   in Loop: Header=BB91_2 Depth=1
	v_dual_mov_b32 v40, v37 :: v_dual_mov_b32 v41, v32
	s_mov_b32 s8, 0
.LBB91_24:                              ;   Parent Loop BB91_2 Depth=1
                                        ; =>  This Inner Loop Header: Depth=2
	s_delay_alu instid0(VALU_DEP_1) | instskip(NEXT) | instid1(VALU_DEP_1)
	v_sub_nc_u32_e32 v42, v41, v40
	v_lshrrev_b32_e32 v42, 1, v42
	s_delay_alu instid0(VALU_DEP_1) | instskip(NEXT) | instid1(VALU_DEP_1)
	v_add_nc_u32_e32 v42, v42, v40
	v_add_nc_u32_e32 v43, v6, v42
	v_xad_u32 v44, v42, -1, v26
	v_add_nc_u32_e32 v45, 1, v42
	ds_load_u8 v43, v43
	ds_load_u8 v44, v44
	s_wait_dscnt 0x0
	v_cmp_lt_u16_e64 s6, v44, v43
	s_wait_alu 0xf1ff
	s_delay_alu instid0(VALU_DEP_1) | instskip(SKIP_1) | instid1(VALU_DEP_1)
	v_cndmask_b32_e64 v41, v41, v42, s6
	v_cndmask_b32_e64 v40, v45, v40, s6
	v_cmp_ge_i32_e64 s6, v40, v41
	s_or_b32 s8, s6, s8
	s_delay_alu instid0(SALU_CYCLE_1)
	s_and_not1_b32 exec_lo, exec_lo, s8
	s_cbranch_execnz .LBB91_24
; %bb.25:                               ;   in Loop: Header=BB91_2 Depth=1
	s_or_b32 exec_lo, exec_lo, s8
.LBB91_26:                              ;   in Loop: Header=BB91_2 Depth=1
	s_wait_alu 0xfffe
	s_or_b32 exec_lo, exec_lo, s7
	v_add_nc_u32_e32 v41, v40, v6
	v_sub_nc_u32_e32 v40, v26, v40
	ds_load_u8 v42, v41
	ds_load_u8 v43, v40
	v_cmp_le_i32_e64 s6, v18, v41
	v_cmp_gt_i32_e64 s8, v19, v40
	s_wait_loadcnt_dscnt 0x0
	s_barrier_signal -1
	s_barrier_wait -1
	global_inv scope:SCOPE_SE
	ds_store_b8 v0, v39
	s_wait_loadcnt_dscnt 0x0
	s_barrier_signal -1
	s_barrier_wait -1
	global_inv scope:SCOPE_SE
	v_and_b32_e32 v44, 0xff, v42
	v_and_b32_e32 v45, 0xff, v43
	s_delay_alu instid0(VALU_DEP_1)
	v_cmp_lt_u16_e64 s7, v45, v44
	s_or_b32 s6, s6, s7
	s_wait_alu 0xfffe
	s_and_b32 s6, s8, s6
	s_wait_alu 0xfffe
	v_cndmask_b32_e64 v40, v41, v40, s6
	v_cndmask_b32_e64 v42, v42, v43, s6
	v_mov_b32_e32 v41, v7
	ds_load_u8 v40, v40
	s_wait_loadcnt_dscnt 0x0
	s_barrier_signal -1
	s_barrier_wait -1
	global_inv scope:SCOPE_SE
	ds_store_b8 v0, v42
	s_wait_loadcnt_dscnt 0x0
	s_barrier_signal -1
	s_barrier_wait -1
	global_inv scope:SCOPE_SE
	s_and_saveexec_b32 s7, vcc_lo
	s_cbranch_execz .LBB91_1
; %bb.27:                               ;   in Loop: Header=BB91_2 Depth=1
	v_mov_b32_e32 v41, v7
	v_mov_b32_e32 v39, v8
	s_mov_b32 s8, 0
.LBB91_28:                              ;   Parent Loop BB91_2 Depth=1
                                        ; =>  This Inner Loop Header: Depth=2
	s_delay_alu instid0(VALU_DEP_1) | instskip(NEXT) | instid1(VALU_DEP_1)
	v_sub_nc_u32_e32 v42, v39, v41
	v_lshrrev_b32_e32 v42, 1, v42
	s_delay_alu instid0(VALU_DEP_1) | instskip(NEXT) | instid1(VALU_DEP_1)
	v_add_nc_u32_e32 v42, v42, v41
	v_xad_u32 v43, v42, -1, v38
	v_add_nc_u32_e32 v45, 1, v42
	ds_load_u8 v44, v42
	ds_load_u8 v43, v43
	s_wait_dscnt 0x0
	v_cmp_lt_u16_e64 s6, v43, v44
	s_wait_alu 0xf1ff
	s_delay_alu instid0(VALU_DEP_1) | instskip(SKIP_1) | instid1(VALU_DEP_1)
	v_cndmask_b32_e64 v39, v39, v42, s6
	v_cndmask_b32_e64 v41, v45, v41, s6
	v_cmp_ge_i32_e64 s6, v41, v39
	s_or_b32 s8, s6, s8
	s_delay_alu instid0(SALU_CYCLE_1)
	s_and_not1_b32 exec_lo, exec_lo, s8
	s_cbranch_execnz .LBB91_28
; %bb.29:                               ;   in Loop: Header=BB91_2 Depth=1
	s_or_b32 exec_lo, exec_lo, s8
	s_branch .LBB91_1
.LBB91_30:
	s_add_nc_u64 s[0:1], s[10:11], s[12:13]
	s_wait_dscnt 0x0
	v_add_nc_u16 v2, v39, v40
	s_wait_alu 0xfffe
	v_add_co_u32 v0, s0, s0, v0
	s_wait_alu 0xf1ff
	v_add_co_ci_u32_e64 v1, null, s1, 0, s0
	global_store_b8 v[0:1], v2, off
	s_endpgm
	.section	.rodata,"a",@progbits
	.p2align	6, 0x0
	.amdhsa_kernel _Z17sort_pairs_kernelIhLj128ELj1EN10test_utils4lessELj10EEvPKT_PS2_T2_
		.amdhsa_group_segment_fixed_size 129
		.amdhsa_private_segment_fixed_size 0
		.amdhsa_kernarg_size 20
		.amdhsa_user_sgpr_count 2
		.amdhsa_user_sgpr_dispatch_ptr 0
		.amdhsa_user_sgpr_queue_ptr 0
		.amdhsa_user_sgpr_kernarg_segment_ptr 1
		.amdhsa_user_sgpr_dispatch_id 0
		.amdhsa_user_sgpr_private_segment_size 0
		.amdhsa_wavefront_size32 1
		.amdhsa_uses_dynamic_stack 0
		.amdhsa_enable_private_segment 0
		.amdhsa_system_sgpr_workgroup_id_x 1
		.amdhsa_system_sgpr_workgroup_id_y 0
		.amdhsa_system_sgpr_workgroup_id_z 0
		.amdhsa_system_sgpr_workgroup_info 0
		.amdhsa_system_vgpr_workitem_id 0
		.amdhsa_next_free_vgpr 50
		.amdhsa_next_free_sgpr 14
		.amdhsa_reserve_vcc 1
		.amdhsa_float_round_mode_32 0
		.amdhsa_float_round_mode_16_64 0
		.amdhsa_float_denorm_mode_32 3
		.amdhsa_float_denorm_mode_16_64 3
		.amdhsa_fp16_overflow 0
		.amdhsa_workgroup_processor_mode 1
		.amdhsa_memory_ordered 1
		.amdhsa_forward_progress 1
		.amdhsa_inst_pref_size 25
		.amdhsa_round_robin_scheduling 0
		.amdhsa_exception_fp_ieee_invalid_op 0
		.amdhsa_exception_fp_denorm_src 0
		.amdhsa_exception_fp_ieee_div_zero 0
		.amdhsa_exception_fp_ieee_overflow 0
		.amdhsa_exception_fp_ieee_underflow 0
		.amdhsa_exception_fp_ieee_inexact 0
		.amdhsa_exception_int_div_zero 0
	.end_amdhsa_kernel
	.section	.text._Z17sort_pairs_kernelIhLj128ELj1EN10test_utils4lessELj10EEvPKT_PS2_T2_,"axG",@progbits,_Z17sort_pairs_kernelIhLj128ELj1EN10test_utils4lessELj10EEvPKT_PS2_T2_,comdat
.Lfunc_end91:
	.size	_Z17sort_pairs_kernelIhLj128ELj1EN10test_utils4lessELj10EEvPKT_PS2_T2_, .Lfunc_end91-_Z17sort_pairs_kernelIhLj128ELj1EN10test_utils4lessELj10EEvPKT_PS2_T2_
                                        ; -- End function
	.set _Z17sort_pairs_kernelIhLj128ELj1EN10test_utils4lessELj10EEvPKT_PS2_T2_.num_vgpr, 50
	.set _Z17sort_pairs_kernelIhLj128ELj1EN10test_utils4lessELj10EEvPKT_PS2_T2_.num_agpr, 0
	.set _Z17sort_pairs_kernelIhLj128ELj1EN10test_utils4lessELj10EEvPKT_PS2_T2_.numbered_sgpr, 14
	.set _Z17sort_pairs_kernelIhLj128ELj1EN10test_utils4lessELj10EEvPKT_PS2_T2_.num_named_barrier, 0
	.set _Z17sort_pairs_kernelIhLj128ELj1EN10test_utils4lessELj10EEvPKT_PS2_T2_.private_seg_size, 0
	.set _Z17sort_pairs_kernelIhLj128ELj1EN10test_utils4lessELj10EEvPKT_PS2_T2_.uses_vcc, 1
	.set _Z17sort_pairs_kernelIhLj128ELj1EN10test_utils4lessELj10EEvPKT_PS2_T2_.uses_flat_scratch, 0
	.set _Z17sort_pairs_kernelIhLj128ELj1EN10test_utils4lessELj10EEvPKT_PS2_T2_.has_dyn_sized_stack, 0
	.set _Z17sort_pairs_kernelIhLj128ELj1EN10test_utils4lessELj10EEvPKT_PS2_T2_.has_recursion, 0
	.set _Z17sort_pairs_kernelIhLj128ELj1EN10test_utils4lessELj10EEvPKT_PS2_T2_.has_indirect_call, 0
	.section	.AMDGPU.csdata,"",@progbits
; Kernel info:
; codeLenInByte = 3104
; TotalNumSgprs: 16
; NumVgprs: 50
; ScratchSize: 0
; MemoryBound: 0
; FloatMode: 240
; IeeeMode: 1
; LDSByteSize: 129 bytes/workgroup (compile time only)
; SGPRBlocks: 0
; VGPRBlocks: 6
; NumSGPRsForWavesPerEU: 16
; NumVGPRsForWavesPerEU: 50
; Occupancy: 16
; WaveLimiterHint : 0
; COMPUTE_PGM_RSRC2:SCRATCH_EN: 0
; COMPUTE_PGM_RSRC2:USER_SGPR: 2
; COMPUTE_PGM_RSRC2:TRAP_HANDLER: 0
; COMPUTE_PGM_RSRC2:TGID_X_EN: 1
; COMPUTE_PGM_RSRC2:TGID_Y_EN: 0
; COMPUTE_PGM_RSRC2:TGID_Z_EN: 0
; COMPUTE_PGM_RSRC2:TIDIG_COMP_CNT: 0
	.section	.text._Z16sort_keys_kernelIhLj128ELj2EN10test_utils4lessELj10EEvPKT_PS2_T2_,"axG",@progbits,_Z16sort_keys_kernelIhLj128ELj2EN10test_utils4lessELj10EEvPKT_PS2_T2_,comdat
	.protected	_Z16sort_keys_kernelIhLj128ELj2EN10test_utils4lessELj10EEvPKT_PS2_T2_ ; -- Begin function _Z16sort_keys_kernelIhLj128ELj2EN10test_utils4lessELj10EEvPKT_PS2_T2_
	.globl	_Z16sort_keys_kernelIhLj128ELj2EN10test_utils4lessELj10EEvPKT_PS2_T2_
	.p2align	8
	.type	_Z16sort_keys_kernelIhLj128ELj2EN10test_utils4lessELj10EEvPKT_PS2_T2_,@function
_Z16sort_keys_kernelIhLj128ELj2EN10test_utils4lessELj10EEvPKT_PS2_T2_: ; @_Z16sort_keys_kernelIhLj128ELj2EN10test_utils4lessELj10EEvPKT_PS2_T2_
; %bb.0:
	s_load_b128 s[8:11], s[0:1], 0x0
	s_lshl_b32 s12, ttmp9, 8
	s_mov_b32 s13, 0
	v_lshlrev_b32_e32 v1, 1, v0
	s_mov_b32 s14, s13
	s_delay_alu instid0(VALU_DEP_1) | instskip(SKIP_1) | instid1(VALU_DEP_2)
	v_and_b32_e32 v2, 0xfc, v1
	v_and_b32_e32 v13, 2, v1
	v_or_b32_e32 v3, 2, v2
	v_add_nc_u32_e32 v4, 4, v2
	s_delay_alu instid0(VALU_DEP_2) | instskip(NEXT) | instid1(VALU_DEP_2)
	v_sub_nc_u32_e32 v8, v3, v2
	v_sub_nc_u32_e32 v6, v4, v3
	s_wait_kmcnt 0x0
	s_add_nc_u64 s[0:1], s[8:9], s[12:13]
	s_clause 0x1
	global_load_u8 v42, v0, s[0:1] offset:128
	global_load_u8 v41, v0, s[0:1]
	v_sub_nc_u32_e32 v7, v13, v6
	v_cmp_ge_i32_e32 vcc_lo, v13, v6
	s_delay_alu instid0(VALU_DEP_2)
	v_dual_cndmask_b32 v6, 0, v7 :: v_dual_and_b32 v5, 0xf8, v1
	v_min_i32_e32 v7, v13, v8
	v_and_b32_e32 v10, 0xf0, v1
	v_and_b32_e32 v21, 6, v1
	;; [unrolled: 1-line block ×3, first 2 shown]
	v_or_b32_e32 v8, 4, v5
	v_add_nc_u32_e32 v9, 8, v5
	v_or_b32_e32 v11, 8, v10
	v_add_nc_u32_e32 v12, 16, v10
	v_and_b32_e32 v22, 14, v1
	v_add_nc_u32_e32 v18, 32, v14
	v_sub_nc_u32_e32 v15, v9, v8
	v_sub_nc_u32_e32 v23, v11, v10
	;; [unrolled: 1-line block ×3, first 2 shown]
	v_and_b32_e32 v31, 30, v1
	v_and_b32_e32 v24, 0x80, v1
	v_sub_nc_u32_e32 v17, v21, v15
	v_cmp_ge_i32_e64 s0, v21, v15
	v_sub_nc_u32_e32 v20, v22, v19
	v_and_b32_e32 v38, 62, v1
	v_or_b32_e32 v29, 64, v24
	v_add_nc_u32_e32 v30, 0x80, v24
	v_cndmask_b32_e64 v15, 0, v17, s0
	v_or_b32_e32 v17, 16, v14
	v_cmp_ge_i32_e64 s0, v22, v19
	v_and_b32_e32 v39, 0x7e, v1
	v_sub_nc_u32_e32 v34, v30, v29
	v_sub_nc_u32_e32 v16, v8, v5
	;; [unrolled: 1-line block ×3, first 2 shown]
	s_wait_alu 0xf1ff
	v_cndmask_b32_e64 v19, 0, v20, s0
	v_min_i32_e32 v20, v22, v23
	v_and_b32_e32 v23, 0xc0, v1
	v_sub_nc_u32_e32 v28, v17, v14
	v_sub_nc_u32_e32 v26, v31, v25
	v_cmp_ge_i32_e64 s2, v31, v25
	v_sub_nc_u32_e32 v36, v29, v24
	v_add_nc_u32_e32 v27, 64, v23
	v_sub_nc_u32_e32 v37, v39, v34
	v_min_i32_e32 v16, v21, v16
	v_cndmask_b32_e64 v25, 0, v26, s2
	v_or_b32_e32 v26, 32, v23
	v_min_i32_e32 v28, v31, v28
	v_add_nc_u32_e32 v13, v3, v13
	v_cmp_lt_i32_e64 s0, v15, v16
	v_add_nc_u32_e32 v21, v8, v21
	v_sub_nc_u32_e32 v32, v27, v26
	v_sub_nc_u32_e32 v35, v26, v23
	v_cmp_lt_i32_e64 s1, v19, v20
	v_add_nc_u32_e32 v22, v11, v22
	v_cmp_lt_i32_e64 s2, v25, v28
	v_sub_nc_u32_e32 v33, v38, v32
	v_cmp_ge_i32_e64 s3, v38, v32
	v_add_nc_u32_e32 v31, v17, v31
	v_add_nc_u32_e32 v40, 0x80, v1
	v_cmp_lt_i32_e32 vcc_lo, v6, v7
	s_wait_alu 0xf1ff
	v_cndmask_b32_e64 v32, 0, v33, s3
	v_cmp_ge_i32_e64 s3, v39, v34
	v_min_i32_e32 v33, v38, v35
	v_min_i32_e32 v35, v39, v36
	v_subrev_nc_u32_e64 v36, 0x80, v1 clamp
	v_add_nc_u32_e32 v38, v26, v38
	s_wait_alu 0xf1ff
	v_cndmask_b32_e64 v34, 0, v37, s3
	v_min_i32_e32 v37, 0x80, v1
	v_cmp_lt_i32_e64 s3, v32, v33
	v_add_nc_u32_e32 v39, v29, v39
	s_delay_alu instid0(VALU_DEP_4) | instskip(NEXT) | instid1(VALU_DEP_4)
	v_cmp_lt_i32_e64 s4, v34, v35
	v_cmp_lt_i32_e64 s5, v36, v37
	s_branch .LBB92_2
.LBB92_1:                               ;   in Loop: Header=BB92_2 Depth=1
	s_or_b32 exec_lo, exec_lo, s7
	s_wait_dscnt 0x0
	v_and_b32_e32 v41, 0xff, v45
	v_and_b32_e32 v48, 0xff, v47
	v_cmp_le_i32_e64 s7, 0x80, v46
	v_cmp_gt_i32_e64 s9, 0x100, v44
	s_add_co_i32 s14, s14, 1
	v_cmp_lt_u16_e64 s8, v48, v41
	v_cndmask_b32_e64 v41, v42, v43, s6
	s_or_b32 s7, s7, s8
	s_wait_alu 0xfffe
	s_and_b32 s6, s9, s7
	s_cmp_eq_u32 s14, 10
	s_wait_alu 0xfffe
	v_cndmask_b32_e64 v42, v45, v47, s6
	s_cbranch_scc1 .LBB92_58
.LBB92_2:                               ; =>This Loop Header: Depth=1
                                        ;     Child Loop BB92_4 Depth 2
                                        ;     Child Loop BB92_12 Depth 2
	;; [unrolled: 1-line block ×7, first 2 shown]
	s_wait_loadcnt 0x0
	v_and_b32_e32 v43, 0xff, v41
	s_delay_alu instid0(VALU_DEP_2) | instskip(SKIP_3) | instid1(VALU_DEP_3)
	v_and_b32_e32 v44, 0xff, v42
	v_perm_b32 v45, v42, v41, 0xc0c0004
	v_perm_b32 v41, v41, v42, 0xc0c0004
	s_barrier_signal -1
	v_cmp_lt_u16_e64 s6, v44, v43
	s_barrier_wait -1
	global_inv scope:SCOPE_SE
	s_wait_alu 0xf1ff
	v_cndmask_b32_e64 v42, v41, v45, s6
	v_mov_b32_e32 v41, v6
	s_delay_alu instid0(VALU_DEP_2)
	v_lshrrev_b16 v43, 8, v42
	ds_store_b8 v1, v42
	ds_store_b8 v1, v43 offset:1
	s_wait_loadcnt_dscnt 0x0
	s_barrier_signal -1
	s_barrier_wait -1
	global_inv scope:SCOPE_SE
	s_and_saveexec_b32 s7, vcc_lo
	s_cbranch_execz .LBB92_6
; %bb.3:                                ;   in Loop: Header=BB92_2 Depth=1
	v_dual_mov_b32 v41, v6 :: v_dual_mov_b32 v42, v7
	s_mov_b32 s8, 0
.LBB92_4:                               ;   Parent Loop BB92_2 Depth=1
                                        ; =>  This Inner Loop Header: Depth=2
	s_delay_alu instid0(VALU_DEP_1) | instskip(NEXT) | instid1(VALU_DEP_1)
	v_sub_nc_u32_e32 v43, v42, v41
	v_lshrrev_b32_e32 v43, 1, v43
	s_delay_alu instid0(VALU_DEP_1) | instskip(NEXT) | instid1(VALU_DEP_1)
	v_add_nc_u32_e32 v43, v43, v41
	v_add_nc_u32_e32 v44, v2, v43
	v_xad_u32 v45, v43, -1, v13
	v_add_nc_u32_e32 v46, 1, v43
	ds_load_u8 v44, v44
	ds_load_u8 v45, v45
	s_wait_dscnt 0x0
	v_cmp_lt_u16_e64 s6, v45, v44
	s_wait_alu 0xf1ff
	s_delay_alu instid0(VALU_DEP_1) | instskip(SKIP_1) | instid1(VALU_DEP_1)
	v_cndmask_b32_e64 v42, v42, v43, s6
	v_cndmask_b32_e64 v41, v46, v41, s6
	v_cmp_ge_i32_e64 s6, v41, v42
	s_or_b32 s8, s6, s8
	s_delay_alu instid0(SALU_CYCLE_1)
	s_and_not1_b32 exec_lo, exec_lo, s8
	s_cbranch_execnz .LBB92_4
; %bb.5:                                ;   in Loop: Header=BB92_2 Depth=1
	s_or_b32 exec_lo, exec_lo, s8
.LBB92_6:                               ;   in Loop: Header=BB92_2 Depth=1
	s_wait_alu 0xfffe
	s_or_b32 exec_lo, exec_lo, s7
	v_add_nc_u32_e32 v43, v41, v2
	v_sub_nc_u32_e32 v44, v13, v41
	ds_load_u8 v41, v43
	ds_load_u8 v42, v44
	v_cmp_le_i32_e64 s6, v3, v43
	v_cmp_gt_i32_e64 s8, v4, v44
	s_wait_dscnt 0x1
	v_and_b32_e32 v45, 0xff, v41
	s_wait_dscnt 0x0
	v_and_b32_e32 v46, 0xff, v42
	s_delay_alu instid0(VALU_DEP_1)
	v_cmp_lt_u16_e64 s7, v46, v45
                                        ; implicit-def: $vgpr45
	s_or_b32 s6, s6, s7
	s_wait_alu 0xfffe
	s_and_b32 s6, s8, s6
	s_wait_alu 0xfffe
	s_xor_b32 s7, s6, -1
	s_wait_alu 0xfffe
	s_and_saveexec_b32 s8, s7
	s_delay_alu instid0(SALU_CYCLE_1)
	s_xor_b32 s7, exec_lo, s8
; %bb.7:                                ;   in Loop: Header=BB92_2 Depth=1
	ds_load_u8 v45, v43 offset:1
; %bb.8:                                ;   in Loop: Header=BB92_2 Depth=1
	s_wait_alu 0xfffe
	s_or_saveexec_b32 s7, s7
	v_mov_b32_e32 v46, v42
	s_wait_alu 0xfffe
	s_xor_b32 exec_lo, exec_lo, s7
	s_cbranch_execz .LBB92_10
; %bb.9:                                ;   in Loop: Header=BB92_2 Depth=1
	ds_load_u8 v46, v44 offset:1
	s_wait_dscnt 0x1
	v_mov_b32_e32 v45, v41
.LBB92_10:                              ;   in Loop: Header=BB92_2 Depth=1
	s_or_b32 exec_lo, exec_lo, s7
	v_add_nc_u32_e32 v47, 1, v43
	v_add_nc_u32_e32 v48, 1, v44
	s_wait_dscnt 0x0
	v_and_b32_e32 v49, 0xff, v45
	v_and_b32_e32 v50, 0xff, v46
	v_cndmask_b32_e64 v42, v41, v42, s6
	v_cndmask_b32_e64 v43, v47, v43, s6
	v_mov_b32_e32 v41, v15
	v_cndmask_b32_e64 v44, v44, v48, s6
	v_cmp_lt_u16_e64 s7, v50, v49
	s_wait_loadcnt 0x0
	v_cmp_ge_i32_e64 s8, v43, v3
	s_barrier_signal -1
	v_cmp_lt_i32_e64 s9, v44, v4
	s_barrier_wait -1
	global_inv scope:SCOPE_SE
	s_or_b32 s6, s8, s7
	s_wait_alu 0xfffe
	s_and_b32 s6, s9, s6
	s_wait_alu 0xfffe
	v_cndmask_b32_e64 v43, v45, v46, s6
	ds_store_b8 v1, v42
	ds_store_b8 v1, v43 offset:1
	s_wait_loadcnt_dscnt 0x0
	s_barrier_signal -1
	s_barrier_wait -1
	global_inv scope:SCOPE_SE
	s_and_saveexec_b32 s7, s0
	s_cbranch_execz .LBB92_14
; %bb.11:                               ;   in Loop: Header=BB92_2 Depth=1
	v_dual_mov_b32 v41, v15 :: v_dual_mov_b32 v42, v16
	s_mov_b32 s8, 0
.LBB92_12:                              ;   Parent Loop BB92_2 Depth=1
                                        ; =>  This Inner Loop Header: Depth=2
	s_delay_alu instid0(VALU_DEP_1) | instskip(NEXT) | instid1(VALU_DEP_1)
	v_sub_nc_u32_e32 v43, v42, v41
	v_lshrrev_b32_e32 v43, 1, v43
	s_delay_alu instid0(VALU_DEP_1) | instskip(NEXT) | instid1(VALU_DEP_1)
	v_add_nc_u32_e32 v43, v43, v41
	v_add_nc_u32_e32 v44, v5, v43
	v_xad_u32 v45, v43, -1, v21
	v_add_nc_u32_e32 v46, 1, v43
	ds_load_u8 v44, v44
	ds_load_u8 v45, v45
	s_wait_dscnt 0x0
	v_cmp_lt_u16_e64 s6, v45, v44
	s_wait_alu 0xf1ff
	s_delay_alu instid0(VALU_DEP_1) | instskip(SKIP_1) | instid1(VALU_DEP_1)
	v_cndmask_b32_e64 v42, v42, v43, s6
	v_cndmask_b32_e64 v41, v46, v41, s6
	v_cmp_ge_i32_e64 s6, v41, v42
	s_or_b32 s8, s6, s8
	s_delay_alu instid0(SALU_CYCLE_1)
	s_and_not1_b32 exec_lo, exec_lo, s8
	s_cbranch_execnz .LBB92_12
; %bb.13:                               ;   in Loop: Header=BB92_2 Depth=1
	s_or_b32 exec_lo, exec_lo, s8
.LBB92_14:                              ;   in Loop: Header=BB92_2 Depth=1
	s_wait_alu 0xfffe
	s_or_b32 exec_lo, exec_lo, s7
	v_add_nc_u32_e32 v43, v41, v5
	v_sub_nc_u32_e32 v44, v21, v41
	ds_load_u8 v41, v43
	ds_load_u8 v42, v44
	v_cmp_le_i32_e64 s6, v8, v43
	v_cmp_gt_i32_e64 s8, v9, v44
	s_wait_dscnt 0x1
	v_and_b32_e32 v45, 0xff, v41
	s_wait_dscnt 0x0
	v_and_b32_e32 v46, 0xff, v42
	s_delay_alu instid0(VALU_DEP_1)
	v_cmp_lt_u16_e64 s7, v46, v45
                                        ; implicit-def: $vgpr45
	s_or_b32 s6, s6, s7
	s_wait_alu 0xfffe
	s_and_b32 s6, s8, s6
	s_wait_alu 0xfffe
	s_xor_b32 s7, s6, -1
	s_wait_alu 0xfffe
	s_and_saveexec_b32 s8, s7
	s_delay_alu instid0(SALU_CYCLE_1)
	s_xor_b32 s7, exec_lo, s8
; %bb.15:                               ;   in Loop: Header=BB92_2 Depth=1
	ds_load_u8 v45, v43 offset:1
; %bb.16:                               ;   in Loop: Header=BB92_2 Depth=1
	s_wait_alu 0xfffe
	s_or_saveexec_b32 s7, s7
	v_mov_b32_e32 v46, v42
	s_wait_alu 0xfffe
	s_xor_b32 exec_lo, exec_lo, s7
	s_cbranch_execz .LBB92_18
; %bb.17:                               ;   in Loop: Header=BB92_2 Depth=1
	ds_load_u8 v46, v44 offset:1
	s_wait_dscnt 0x1
	v_mov_b32_e32 v45, v41
.LBB92_18:                              ;   in Loop: Header=BB92_2 Depth=1
	s_or_b32 exec_lo, exec_lo, s7
	v_add_nc_u32_e32 v47, 1, v43
	v_add_nc_u32_e32 v48, 1, v44
	s_wait_dscnt 0x0
	v_and_b32_e32 v49, 0xff, v45
	v_and_b32_e32 v50, 0xff, v46
	v_cndmask_b32_e64 v42, v41, v42, s6
	v_cndmask_b32_e64 v43, v47, v43, s6
	v_mov_b32_e32 v41, v19
	v_cndmask_b32_e64 v44, v44, v48, s6
	v_cmp_lt_u16_e64 s7, v50, v49
	s_wait_loadcnt 0x0
	v_cmp_ge_i32_e64 s8, v43, v8
	s_barrier_signal -1
	v_cmp_lt_i32_e64 s9, v44, v9
	s_barrier_wait -1
	global_inv scope:SCOPE_SE
	s_or_b32 s6, s8, s7
	s_wait_alu 0xfffe
	s_and_b32 s6, s9, s6
	s_wait_alu 0xfffe
	v_cndmask_b32_e64 v43, v45, v46, s6
	ds_store_b8 v1, v42
	ds_store_b8 v1, v43 offset:1
	s_wait_loadcnt_dscnt 0x0
	s_barrier_signal -1
	s_barrier_wait -1
	global_inv scope:SCOPE_SE
	s_and_saveexec_b32 s7, s1
	s_cbranch_execz .LBB92_22
; %bb.19:                               ;   in Loop: Header=BB92_2 Depth=1
	v_dual_mov_b32 v41, v19 :: v_dual_mov_b32 v42, v20
	s_mov_b32 s8, 0
.LBB92_20:                              ;   Parent Loop BB92_2 Depth=1
                                        ; =>  This Inner Loop Header: Depth=2
	s_delay_alu instid0(VALU_DEP_1) | instskip(NEXT) | instid1(VALU_DEP_1)
	v_sub_nc_u32_e32 v43, v42, v41
	v_lshrrev_b32_e32 v43, 1, v43
	s_delay_alu instid0(VALU_DEP_1) | instskip(NEXT) | instid1(VALU_DEP_1)
	v_add_nc_u32_e32 v43, v43, v41
	v_add_nc_u32_e32 v44, v10, v43
	v_xad_u32 v45, v43, -1, v22
	v_add_nc_u32_e32 v46, 1, v43
	ds_load_u8 v44, v44
	ds_load_u8 v45, v45
	s_wait_dscnt 0x0
	v_cmp_lt_u16_e64 s6, v45, v44
	s_wait_alu 0xf1ff
	s_delay_alu instid0(VALU_DEP_1) | instskip(SKIP_1) | instid1(VALU_DEP_1)
	v_cndmask_b32_e64 v42, v42, v43, s6
	v_cndmask_b32_e64 v41, v46, v41, s6
	v_cmp_ge_i32_e64 s6, v41, v42
	s_or_b32 s8, s6, s8
	s_delay_alu instid0(SALU_CYCLE_1)
	s_and_not1_b32 exec_lo, exec_lo, s8
	s_cbranch_execnz .LBB92_20
; %bb.21:                               ;   in Loop: Header=BB92_2 Depth=1
	s_or_b32 exec_lo, exec_lo, s8
.LBB92_22:                              ;   in Loop: Header=BB92_2 Depth=1
	s_wait_alu 0xfffe
	s_or_b32 exec_lo, exec_lo, s7
	v_add_nc_u32_e32 v43, v41, v10
	v_sub_nc_u32_e32 v44, v22, v41
	ds_load_u8 v41, v43
	ds_load_u8 v42, v44
	v_cmp_le_i32_e64 s6, v11, v43
	v_cmp_gt_i32_e64 s8, v12, v44
	s_wait_dscnt 0x1
	v_and_b32_e32 v45, 0xff, v41
	s_wait_dscnt 0x0
	v_and_b32_e32 v46, 0xff, v42
	s_delay_alu instid0(VALU_DEP_1)
	v_cmp_lt_u16_e64 s7, v46, v45
                                        ; implicit-def: $vgpr45
	s_or_b32 s6, s6, s7
	s_wait_alu 0xfffe
	s_and_b32 s6, s8, s6
	s_wait_alu 0xfffe
	s_xor_b32 s7, s6, -1
	s_wait_alu 0xfffe
	s_and_saveexec_b32 s8, s7
	s_delay_alu instid0(SALU_CYCLE_1)
	s_xor_b32 s7, exec_lo, s8
; %bb.23:                               ;   in Loop: Header=BB92_2 Depth=1
	ds_load_u8 v45, v43 offset:1
; %bb.24:                               ;   in Loop: Header=BB92_2 Depth=1
	s_wait_alu 0xfffe
	s_or_saveexec_b32 s7, s7
	v_mov_b32_e32 v46, v42
	s_wait_alu 0xfffe
	s_xor_b32 exec_lo, exec_lo, s7
	s_cbranch_execz .LBB92_26
; %bb.25:                               ;   in Loop: Header=BB92_2 Depth=1
	ds_load_u8 v46, v44 offset:1
	s_wait_dscnt 0x1
	v_mov_b32_e32 v45, v41
.LBB92_26:                              ;   in Loop: Header=BB92_2 Depth=1
	s_or_b32 exec_lo, exec_lo, s7
	v_add_nc_u32_e32 v47, 1, v43
	v_add_nc_u32_e32 v48, 1, v44
	s_wait_dscnt 0x0
	v_and_b32_e32 v49, 0xff, v45
	v_and_b32_e32 v50, 0xff, v46
	v_cndmask_b32_e64 v42, v41, v42, s6
	v_cndmask_b32_e64 v43, v47, v43, s6
	v_mov_b32_e32 v41, v25
	v_cndmask_b32_e64 v44, v44, v48, s6
	v_cmp_lt_u16_e64 s7, v50, v49
	s_wait_loadcnt 0x0
	v_cmp_ge_i32_e64 s8, v43, v11
	s_barrier_signal -1
	v_cmp_lt_i32_e64 s9, v44, v12
	s_barrier_wait -1
	global_inv scope:SCOPE_SE
	s_or_b32 s6, s8, s7
	s_wait_alu 0xfffe
	s_and_b32 s6, s9, s6
	s_wait_alu 0xfffe
	v_cndmask_b32_e64 v43, v45, v46, s6
	ds_store_b8 v1, v42
	ds_store_b8 v1, v43 offset:1
	s_wait_loadcnt_dscnt 0x0
	s_barrier_signal -1
	s_barrier_wait -1
	global_inv scope:SCOPE_SE
	s_and_saveexec_b32 s7, s2
	s_cbranch_execz .LBB92_30
; %bb.27:                               ;   in Loop: Header=BB92_2 Depth=1
	v_dual_mov_b32 v41, v25 :: v_dual_mov_b32 v42, v28
	s_mov_b32 s8, 0
.LBB92_28:                              ;   Parent Loop BB92_2 Depth=1
                                        ; =>  This Inner Loop Header: Depth=2
	s_delay_alu instid0(VALU_DEP_1) | instskip(NEXT) | instid1(VALU_DEP_1)
	v_sub_nc_u32_e32 v43, v42, v41
	v_lshrrev_b32_e32 v43, 1, v43
	s_delay_alu instid0(VALU_DEP_1) | instskip(NEXT) | instid1(VALU_DEP_1)
	v_add_nc_u32_e32 v43, v43, v41
	v_add_nc_u32_e32 v44, v14, v43
	v_xad_u32 v45, v43, -1, v31
	v_add_nc_u32_e32 v46, 1, v43
	ds_load_u8 v44, v44
	ds_load_u8 v45, v45
	s_wait_dscnt 0x0
	v_cmp_lt_u16_e64 s6, v45, v44
	s_wait_alu 0xf1ff
	s_delay_alu instid0(VALU_DEP_1) | instskip(SKIP_1) | instid1(VALU_DEP_1)
	v_cndmask_b32_e64 v42, v42, v43, s6
	v_cndmask_b32_e64 v41, v46, v41, s6
	v_cmp_ge_i32_e64 s6, v41, v42
	s_or_b32 s8, s6, s8
	s_delay_alu instid0(SALU_CYCLE_1)
	s_and_not1_b32 exec_lo, exec_lo, s8
	s_cbranch_execnz .LBB92_28
; %bb.29:                               ;   in Loop: Header=BB92_2 Depth=1
	s_or_b32 exec_lo, exec_lo, s8
.LBB92_30:                              ;   in Loop: Header=BB92_2 Depth=1
	s_wait_alu 0xfffe
	s_or_b32 exec_lo, exec_lo, s7
	v_add_nc_u32_e32 v43, v41, v14
	v_sub_nc_u32_e32 v44, v31, v41
	ds_load_u8 v41, v43
	ds_load_u8 v42, v44
	v_cmp_le_i32_e64 s6, v17, v43
	v_cmp_gt_i32_e64 s8, v18, v44
	s_wait_dscnt 0x1
	v_and_b32_e32 v45, 0xff, v41
	s_wait_dscnt 0x0
	v_and_b32_e32 v46, 0xff, v42
	s_delay_alu instid0(VALU_DEP_1)
	v_cmp_lt_u16_e64 s7, v46, v45
                                        ; implicit-def: $vgpr45
	s_or_b32 s6, s6, s7
	s_wait_alu 0xfffe
	s_and_b32 s6, s8, s6
	s_wait_alu 0xfffe
	s_xor_b32 s7, s6, -1
	s_wait_alu 0xfffe
	s_and_saveexec_b32 s8, s7
	s_delay_alu instid0(SALU_CYCLE_1)
	s_xor_b32 s7, exec_lo, s8
; %bb.31:                               ;   in Loop: Header=BB92_2 Depth=1
	ds_load_u8 v45, v43 offset:1
; %bb.32:                               ;   in Loop: Header=BB92_2 Depth=1
	s_wait_alu 0xfffe
	s_or_saveexec_b32 s7, s7
	v_mov_b32_e32 v46, v42
	s_wait_alu 0xfffe
	s_xor_b32 exec_lo, exec_lo, s7
	s_cbranch_execz .LBB92_34
; %bb.33:                               ;   in Loop: Header=BB92_2 Depth=1
	ds_load_u8 v46, v44 offset:1
	s_wait_dscnt 0x1
	v_mov_b32_e32 v45, v41
.LBB92_34:                              ;   in Loop: Header=BB92_2 Depth=1
	s_or_b32 exec_lo, exec_lo, s7
	v_add_nc_u32_e32 v47, 1, v43
	v_add_nc_u32_e32 v48, 1, v44
	s_wait_dscnt 0x0
	v_and_b32_e32 v49, 0xff, v45
	v_and_b32_e32 v50, 0xff, v46
	v_cndmask_b32_e64 v42, v41, v42, s6
	v_cndmask_b32_e64 v43, v47, v43, s6
	v_mov_b32_e32 v41, v32
	v_cndmask_b32_e64 v44, v44, v48, s6
	v_cmp_lt_u16_e64 s7, v50, v49
	s_wait_loadcnt 0x0
	v_cmp_ge_i32_e64 s8, v43, v17
	s_barrier_signal -1
	v_cmp_lt_i32_e64 s9, v44, v18
	s_barrier_wait -1
	global_inv scope:SCOPE_SE
	s_or_b32 s6, s8, s7
	s_wait_alu 0xfffe
	s_and_b32 s6, s9, s6
	s_wait_alu 0xfffe
	v_cndmask_b32_e64 v43, v45, v46, s6
	ds_store_b8 v1, v42
	ds_store_b8 v1, v43 offset:1
	s_wait_loadcnt_dscnt 0x0
	s_barrier_signal -1
	s_barrier_wait -1
	global_inv scope:SCOPE_SE
	s_and_saveexec_b32 s7, s3
	s_cbranch_execz .LBB92_38
; %bb.35:                               ;   in Loop: Header=BB92_2 Depth=1
	v_dual_mov_b32 v41, v32 :: v_dual_mov_b32 v42, v33
	s_mov_b32 s8, 0
.LBB92_36:                              ;   Parent Loop BB92_2 Depth=1
                                        ; =>  This Inner Loop Header: Depth=2
	s_delay_alu instid0(VALU_DEP_1) | instskip(NEXT) | instid1(VALU_DEP_1)
	v_sub_nc_u32_e32 v43, v42, v41
	v_lshrrev_b32_e32 v43, 1, v43
	s_delay_alu instid0(VALU_DEP_1) | instskip(NEXT) | instid1(VALU_DEP_1)
	v_add_nc_u32_e32 v43, v43, v41
	v_add_nc_u32_e32 v44, v23, v43
	v_xad_u32 v45, v43, -1, v38
	v_add_nc_u32_e32 v46, 1, v43
	ds_load_u8 v44, v44
	ds_load_u8 v45, v45
	s_wait_dscnt 0x0
	v_cmp_lt_u16_e64 s6, v45, v44
	s_wait_alu 0xf1ff
	s_delay_alu instid0(VALU_DEP_1) | instskip(SKIP_1) | instid1(VALU_DEP_1)
	v_cndmask_b32_e64 v42, v42, v43, s6
	v_cndmask_b32_e64 v41, v46, v41, s6
	v_cmp_ge_i32_e64 s6, v41, v42
	s_or_b32 s8, s6, s8
	s_delay_alu instid0(SALU_CYCLE_1)
	s_and_not1_b32 exec_lo, exec_lo, s8
	s_cbranch_execnz .LBB92_36
; %bb.37:                               ;   in Loop: Header=BB92_2 Depth=1
	s_or_b32 exec_lo, exec_lo, s8
.LBB92_38:                              ;   in Loop: Header=BB92_2 Depth=1
	s_wait_alu 0xfffe
	s_or_b32 exec_lo, exec_lo, s7
	v_add_nc_u32_e32 v43, v41, v23
	v_sub_nc_u32_e32 v44, v38, v41
	ds_load_u8 v41, v43
	ds_load_u8 v42, v44
	v_cmp_le_i32_e64 s6, v26, v43
	v_cmp_gt_i32_e64 s8, v27, v44
	s_wait_dscnt 0x1
	v_and_b32_e32 v45, 0xff, v41
	s_wait_dscnt 0x0
	v_and_b32_e32 v46, 0xff, v42
	s_delay_alu instid0(VALU_DEP_1)
	v_cmp_lt_u16_e64 s7, v46, v45
                                        ; implicit-def: $vgpr45
	s_or_b32 s6, s6, s7
	s_wait_alu 0xfffe
	s_and_b32 s6, s8, s6
	s_wait_alu 0xfffe
	s_xor_b32 s7, s6, -1
	s_wait_alu 0xfffe
	s_and_saveexec_b32 s8, s7
	s_delay_alu instid0(SALU_CYCLE_1)
	s_xor_b32 s7, exec_lo, s8
; %bb.39:                               ;   in Loop: Header=BB92_2 Depth=1
	ds_load_u8 v45, v43 offset:1
; %bb.40:                               ;   in Loop: Header=BB92_2 Depth=1
	s_wait_alu 0xfffe
	s_or_saveexec_b32 s7, s7
	v_mov_b32_e32 v46, v42
	s_wait_alu 0xfffe
	s_xor_b32 exec_lo, exec_lo, s7
	s_cbranch_execz .LBB92_42
; %bb.41:                               ;   in Loop: Header=BB92_2 Depth=1
	ds_load_u8 v46, v44 offset:1
	s_wait_dscnt 0x1
	v_mov_b32_e32 v45, v41
.LBB92_42:                              ;   in Loop: Header=BB92_2 Depth=1
	s_or_b32 exec_lo, exec_lo, s7
	v_add_nc_u32_e32 v47, 1, v43
	v_add_nc_u32_e32 v48, 1, v44
	s_wait_dscnt 0x0
	v_and_b32_e32 v49, 0xff, v45
	v_and_b32_e32 v50, 0xff, v46
	v_cndmask_b32_e64 v42, v41, v42, s6
	v_cndmask_b32_e64 v43, v47, v43, s6
	v_mov_b32_e32 v41, v34
	v_cndmask_b32_e64 v44, v44, v48, s6
	v_cmp_lt_u16_e64 s7, v50, v49
	s_wait_loadcnt 0x0
	v_cmp_ge_i32_e64 s8, v43, v26
	s_barrier_signal -1
	v_cmp_lt_i32_e64 s9, v44, v27
	s_barrier_wait -1
	global_inv scope:SCOPE_SE
	s_or_b32 s6, s8, s7
	s_wait_alu 0xfffe
	s_and_b32 s6, s9, s6
	s_wait_alu 0xfffe
	v_cndmask_b32_e64 v43, v45, v46, s6
	ds_store_b8 v1, v42
	ds_store_b8 v1, v43 offset:1
	s_wait_loadcnt_dscnt 0x0
	s_barrier_signal -1
	s_barrier_wait -1
	global_inv scope:SCOPE_SE
	s_and_saveexec_b32 s7, s4
	s_cbranch_execz .LBB92_46
; %bb.43:                               ;   in Loop: Header=BB92_2 Depth=1
	v_dual_mov_b32 v41, v34 :: v_dual_mov_b32 v42, v35
	s_mov_b32 s8, 0
.LBB92_44:                              ;   Parent Loop BB92_2 Depth=1
                                        ; =>  This Inner Loop Header: Depth=2
	s_delay_alu instid0(VALU_DEP_1) | instskip(NEXT) | instid1(VALU_DEP_1)
	v_sub_nc_u32_e32 v43, v42, v41
	v_lshrrev_b32_e32 v43, 1, v43
	s_delay_alu instid0(VALU_DEP_1) | instskip(NEXT) | instid1(VALU_DEP_1)
	v_add_nc_u32_e32 v43, v43, v41
	v_add_nc_u32_e32 v44, v24, v43
	v_xad_u32 v45, v43, -1, v39
	v_add_nc_u32_e32 v46, 1, v43
	ds_load_u8 v44, v44
	ds_load_u8 v45, v45
	s_wait_dscnt 0x0
	v_cmp_lt_u16_e64 s6, v45, v44
	s_wait_alu 0xf1ff
	s_delay_alu instid0(VALU_DEP_1) | instskip(SKIP_1) | instid1(VALU_DEP_1)
	v_cndmask_b32_e64 v42, v42, v43, s6
	v_cndmask_b32_e64 v41, v46, v41, s6
	v_cmp_ge_i32_e64 s6, v41, v42
	s_or_b32 s8, s6, s8
	s_delay_alu instid0(SALU_CYCLE_1)
	s_and_not1_b32 exec_lo, exec_lo, s8
	s_cbranch_execnz .LBB92_44
; %bb.45:                               ;   in Loop: Header=BB92_2 Depth=1
	s_or_b32 exec_lo, exec_lo, s8
.LBB92_46:                              ;   in Loop: Header=BB92_2 Depth=1
	s_wait_alu 0xfffe
	s_or_b32 exec_lo, exec_lo, s7
	v_add_nc_u32_e32 v43, v41, v24
	v_sub_nc_u32_e32 v44, v39, v41
	ds_load_u8 v41, v43
	ds_load_u8 v42, v44
	v_cmp_le_i32_e64 s6, v29, v43
	v_cmp_gt_i32_e64 s8, v30, v44
	s_wait_dscnt 0x1
	v_and_b32_e32 v45, 0xff, v41
	s_wait_dscnt 0x0
	v_and_b32_e32 v46, 0xff, v42
	s_delay_alu instid0(VALU_DEP_1)
	v_cmp_lt_u16_e64 s7, v46, v45
                                        ; implicit-def: $vgpr45
	s_or_b32 s6, s6, s7
	s_wait_alu 0xfffe
	s_and_b32 s6, s8, s6
	s_wait_alu 0xfffe
	s_xor_b32 s7, s6, -1
	s_wait_alu 0xfffe
	s_and_saveexec_b32 s8, s7
	s_delay_alu instid0(SALU_CYCLE_1)
	s_xor_b32 s7, exec_lo, s8
; %bb.47:                               ;   in Loop: Header=BB92_2 Depth=1
	ds_load_u8 v45, v43 offset:1
; %bb.48:                               ;   in Loop: Header=BB92_2 Depth=1
	s_wait_alu 0xfffe
	s_or_saveexec_b32 s7, s7
	v_mov_b32_e32 v46, v42
	s_wait_alu 0xfffe
	s_xor_b32 exec_lo, exec_lo, s7
	s_cbranch_execz .LBB92_50
; %bb.49:                               ;   in Loop: Header=BB92_2 Depth=1
	ds_load_u8 v46, v44 offset:1
	s_wait_dscnt 0x1
	v_mov_b32_e32 v45, v41
.LBB92_50:                              ;   in Loop: Header=BB92_2 Depth=1
	s_or_b32 exec_lo, exec_lo, s7
	v_add_nc_u32_e32 v47, 1, v43
	v_add_nc_u32_e32 v48, 1, v44
	s_wait_dscnt 0x0
	v_and_b32_e32 v49, 0xff, v45
	v_and_b32_e32 v50, 0xff, v46
	v_cndmask_b32_e64 v42, v41, v42, s6
	v_cndmask_b32_e64 v43, v47, v43, s6
	v_mov_b32_e32 v41, v36
	v_cndmask_b32_e64 v44, v44, v48, s6
	v_cmp_lt_u16_e64 s7, v50, v49
	s_wait_loadcnt 0x0
	v_cmp_ge_i32_e64 s8, v43, v29
	s_barrier_signal -1
	v_cmp_lt_i32_e64 s9, v44, v30
	s_barrier_wait -1
	global_inv scope:SCOPE_SE
	s_or_b32 s6, s8, s7
	s_wait_alu 0xfffe
	s_and_b32 s6, s9, s6
	s_wait_alu 0xfffe
	v_cndmask_b32_e64 v43, v45, v46, s6
	ds_store_b8 v1, v42
	ds_store_b8 v1, v43 offset:1
	s_wait_loadcnt_dscnt 0x0
	s_barrier_signal -1
	s_barrier_wait -1
	global_inv scope:SCOPE_SE
	s_and_saveexec_b32 s7, s5
	s_cbranch_execz .LBB92_54
; %bb.51:                               ;   in Loop: Header=BB92_2 Depth=1
	v_dual_mov_b32 v41, v36 :: v_dual_mov_b32 v42, v37
	s_mov_b32 s8, 0
.LBB92_52:                              ;   Parent Loop BB92_2 Depth=1
                                        ; =>  This Inner Loop Header: Depth=2
	s_delay_alu instid0(VALU_DEP_1) | instskip(NEXT) | instid1(VALU_DEP_1)
	v_sub_nc_u32_e32 v43, v42, v41
	v_lshrrev_b32_e32 v43, 1, v43
	s_delay_alu instid0(VALU_DEP_1) | instskip(NEXT) | instid1(VALU_DEP_1)
	v_add_nc_u32_e32 v43, v43, v41
	v_xad_u32 v44, v43, -1, v40
	v_add_nc_u32_e32 v46, 1, v43
	ds_load_u8 v45, v43
	ds_load_u8 v44, v44
	s_wait_dscnt 0x0
	v_cmp_lt_u16_e64 s6, v44, v45
	s_wait_alu 0xf1ff
	s_delay_alu instid0(VALU_DEP_1) | instskip(SKIP_1) | instid1(VALU_DEP_1)
	v_cndmask_b32_e64 v42, v42, v43, s6
	v_cndmask_b32_e64 v41, v46, v41, s6
	v_cmp_ge_i32_e64 s6, v41, v42
	s_or_b32 s8, s6, s8
	s_delay_alu instid0(SALU_CYCLE_1)
	s_and_not1_b32 exec_lo, exec_lo, s8
	s_cbranch_execnz .LBB92_52
; %bb.53:                               ;   in Loop: Header=BB92_2 Depth=1
	s_or_b32 exec_lo, exec_lo, s8
.LBB92_54:                              ;   in Loop: Header=BB92_2 Depth=1
	s_wait_alu 0xfffe
	s_or_b32 exec_lo, exec_lo, s7
	v_sub_nc_u32_e32 v44, v40, v41
	v_cmp_le_i32_e64 s6, 0x80, v41
	ds_load_u8 v42, v41
	ds_load_u8 v43, v44
	v_cmp_gt_i32_e64 s8, 0x100, v44
	s_wait_dscnt 0x1
	v_and_b32_e32 v45, 0xff, v42
	s_wait_dscnt 0x0
	v_and_b32_e32 v46, 0xff, v43
	s_delay_alu instid0(VALU_DEP_1)
	v_cmp_lt_u16_e64 s7, v46, v45
                                        ; implicit-def: $vgpr45
                                        ; implicit-def: $vgpr46
	s_or_b32 s6, s6, s7
	s_wait_alu 0xfffe
	s_and_b32 s6, s8, s6
	s_wait_alu 0xfffe
	s_xor_b32 s7, s6, -1
	s_wait_alu 0xfffe
	s_and_saveexec_b32 s8, s7
	s_delay_alu instid0(SALU_CYCLE_1)
	s_xor_b32 s7, exec_lo, s8
; %bb.55:                               ;   in Loop: Header=BB92_2 Depth=1
	ds_load_u8 v45, v41 offset:1
	v_add_nc_u32_e32 v46, 1, v41
                                        ; implicit-def: $vgpr41
; %bb.56:                               ;   in Loop: Header=BB92_2 Depth=1
	s_wait_alu 0xfffe
	s_or_saveexec_b32 s7, s7
	v_mov_b32_e32 v47, v43
	s_wait_alu 0xfffe
	s_xor_b32 exec_lo, exec_lo, s7
	s_cbranch_execz .LBB92_1
; %bb.57:                               ;   in Loop: Header=BB92_2 Depth=1
	ds_load_u8 v47, v44 offset:1
	s_wait_dscnt 0x1
	v_dual_mov_b32 v45, v42 :: v_dual_add_nc_u32 v44, 1, v44
	v_mov_b32_e32 v46, v41
	s_branch .LBB92_1
.LBB92_58:
	s_add_nc_u64 s[0:1], s[10:11], s[12:13]
	s_wait_alu 0xfffe
	v_add_co_u32 v0, s0, s0, v0
	s_wait_alu 0xf1ff
	v_add_co_ci_u32_e64 v1, null, s1, 0, s0
	s_clause 0x1
	global_store_b8 v[0:1], v41, off
	global_store_b8 v[0:1], v42, off offset:128
	s_endpgm
	.section	.rodata,"a",@progbits
	.p2align	6, 0x0
	.amdhsa_kernel _Z16sort_keys_kernelIhLj128ELj2EN10test_utils4lessELj10EEvPKT_PS2_T2_
		.amdhsa_group_segment_fixed_size 257
		.amdhsa_private_segment_fixed_size 0
		.amdhsa_kernarg_size 20
		.amdhsa_user_sgpr_count 2
		.amdhsa_user_sgpr_dispatch_ptr 0
		.amdhsa_user_sgpr_queue_ptr 0
		.amdhsa_user_sgpr_kernarg_segment_ptr 1
		.amdhsa_user_sgpr_dispatch_id 0
		.amdhsa_user_sgpr_private_segment_size 0
		.amdhsa_wavefront_size32 1
		.amdhsa_uses_dynamic_stack 0
		.amdhsa_enable_private_segment 0
		.amdhsa_system_sgpr_workgroup_id_x 1
		.amdhsa_system_sgpr_workgroup_id_y 0
		.amdhsa_system_sgpr_workgroup_id_z 0
		.amdhsa_system_sgpr_workgroup_info 0
		.amdhsa_system_vgpr_workitem_id 0
		.amdhsa_next_free_vgpr 51
		.amdhsa_next_free_sgpr 15
		.amdhsa_reserve_vcc 1
		.amdhsa_float_round_mode_32 0
		.amdhsa_float_round_mode_16_64 0
		.amdhsa_float_denorm_mode_32 3
		.amdhsa_float_denorm_mode_16_64 3
		.amdhsa_fp16_overflow 0
		.amdhsa_workgroup_processor_mode 1
		.amdhsa_memory_ordered 1
		.amdhsa_forward_progress 1
		.amdhsa_inst_pref_size 32
		.amdhsa_round_robin_scheduling 0
		.amdhsa_exception_fp_ieee_invalid_op 0
		.amdhsa_exception_fp_denorm_src 0
		.amdhsa_exception_fp_ieee_div_zero 0
		.amdhsa_exception_fp_ieee_overflow 0
		.amdhsa_exception_fp_ieee_underflow 0
		.amdhsa_exception_fp_ieee_inexact 0
		.amdhsa_exception_int_div_zero 0
	.end_amdhsa_kernel
	.section	.text._Z16sort_keys_kernelIhLj128ELj2EN10test_utils4lessELj10EEvPKT_PS2_T2_,"axG",@progbits,_Z16sort_keys_kernelIhLj128ELj2EN10test_utils4lessELj10EEvPKT_PS2_T2_,comdat
.Lfunc_end92:
	.size	_Z16sort_keys_kernelIhLj128ELj2EN10test_utils4lessELj10EEvPKT_PS2_T2_, .Lfunc_end92-_Z16sort_keys_kernelIhLj128ELj2EN10test_utils4lessELj10EEvPKT_PS2_T2_
                                        ; -- End function
	.set _Z16sort_keys_kernelIhLj128ELj2EN10test_utils4lessELj10EEvPKT_PS2_T2_.num_vgpr, 51
	.set _Z16sort_keys_kernelIhLj128ELj2EN10test_utils4lessELj10EEvPKT_PS2_T2_.num_agpr, 0
	.set _Z16sort_keys_kernelIhLj128ELj2EN10test_utils4lessELj10EEvPKT_PS2_T2_.numbered_sgpr, 15
	.set _Z16sort_keys_kernelIhLj128ELj2EN10test_utils4lessELj10EEvPKT_PS2_T2_.num_named_barrier, 0
	.set _Z16sort_keys_kernelIhLj128ELj2EN10test_utils4lessELj10EEvPKT_PS2_T2_.private_seg_size, 0
	.set _Z16sort_keys_kernelIhLj128ELj2EN10test_utils4lessELj10EEvPKT_PS2_T2_.uses_vcc, 1
	.set _Z16sort_keys_kernelIhLj128ELj2EN10test_utils4lessELj10EEvPKT_PS2_T2_.uses_flat_scratch, 0
	.set _Z16sort_keys_kernelIhLj128ELj2EN10test_utils4lessELj10EEvPKT_PS2_T2_.has_dyn_sized_stack, 0
	.set _Z16sort_keys_kernelIhLj128ELj2EN10test_utils4lessELj10EEvPKT_PS2_T2_.has_recursion, 0
	.set _Z16sort_keys_kernelIhLj128ELj2EN10test_utils4lessELj10EEvPKT_PS2_T2_.has_indirect_call, 0
	.section	.AMDGPU.csdata,"",@progbits
; Kernel info:
; codeLenInByte = 3988
; TotalNumSgprs: 17
; NumVgprs: 51
; ScratchSize: 0
; MemoryBound: 0
; FloatMode: 240
; IeeeMode: 1
; LDSByteSize: 257 bytes/workgroup (compile time only)
; SGPRBlocks: 0
; VGPRBlocks: 6
; NumSGPRsForWavesPerEU: 17
; NumVGPRsForWavesPerEU: 51
; Occupancy: 16
; WaveLimiterHint : 1
; COMPUTE_PGM_RSRC2:SCRATCH_EN: 0
; COMPUTE_PGM_RSRC2:USER_SGPR: 2
; COMPUTE_PGM_RSRC2:TRAP_HANDLER: 0
; COMPUTE_PGM_RSRC2:TGID_X_EN: 1
; COMPUTE_PGM_RSRC2:TGID_Y_EN: 0
; COMPUTE_PGM_RSRC2:TGID_Z_EN: 0
; COMPUTE_PGM_RSRC2:TIDIG_COMP_CNT: 0
	.section	.text._Z17sort_pairs_kernelIhLj128ELj2EN10test_utils4lessELj10EEvPKT_PS2_T2_,"axG",@progbits,_Z17sort_pairs_kernelIhLj128ELj2EN10test_utils4lessELj10EEvPKT_PS2_T2_,comdat
	.protected	_Z17sort_pairs_kernelIhLj128ELj2EN10test_utils4lessELj10EEvPKT_PS2_T2_ ; -- Begin function _Z17sort_pairs_kernelIhLj128ELj2EN10test_utils4lessELj10EEvPKT_PS2_T2_
	.globl	_Z17sort_pairs_kernelIhLj128ELj2EN10test_utils4lessELj10EEvPKT_PS2_T2_
	.p2align	8
	.type	_Z17sort_pairs_kernelIhLj128ELj2EN10test_utils4lessELj10EEvPKT_PS2_T2_,@function
_Z17sort_pairs_kernelIhLj128ELj2EN10test_utils4lessELj10EEvPKT_PS2_T2_: ; @_Z17sort_pairs_kernelIhLj128ELj2EN10test_utils4lessELj10EEvPKT_PS2_T2_
; %bb.0:
	s_load_b128 s[8:11], s[0:1], 0x0
	s_lshl_b32 s12, ttmp9, 8
	s_mov_b32 s13, 0
	v_lshlrev_b32_e32 v1, 1, v0
	s_mov_b32 s14, s13
	s_delay_alu instid0(VALU_DEP_1)
	v_and_b32_e32 v2, 0xfc, v1
	v_and_b32_e32 v3, 0xf8, v1
	;; [unrolled: 1-line block ×5, first 2 shown]
	v_or_b32_e32 v10, 2, v2
	v_add_nc_u32_e32 v11, 4, v2
	v_or_b32_e32 v12, 4, v3
	v_add_nc_u32_e32 v13, 8, v3
	v_and_b32_e32 v5, 0xe0, v1
	v_or_b32_e32 v14, 8, v4
	v_sub_nc_u32_e32 v40, v11, v10
	s_wait_kmcnt 0x0
	s_add_nc_u64 s[0:1], s[8:9], s[12:13]
	v_add_nc_u32_e32 v15, 16, v4
	s_clause 0x1
	global_load_u8 v42, v0, s[0:1]
	global_load_u8 v41, v0, s[0:1] offset:128
	v_sub_nc_u32_e32 v28, v10, v2
	v_sub_nc_u32_e32 v43, v13, v12
	;; [unrolled: 1-line block ×3, first 2 shown]
	v_cmp_ge_i32_e64 s0, v34, v40
	v_and_b32_e32 v36, 14, v1
	v_and_b32_e32 v6, 0xc0, v1
	v_or_b32_e32 v16, 16, v5
	v_add_nc_u32_e32 v17, 32, v5
	v_add_nc_u32_e32 v22, v10, v34
	v_sub_nc_u32_e32 v29, v12, v3
	v_sub_nc_u32_e32 v44, v15, v14
	v_min_i32_e32 v28, v34, v28
	v_sub_nc_u32_e32 v49, v35, v43
	v_cndmask_b32_e64 v34, 0, v48, s0
	v_cmp_ge_i32_e64 s0, v35, v43
	v_and_b32_e32 v37, 30, v1
	v_and_b32_e32 v7, 0x80, v1
	v_or_b32_e32 v18, 32, v6
	v_add_nc_u32_e32 v19, 64, v6
	v_add_nc_u32_e32 v23, v12, v35
	v_sub_nc_u32_e32 v30, v14, v4
	v_sub_nc_u32_e32 v45, v17, v16
	v_min_i32_e32 v29, v35, v29
	v_sub_nc_u32_e32 v50, v36, v44
	s_wait_alu 0xf1ff
	v_cndmask_b32_e64 v35, 0, v49, s0
	v_cmp_ge_i32_e64 s0, v36, v44
	v_and_b32_e32 v38, 62, v1
	v_or_b32_e32 v20, 64, v7
	v_add_nc_u32_e32 v21, 0x80, v7
	v_add_nc_u32_e32 v24, v14, v36
	v_sub_nc_u32_e32 v31, v16, v5
	v_sub_nc_u32_e32 v46, v19, v18
	v_min_i32_e32 v30, v36, v30
	v_sub_nc_u32_e32 v51, v37, v45
	s_wait_alu 0xf1ff
	v_cndmask_b32_e64 v36, 0, v50, s0
	v_cmp_ge_i32_e64 s0, v37, v45
	v_and_b32_e32 v39, 0x7e, v1
	v_add_nc_u32_e32 v25, v16, v37
	v_sub_nc_u32_e32 v32, v18, v6
	v_sub_nc_u32_e32 v47, v21, v20
	v_min_i32_e32 v31, v37, v31
	v_sub_nc_u32_e32 v52, v38, v46
	s_wait_alu 0xf1ff
	v_cndmask_b32_e64 v37, 0, v51, s0
	v_cmp_ge_i32_e64 s0, v38, v46
	v_add_nc_u32_e32 v26, v18, v38
	v_sub_nc_u32_e32 v33, v20, v7
	v_min_i32_e32 v32, v38, v32
	v_sub_nc_u32_e32 v53, v39, v47
	s_wait_alu 0xf1ff
	v_cndmask_b32_e64 v38, 0, v52, s0
	v_cmp_ge_i32_e64 s0, v39, v47
	v_add_nc_u32_e32 v27, v20, v39
	v_min_i32_e32 v33, v39, v33
	v_subrev_nc_u32_e64 v8, 0x80, v1 clamp
	v_min_i32_e32 v9, 0x80, v1
	s_wait_alu 0xf1ff
	v_cndmask_b32_e64 v39, 0, v53, s0
	v_cmp_lt_i32_e64 s0, v34, v28
	v_cmp_lt_i32_e64 s1, v35, v29
	;; [unrolled: 1-line block ×6, first 2 shown]
	v_add_nc_u32_e32 v40, 0x80, v1
	v_cmp_lt_i32_e32 vcc_lo, v8, v9
	s_wait_loadcnt 0x1
	v_add_nc_u16 v44, v42, 1
	s_wait_loadcnt 0x0
	v_add_nc_u16 v43, v41, 1
	s_branch .LBB93_2
.LBB93_1:                               ;   in Loop: Header=BB93_2 Depth=1
	s_or_b32 exec_lo, exec_lo, s7
	s_wait_dscnt 0x0
	s_delay_alu instid0(VALU_DEP_1)
	v_and_b32_e32 v43, 0xff, v48
	v_and_b32_e32 v51, 0xff, v50
	v_cmp_le_i32_e64 s8, 0x80, v47
	v_cmp_gt_i32_e64 s7, 0x100, v44
	s_wait_loadcnt 0x0
	s_barrier_signal -1
	v_cmp_lt_u16_e64 s9, v51, v43
	s_barrier_wait -1
	global_inv scope:SCOPE_SE
	ds_store_b8 v1, v41
	ds_store_b8 v1, v42 offset:1
	s_wait_loadcnt_dscnt 0x0
	s_or_b32 s8, s8, s9
	s_barrier_signal -1
	s_and_b32 s7, s7, s8
	s_barrier_wait -1
	s_wait_alu 0xfffe
	v_cndmask_b32_e64 v42, v47, v44, s7
	global_inv scope:SCOPE_SE
	v_cndmask_b32_e64 v41, v48, v50, s7
	ds_load_u8 v44, v49
	ds_load_u8 v43, v42
	v_cndmask_b32_e64 v42, v45, v46, s6
	s_add_co_i32 s14, s14, 1
	s_delay_alu instid0(SALU_CYCLE_1)
	s_cmp_eq_u32 s14, 10
	s_cbranch_scc1 .LBB93_58
.LBB93_2:                               ; =>This Loop Header: Depth=1
                                        ;     Child Loop BB93_4 Depth 2
                                        ;     Child Loop BB93_12 Depth 2
                                        ;     Child Loop BB93_20 Depth 2
                                        ;     Child Loop BB93_28 Depth 2
                                        ;     Child Loop BB93_36 Depth 2
                                        ;     Child Loop BB93_44 Depth 2
                                        ;     Child Loop BB93_52 Depth 2
	s_delay_alu instid0(VALU_DEP_1) | instskip(SKIP_4) | instid1(VALU_DEP_4)
	v_and_b32_e32 v45, 0xff, v42
	v_and_b32_e32 v46, 0xff, v41
	v_perm_b32 v47, v41, v42, 0xc0c0004
	v_perm_b32 v41, v42, v41, 0xc0c0004
	v_mov_b32_e32 v42, v34
	v_cmp_lt_u16_e64 s6, v46, v45
	s_barrier_signal -1
	s_barrier_wait -1
	global_inv scope:SCOPE_SE
	s_wait_alu 0xf1ff
	v_cndmask_b32_e64 v41, v41, v47, s6
	s_delay_alu instid0(VALU_DEP_1)
	v_lshrrev_b16 v45, 8, v41
	ds_store_b8 v1, v41
	ds_store_b8 v1, v45 offset:1
	s_wait_loadcnt_dscnt 0x0
	s_barrier_signal -1
	s_barrier_wait -1
	global_inv scope:SCOPE_SE
	s_and_saveexec_b32 s8, s0
	s_cbranch_execz .LBB93_6
; %bb.3:                                ;   in Loop: Header=BB93_2 Depth=1
	v_dual_mov_b32 v42, v34 :: v_dual_mov_b32 v41, v28
	s_mov_b32 s9, 0
.LBB93_4:                               ;   Parent Loop BB93_2 Depth=1
                                        ; =>  This Inner Loop Header: Depth=2
	s_delay_alu instid0(VALU_DEP_1) | instskip(NEXT) | instid1(VALU_DEP_1)
	v_sub_nc_u32_e32 v45, v41, v42
	v_lshrrev_b32_e32 v45, 1, v45
	s_delay_alu instid0(VALU_DEP_1) | instskip(NEXT) | instid1(VALU_DEP_1)
	v_add_nc_u32_e32 v45, v45, v42
	v_add_nc_u32_e32 v46, v2, v45
	v_xad_u32 v47, v45, -1, v22
	v_add_nc_u32_e32 v48, 1, v45
	ds_load_u8 v46, v46
	ds_load_u8 v47, v47
	s_wait_dscnt 0x0
	v_cmp_lt_u16_e64 s7, v47, v46
	s_wait_alu 0xf1ff
	s_delay_alu instid0(VALU_DEP_1) | instskip(SKIP_1) | instid1(VALU_DEP_1)
	v_cndmask_b32_e64 v41, v41, v45, s7
	v_cndmask_b32_e64 v42, v48, v42, s7
	v_cmp_ge_i32_e64 s7, v42, v41
	s_or_b32 s9, s7, s9
	s_delay_alu instid0(SALU_CYCLE_1)
	s_and_not1_b32 exec_lo, exec_lo, s9
	s_cbranch_execnz .LBB93_4
; %bb.5:                                ;   in Loop: Header=BB93_2 Depth=1
	s_or_b32 exec_lo, exec_lo, s9
.LBB93_6:                               ;   in Loop: Header=BB93_2 Depth=1
	s_delay_alu instid0(SALU_CYCLE_1)
	s_or_b32 exec_lo, exec_lo, s8
	v_add_nc_u32_e32 v41, v42, v2
	v_sub_nc_u32_e32 v42, v22, v42
	ds_load_u8 v45, v41
	ds_load_u8 v46, v42
	v_cmp_le_i32_e64 s7, v10, v41
	v_cmp_gt_i32_e64 s9, v11, v42
	s_wait_dscnt 0x1
	v_and_b32_e32 v47, 0xff, v45
	s_wait_dscnt 0x0
	v_and_b32_e32 v48, 0xff, v46
	s_delay_alu instid0(VALU_DEP_1)
	v_cmp_lt_u16_e64 s8, v48, v47
                                        ; implicit-def: $vgpr47
	s_or_b32 s7, s7, s8
	s_wait_alu 0xfffe
	s_and_b32 s7, s9, s7
	s_wait_alu 0xfffe
	s_xor_b32 s8, s7, -1
	s_delay_alu instid0(SALU_CYCLE_1) | instskip(NEXT) | instid1(SALU_CYCLE_1)
	s_and_saveexec_b32 s9, s8
	s_xor_b32 s8, exec_lo, s9
; %bb.7:                                ;   in Loop: Header=BB93_2 Depth=1
	ds_load_u8 v47, v41 offset:1
; %bb.8:                                ;   in Loop: Header=BB93_2 Depth=1
	s_or_saveexec_b32 s8, s8
	v_mov_b32_e32 v48, v46
	s_xor_b32 exec_lo, exec_lo, s8
	s_cbranch_execz .LBB93_10
; %bb.9:                                ;   in Loop: Header=BB93_2 Depth=1
	ds_load_u8 v48, v42 offset:1
	s_wait_dscnt 0x1
	v_mov_b32_e32 v47, v45
.LBB93_10:                              ;   in Loop: Header=BB93_2 Depth=1
	s_or_b32 exec_lo, exec_lo, s8
	v_add_nc_u32_e32 v49, 1, v41
	v_add_nc_u32_e32 v50, 1, v42
	s_wait_dscnt 0x0
	v_and_b32_e32 v52, 0xff, v47
	v_and_b32_e32 v53, 0xff, v48
	v_perm_b32 v51, v43, v44, 0xc0c0004
	v_cndmask_b32_e64 v49, v49, v41, s7
	v_perm_b32 v43, v44, v43, 0xc0c0004
	v_cndmask_b32_e64 v44, v42, v50, s7
	v_cmp_lt_u16_e64 s8, v53, v52
	v_cndmask_b32_e64 v41, v41, v42, s7
	v_cmp_ge_i32_e64 s9, v49, v10
	v_cndmask_b32_e64 v42, v43, v51, s6
	v_cmp_lt_i32_e64 s6, v44, v11
	s_wait_loadcnt 0x0
	s_barrier_signal -1
	s_or_b32 s8, s9, s8
	v_lshrrev_b16 v43, 8, v42
	s_and_b32 s6, s6, s8
	s_barrier_wait -1
	s_wait_alu 0xfffe
	v_cndmask_b32_e64 v44, v49, v44, s6
	global_inv scope:SCOPE_SE
	ds_store_b8 v1, v42
	ds_store_b8 v1, v43 offset:1
	s_wait_loadcnt_dscnt 0x0
	s_barrier_signal -1
	s_barrier_wait -1
	global_inv scope:SCOPE_SE
	ds_load_u8 v41, v41
	ds_load_u8 v42, v44
	v_cndmask_b32_e64 v43, v45, v46, s7
	v_cndmask_b32_e64 v47, v47, v48, s6
	s_wait_loadcnt_dscnt 0x0
	s_barrier_signal -1
	s_barrier_wait -1
	global_inv scope:SCOPE_SE
	ds_store_b8 v1, v43
	ds_store_b8 v1, v47 offset:1
	v_mov_b32_e32 v43, v35
	s_wait_loadcnt_dscnt 0x0
	s_barrier_signal -1
	s_barrier_wait -1
	global_inv scope:SCOPE_SE
	s_and_saveexec_b32 s7, s1
	s_cbranch_execz .LBB93_14
; %bb.11:                               ;   in Loop: Header=BB93_2 Depth=1
	v_dual_mov_b32 v43, v35 :: v_dual_mov_b32 v44, v29
	s_mov_b32 s8, 0
.LBB93_12:                              ;   Parent Loop BB93_2 Depth=1
                                        ; =>  This Inner Loop Header: Depth=2
	s_delay_alu instid0(VALU_DEP_1) | instskip(NEXT) | instid1(VALU_DEP_1)
	v_sub_nc_u32_e32 v45, v44, v43
	v_lshrrev_b32_e32 v45, 1, v45
	s_delay_alu instid0(VALU_DEP_1) | instskip(NEXT) | instid1(VALU_DEP_1)
	v_add_nc_u32_e32 v45, v45, v43
	v_add_nc_u32_e32 v46, v3, v45
	v_xad_u32 v47, v45, -1, v23
	v_add_nc_u32_e32 v48, 1, v45
	ds_load_u8 v46, v46
	ds_load_u8 v47, v47
	s_wait_dscnt 0x0
	v_cmp_lt_u16_e64 s6, v47, v46
	s_wait_alu 0xf1ff
	s_delay_alu instid0(VALU_DEP_1) | instskip(SKIP_1) | instid1(VALU_DEP_1)
	v_cndmask_b32_e64 v44, v44, v45, s6
	v_cndmask_b32_e64 v43, v48, v43, s6
	v_cmp_ge_i32_e64 s6, v43, v44
	s_or_b32 s8, s6, s8
	s_delay_alu instid0(SALU_CYCLE_1)
	s_and_not1_b32 exec_lo, exec_lo, s8
	s_cbranch_execnz .LBB93_12
; %bb.13:                               ;   in Loop: Header=BB93_2 Depth=1
	s_or_b32 exec_lo, exec_lo, s8
.LBB93_14:                              ;   in Loop: Header=BB93_2 Depth=1
	s_wait_alu 0xfffe
	s_or_b32 exec_lo, exec_lo, s7
	v_add_nc_u32_e32 v46, v43, v3
	v_sub_nc_u32_e32 v45, v23, v43
	ds_load_u8 v43, v46
	ds_load_u8 v44, v45
	v_cmp_le_i32_e64 s6, v12, v46
	v_cmp_gt_i32_e64 s8, v13, v45
	s_wait_dscnt 0x1
	v_and_b32_e32 v47, 0xff, v43
	s_wait_dscnt 0x0
	v_and_b32_e32 v48, 0xff, v44
	s_delay_alu instid0(VALU_DEP_1)
	v_cmp_lt_u16_e64 s7, v48, v47
                                        ; implicit-def: $vgpr47
	s_or_b32 s6, s6, s7
	s_wait_alu 0xfffe
	s_and_b32 s6, s8, s6
	s_wait_alu 0xfffe
	s_xor_b32 s7, s6, -1
	s_wait_alu 0xfffe
	s_and_saveexec_b32 s8, s7
	s_delay_alu instid0(SALU_CYCLE_1)
	s_xor_b32 s7, exec_lo, s8
; %bb.15:                               ;   in Loop: Header=BB93_2 Depth=1
	ds_load_u8 v47, v46 offset:1
; %bb.16:                               ;   in Loop: Header=BB93_2 Depth=1
	s_wait_alu 0xfffe
	s_or_saveexec_b32 s7, s7
	v_mov_b32_e32 v48, v44
	s_wait_alu 0xfffe
	s_xor_b32 exec_lo, exec_lo, s7
	s_cbranch_execz .LBB93_18
; %bb.17:                               ;   in Loop: Header=BB93_2 Depth=1
	ds_load_u8 v48, v45 offset:1
	s_wait_dscnt 0x1
	v_mov_b32_e32 v47, v43
.LBB93_18:                              ;   in Loop: Header=BB93_2 Depth=1
	s_or_b32 exec_lo, exec_lo, s7
	v_add_nc_u32_e32 v49, 1, v46
	v_add_nc_u32_e32 v50, 1, v45
	s_wait_dscnt 0x0
	v_and_b32_e32 v51, 0xff, v47
	v_and_b32_e32 v52, 0xff, v48
	s_wait_loadcnt 0x0
	v_cndmask_b32_e64 v49, v49, v46, s6
	v_cndmask_b32_e64 v46, v46, v45, s6
	;; [unrolled: 1-line block ×3, first 2 shown]
	v_cmp_lt_u16_e64 s7, v52, v51
	s_barrier_signal -1
	v_cmp_ge_i32_e64 s8, v49, v12
	s_barrier_wait -1
	v_cmp_lt_i32_e64 s9, v45, v13
	global_inv scope:SCOPE_SE
	ds_store_b8 v1, v41
	ds_store_b8 v1, v42 offset:1
	s_or_b32 s7, s8, s7
	s_wait_loadcnt_dscnt 0x0
	s_wait_alu 0xfffe
	s_and_b32 s7, s9, s7
	s_barrier_signal -1
	s_wait_alu 0xfffe
	v_cndmask_b32_e64 v42, v49, v45, s7
	s_barrier_wait -1
	global_inv scope:SCOPE_SE
	v_cndmask_b32_e64 v43, v43, v44, s6
	ds_load_u8 v41, v46
	ds_load_u8 v42, v42
	v_cndmask_b32_e64 v47, v47, v48, s7
	s_wait_loadcnt_dscnt 0x0
	s_barrier_signal -1
	s_barrier_wait -1
	global_inv scope:SCOPE_SE
	ds_store_b8 v1, v43
	ds_store_b8 v1, v47 offset:1
	v_mov_b32_e32 v43, v36
	s_wait_loadcnt_dscnt 0x0
	s_barrier_signal -1
	s_barrier_wait -1
	global_inv scope:SCOPE_SE
	s_and_saveexec_b32 s7, s2
	s_cbranch_execz .LBB93_22
; %bb.19:                               ;   in Loop: Header=BB93_2 Depth=1
	v_dual_mov_b32 v43, v36 :: v_dual_mov_b32 v44, v30
	s_mov_b32 s8, 0
.LBB93_20:                              ;   Parent Loop BB93_2 Depth=1
                                        ; =>  This Inner Loop Header: Depth=2
	s_delay_alu instid0(VALU_DEP_1) | instskip(NEXT) | instid1(VALU_DEP_1)
	v_sub_nc_u32_e32 v45, v44, v43
	v_lshrrev_b32_e32 v45, 1, v45
	s_delay_alu instid0(VALU_DEP_1) | instskip(NEXT) | instid1(VALU_DEP_1)
	v_add_nc_u32_e32 v45, v45, v43
	v_add_nc_u32_e32 v46, v4, v45
	v_xad_u32 v47, v45, -1, v24
	v_add_nc_u32_e32 v48, 1, v45
	ds_load_u8 v46, v46
	ds_load_u8 v47, v47
	s_wait_dscnt 0x0
	v_cmp_lt_u16_e64 s6, v47, v46
	s_wait_alu 0xf1ff
	s_delay_alu instid0(VALU_DEP_1) | instskip(SKIP_1) | instid1(VALU_DEP_1)
	v_cndmask_b32_e64 v44, v44, v45, s6
	v_cndmask_b32_e64 v43, v48, v43, s6
	v_cmp_ge_i32_e64 s6, v43, v44
	s_or_b32 s8, s6, s8
	s_delay_alu instid0(SALU_CYCLE_1)
	s_and_not1_b32 exec_lo, exec_lo, s8
	s_cbranch_execnz .LBB93_20
; %bb.21:                               ;   in Loop: Header=BB93_2 Depth=1
	s_or_b32 exec_lo, exec_lo, s8
.LBB93_22:                              ;   in Loop: Header=BB93_2 Depth=1
	s_wait_alu 0xfffe
	s_or_b32 exec_lo, exec_lo, s7
	v_add_nc_u32_e32 v46, v43, v4
	v_sub_nc_u32_e32 v45, v24, v43
	ds_load_u8 v43, v46
	ds_load_u8 v44, v45
	v_cmp_le_i32_e64 s6, v14, v46
	v_cmp_gt_i32_e64 s8, v15, v45
	s_wait_dscnt 0x1
	v_and_b32_e32 v47, 0xff, v43
	s_wait_dscnt 0x0
	v_and_b32_e32 v48, 0xff, v44
	s_delay_alu instid0(VALU_DEP_1)
	v_cmp_lt_u16_e64 s7, v48, v47
                                        ; implicit-def: $vgpr47
	s_or_b32 s6, s6, s7
	s_wait_alu 0xfffe
	s_and_b32 s6, s8, s6
	s_wait_alu 0xfffe
	s_xor_b32 s7, s6, -1
	s_wait_alu 0xfffe
	s_and_saveexec_b32 s8, s7
	s_delay_alu instid0(SALU_CYCLE_1)
	s_xor_b32 s7, exec_lo, s8
; %bb.23:                               ;   in Loop: Header=BB93_2 Depth=1
	ds_load_u8 v47, v46 offset:1
; %bb.24:                               ;   in Loop: Header=BB93_2 Depth=1
	s_wait_alu 0xfffe
	s_or_saveexec_b32 s7, s7
	v_mov_b32_e32 v48, v44
	s_wait_alu 0xfffe
	s_xor_b32 exec_lo, exec_lo, s7
	s_cbranch_execz .LBB93_26
; %bb.25:                               ;   in Loop: Header=BB93_2 Depth=1
	ds_load_u8 v48, v45 offset:1
	s_wait_dscnt 0x1
	v_mov_b32_e32 v47, v43
.LBB93_26:                              ;   in Loop: Header=BB93_2 Depth=1
	s_or_b32 exec_lo, exec_lo, s7
	v_add_nc_u32_e32 v49, 1, v46
	v_add_nc_u32_e32 v50, 1, v45
	s_wait_dscnt 0x0
	v_and_b32_e32 v51, 0xff, v47
	v_and_b32_e32 v52, 0xff, v48
	s_wait_loadcnt 0x0
	v_cndmask_b32_e64 v49, v49, v46, s6
	v_cndmask_b32_e64 v46, v46, v45, s6
	;; [unrolled: 1-line block ×3, first 2 shown]
	v_cmp_lt_u16_e64 s7, v52, v51
	s_barrier_signal -1
	v_cmp_ge_i32_e64 s8, v49, v14
	s_barrier_wait -1
	v_cmp_lt_i32_e64 s9, v45, v15
	global_inv scope:SCOPE_SE
	ds_store_b8 v1, v41
	ds_store_b8 v1, v42 offset:1
	s_or_b32 s7, s8, s7
	s_wait_loadcnt_dscnt 0x0
	s_wait_alu 0xfffe
	s_and_b32 s7, s9, s7
	s_barrier_signal -1
	s_wait_alu 0xfffe
	v_cndmask_b32_e64 v42, v49, v45, s7
	s_barrier_wait -1
	global_inv scope:SCOPE_SE
	v_cndmask_b32_e64 v43, v43, v44, s6
	ds_load_u8 v41, v46
	ds_load_u8 v42, v42
	v_cndmask_b32_e64 v47, v47, v48, s7
	s_wait_loadcnt_dscnt 0x0
	s_barrier_signal -1
	s_barrier_wait -1
	global_inv scope:SCOPE_SE
	ds_store_b8 v1, v43
	ds_store_b8 v1, v47 offset:1
	v_mov_b32_e32 v43, v37
	s_wait_loadcnt_dscnt 0x0
	s_barrier_signal -1
	s_barrier_wait -1
	global_inv scope:SCOPE_SE
	s_and_saveexec_b32 s7, s3
	s_cbranch_execz .LBB93_30
; %bb.27:                               ;   in Loop: Header=BB93_2 Depth=1
	v_dual_mov_b32 v43, v37 :: v_dual_mov_b32 v44, v31
	s_mov_b32 s8, 0
.LBB93_28:                              ;   Parent Loop BB93_2 Depth=1
                                        ; =>  This Inner Loop Header: Depth=2
	s_delay_alu instid0(VALU_DEP_1) | instskip(NEXT) | instid1(VALU_DEP_1)
	v_sub_nc_u32_e32 v45, v44, v43
	v_lshrrev_b32_e32 v45, 1, v45
	s_delay_alu instid0(VALU_DEP_1) | instskip(NEXT) | instid1(VALU_DEP_1)
	v_add_nc_u32_e32 v45, v45, v43
	v_add_nc_u32_e32 v46, v5, v45
	v_xad_u32 v47, v45, -1, v25
	v_add_nc_u32_e32 v48, 1, v45
	ds_load_u8 v46, v46
	ds_load_u8 v47, v47
	s_wait_dscnt 0x0
	v_cmp_lt_u16_e64 s6, v47, v46
	s_wait_alu 0xf1ff
	s_delay_alu instid0(VALU_DEP_1) | instskip(SKIP_1) | instid1(VALU_DEP_1)
	v_cndmask_b32_e64 v44, v44, v45, s6
	v_cndmask_b32_e64 v43, v48, v43, s6
	v_cmp_ge_i32_e64 s6, v43, v44
	s_or_b32 s8, s6, s8
	s_delay_alu instid0(SALU_CYCLE_1)
	s_and_not1_b32 exec_lo, exec_lo, s8
	s_cbranch_execnz .LBB93_28
; %bb.29:                               ;   in Loop: Header=BB93_2 Depth=1
	s_or_b32 exec_lo, exec_lo, s8
.LBB93_30:                              ;   in Loop: Header=BB93_2 Depth=1
	s_wait_alu 0xfffe
	s_or_b32 exec_lo, exec_lo, s7
	v_add_nc_u32_e32 v46, v43, v5
	v_sub_nc_u32_e32 v45, v25, v43
	ds_load_u8 v43, v46
	ds_load_u8 v44, v45
	v_cmp_le_i32_e64 s6, v16, v46
	v_cmp_gt_i32_e64 s8, v17, v45
	s_wait_dscnt 0x1
	v_and_b32_e32 v47, 0xff, v43
	s_wait_dscnt 0x0
	v_and_b32_e32 v48, 0xff, v44
	s_delay_alu instid0(VALU_DEP_1)
	v_cmp_lt_u16_e64 s7, v48, v47
                                        ; implicit-def: $vgpr47
	s_or_b32 s6, s6, s7
	s_wait_alu 0xfffe
	s_and_b32 s6, s8, s6
	s_wait_alu 0xfffe
	s_xor_b32 s7, s6, -1
	s_wait_alu 0xfffe
	s_and_saveexec_b32 s8, s7
	s_delay_alu instid0(SALU_CYCLE_1)
	s_xor_b32 s7, exec_lo, s8
; %bb.31:                               ;   in Loop: Header=BB93_2 Depth=1
	ds_load_u8 v47, v46 offset:1
; %bb.32:                               ;   in Loop: Header=BB93_2 Depth=1
	s_wait_alu 0xfffe
	s_or_saveexec_b32 s7, s7
	v_mov_b32_e32 v48, v44
	s_wait_alu 0xfffe
	s_xor_b32 exec_lo, exec_lo, s7
	s_cbranch_execz .LBB93_34
; %bb.33:                               ;   in Loop: Header=BB93_2 Depth=1
	ds_load_u8 v48, v45 offset:1
	s_wait_dscnt 0x1
	v_mov_b32_e32 v47, v43
.LBB93_34:                              ;   in Loop: Header=BB93_2 Depth=1
	s_or_b32 exec_lo, exec_lo, s7
	v_add_nc_u32_e32 v49, 1, v46
	v_add_nc_u32_e32 v50, 1, v45
	s_wait_dscnt 0x0
	v_and_b32_e32 v51, 0xff, v47
	v_and_b32_e32 v52, 0xff, v48
	s_wait_loadcnt 0x0
	v_cndmask_b32_e64 v49, v49, v46, s6
	v_cndmask_b32_e64 v46, v46, v45, s6
	;; [unrolled: 1-line block ×3, first 2 shown]
	v_cmp_lt_u16_e64 s7, v52, v51
	s_barrier_signal -1
	v_cmp_ge_i32_e64 s8, v49, v16
	s_barrier_wait -1
	v_cmp_lt_i32_e64 s9, v45, v17
	global_inv scope:SCOPE_SE
	ds_store_b8 v1, v41
	ds_store_b8 v1, v42 offset:1
	s_or_b32 s7, s8, s7
	s_wait_loadcnt_dscnt 0x0
	s_wait_alu 0xfffe
	s_and_b32 s7, s9, s7
	s_barrier_signal -1
	s_wait_alu 0xfffe
	v_cndmask_b32_e64 v42, v49, v45, s7
	s_barrier_wait -1
	global_inv scope:SCOPE_SE
	v_cndmask_b32_e64 v43, v43, v44, s6
	ds_load_u8 v41, v46
	ds_load_u8 v42, v42
	v_cndmask_b32_e64 v47, v47, v48, s7
	s_wait_loadcnt_dscnt 0x0
	s_barrier_signal -1
	s_barrier_wait -1
	global_inv scope:SCOPE_SE
	ds_store_b8 v1, v43
	ds_store_b8 v1, v47 offset:1
	v_mov_b32_e32 v43, v38
	s_wait_loadcnt_dscnt 0x0
	s_barrier_signal -1
	s_barrier_wait -1
	global_inv scope:SCOPE_SE
	s_and_saveexec_b32 s7, s4
	s_cbranch_execz .LBB93_38
; %bb.35:                               ;   in Loop: Header=BB93_2 Depth=1
	v_dual_mov_b32 v43, v38 :: v_dual_mov_b32 v44, v32
	s_mov_b32 s8, 0
.LBB93_36:                              ;   Parent Loop BB93_2 Depth=1
                                        ; =>  This Inner Loop Header: Depth=2
	s_delay_alu instid0(VALU_DEP_1) | instskip(NEXT) | instid1(VALU_DEP_1)
	v_sub_nc_u32_e32 v45, v44, v43
	v_lshrrev_b32_e32 v45, 1, v45
	s_delay_alu instid0(VALU_DEP_1) | instskip(NEXT) | instid1(VALU_DEP_1)
	v_add_nc_u32_e32 v45, v45, v43
	v_add_nc_u32_e32 v46, v6, v45
	v_xad_u32 v47, v45, -1, v26
	v_add_nc_u32_e32 v48, 1, v45
	ds_load_u8 v46, v46
	ds_load_u8 v47, v47
	s_wait_dscnt 0x0
	v_cmp_lt_u16_e64 s6, v47, v46
	s_wait_alu 0xf1ff
	s_delay_alu instid0(VALU_DEP_1) | instskip(SKIP_1) | instid1(VALU_DEP_1)
	v_cndmask_b32_e64 v44, v44, v45, s6
	v_cndmask_b32_e64 v43, v48, v43, s6
	v_cmp_ge_i32_e64 s6, v43, v44
	s_or_b32 s8, s6, s8
	s_delay_alu instid0(SALU_CYCLE_1)
	s_and_not1_b32 exec_lo, exec_lo, s8
	s_cbranch_execnz .LBB93_36
; %bb.37:                               ;   in Loop: Header=BB93_2 Depth=1
	s_or_b32 exec_lo, exec_lo, s8
.LBB93_38:                              ;   in Loop: Header=BB93_2 Depth=1
	s_wait_alu 0xfffe
	s_or_b32 exec_lo, exec_lo, s7
	v_add_nc_u32_e32 v46, v43, v6
	v_sub_nc_u32_e32 v45, v26, v43
	ds_load_u8 v43, v46
	ds_load_u8 v44, v45
	v_cmp_le_i32_e64 s6, v18, v46
	v_cmp_gt_i32_e64 s8, v19, v45
	s_wait_dscnt 0x1
	v_and_b32_e32 v47, 0xff, v43
	s_wait_dscnt 0x0
	v_and_b32_e32 v48, 0xff, v44
	s_delay_alu instid0(VALU_DEP_1)
	v_cmp_lt_u16_e64 s7, v48, v47
                                        ; implicit-def: $vgpr47
	s_or_b32 s6, s6, s7
	s_wait_alu 0xfffe
	s_and_b32 s6, s8, s6
	s_wait_alu 0xfffe
	s_xor_b32 s7, s6, -1
	s_wait_alu 0xfffe
	s_and_saveexec_b32 s8, s7
	s_delay_alu instid0(SALU_CYCLE_1)
	s_xor_b32 s7, exec_lo, s8
; %bb.39:                               ;   in Loop: Header=BB93_2 Depth=1
	ds_load_u8 v47, v46 offset:1
; %bb.40:                               ;   in Loop: Header=BB93_2 Depth=1
	s_wait_alu 0xfffe
	s_or_saveexec_b32 s7, s7
	v_mov_b32_e32 v48, v44
	s_wait_alu 0xfffe
	s_xor_b32 exec_lo, exec_lo, s7
	s_cbranch_execz .LBB93_42
; %bb.41:                               ;   in Loop: Header=BB93_2 Depth=1
	ds_load_u8 v48, v45 offset:1
	s_wait_dscnt 0x1
	v_mov_b32_e32 v47, v43
.LBB93_42:                              ;   in Loop: Header=BB93_2 Depth=1
	s_or_b32 exec_lo, exec_lo, s7
	v_add_nc_u32_e32 v49, 1, v46
	v_add_nc_u32_e32 v50, 1, v45
	s_wait_dscnt 0x0
	v_and_b32_e32 v51, 0xff, v47
	v_and_b32_e32 v52, 0xff, v48
	s_wait_loadcnt 0x0
	v_cndmask_b32_e64 v49, v49, v46, s6
	v_cndmask_b32_e64 v46, v46, v45, s6
	;; [unrolled: 1-line block ×3, first 2 shown]
	v_cmp_lt_u16_e64 s7, v52, v51
	s_barrier_signal -1
	v_cmp_ge_i32_e64 s8, v49, v18
	s_barrier_wait -1
	v_cmp_lt_i32_e64 s9, v45, v19
	global_inv scope:SCOPE_SE
	ds_store_b8 v1, v41
	ds_store_b8 v1, v42 offset:1
	s_or_b32 s7, s8, s7
	s_wait_loadcnt_dscnt 0x0
	s_wait_alu 0xfffe
	s_and_b32 s7, s9, s7
	s_barrier_signal -1
	s_wait_alu 0xfffe
	v_cndmask_b32_e64 v42, v49, v45, s7
	s_barrier_wait -1
	global_inv scope:SCOPE_SE
	v_cndmask_b32_e64 v43, v43, v44, s6
	ds_load_u8 v41, v46
	ds_load_u8 v42, v42
	v_cndmask_b32_e64 v47, v47, v48, s7
	s_wait_loadcnt_dscnt 0x0
	s_barrier_signal -1
	s_barrier_wait -1
	global_inv scope:SCOPE_SE
	ds_store_b8 v1, v43
	ds_store_b8 v1, v47 offset:1
	v_mov_b32_e32 v43, v39
	s_wait_loadcnt_dscnt 0x0
	s_barrier_signal -1
	s_barrier_wait -1
	global_inv scope:SCOPE_SE
	s_and_saveexec_b32 s7, s5
	s_cbranch_execz .LBB93_46
; %bb.43:                               ;   in Loop: Header=BB93_2 Depth=1
	v_dual_mov_b32 v43, v39 :: v_dual_mov_b32 v44, v33
	s_mov_b32 s8, 0
.LBB93_44:                              ;   Parent Loop BB93_2 Depth=1
                                        ; =>  This Inner Loop Header: Depth=2
	s_delay_alu instid0(VALU_DEP_1) | instskip(NEXT) | instid1(VALU_DEP_1)
	v_sub_nc_u32_e32 v45, v44, v43
	v_lshrrev_b32_e32 v45, 1, v45
	s_delay_alu instid0(VALU_DEP_1) | instskip(NEXT) | instid1(VALU_DEP_1)
	v_add_nc_u32_e32 v45, v45, v43
	v_add_nc_u32_e32 v46, v7, v45
	v_xad_u32 v47, v45, -1, v27
	v_add_nc_u32_e32 v48, 1, v45
	ds_load_u8 v46, v46
	ds_load_u8 v47, v47
	s_wait_dscnt 0x0
	v_cmp_lt_u16_e64 s6, v47, v46
	s_wait_alu 0xf1ff
	s_delay_alu instid0(VALU_DEP_1) | instskip(SKIP_1) | instid1(VALU_DEP_1)
	v_cndmask_b32_e64 v44, v44, v45, s6
	v_cndmask_b32_e64 v43, v48, v43, s6
	v_cmp_ge_i32_e64 s6, v43, v44
	s_or_b32 s8, s6, s8
	s_delay_alu instid0(SALU_CYCLE_1)
	s_and_not1_b32 exec_lo, exec_lo, s8
	s_cbranch_execnz .LBB93_44
; %bb.45:                               ;   in Loop: Header=BB93_2 Depth=1
	s_or_b32 exec_lo, exec_lo, s8
.LBB93_46:                              ;   in Loop: Header=BB93_2 Depth=1
	s_wait_alu 0xfffe
	s_or_b32 exec_lo, exec_lo, s7
	v_add_nc_u32_e32 v46, v43, v7
	v_sub_nc_u32_e32 v45, v27, v43
	ds_load_u8 v43, v46
	ds_load_u8 v44, v45
	v_cmp_le_i32_e64 s6, v20, v46
	v_cmp_gt_i32_e64 s8, v21, v45
	s_wait_dscnt 0x1
	v_and_b32_e32 v47, 0xff, v43
	s_wait_dscnt 0x0
	v_and_b32_e32 v48, 0xff, v44
	s_delay_alu instid0(VALU_DEP_1)
	v_cmp_lt_u16_e64 s7, v48, v47
                                        ; implicit-def: $vgpr47
	s_or_b32 s6, s6, s7
	s_wait_alu 0xfffe
	s_and_b32 s6, s8, s6
	s_wait_alu 0xfffe
	s_xor_b32 s7, s6, -1
	s_wait_alu 0xfffe
	s_and_saveexec_b32 s8, s7
	s_delay_alu instid0(SALU_CYCLE_1)
	s_xor_b32 s7, exec_lo, s8
; %bb.47:                               ;   in Loop: Header=BB93_2 Depth=1
	ds_load_u8 v47, v46 offset:1
; %bb.48:                               ;   in Loop: Header=BB93_2 Depth=1
	s_wait_alu 0xfffe
	s_or_saveexec_b32 s7, s7
	v_mov_b32_e32 v48, v44
	s_wait_alu 0xfffe
	s_xor_b32 exec_lo, exec_lo, s7
	s_cbranch_execz .LBB93_50
; %bb.49:                               ;   in Loop: Header=BB93_2 Depth=1
	ds_load_u8 v48, v45 offset:1
	s_wait_dscnt 0x1
	v_mov_b32_e32 v47, v43
.LBB93_50:                              ;   in Loop: Header=BB93_2 Depth=1
	s_or_b32 exec_lo, exec_lo, s7
	v_add_nc_u32_e32 v49, 1, v46
	v_add_nc_u32_e32 v50, 1, v45
	s_wait_dscnt 0x0
	v_and_b32_e32 v51, 0xff, v47
	v_and_b32_e32 v52, 0xff, v48
	s_wait_loadcnt 0x0
	v_cndmask_b32_e64 v49, v49, v46, s6
	v_cndmask_b32_e64 v46, v46, v45, s6
	;; [unrolled: 1-line block ×3, first 2 shown]
	v_cmp_lt_u16_e64 s7, v52, v51
	s_barrier_signal -1
	v_cmp_ge_i32_e64 s8, v49, v20
	s_barrier_wait -1
	v_cmp_lt_i32_e64 s9, v45, v21
	global_inv scope:SCOPE_SE
	ds_store_b8 v1, v41
	ds_store_b8 v1, v42 offset:1
	s_or_b32 s7, s8, s7
	s_wait_loadcnt_dscnt 0x0
	s_wait_alu 0xfffe
	s_and_b32 s7, s9, s7
	s_barrier_signal -1
	s_wait_alu 0xfffe
	v_cndmask_b32_e64 v42, v49, v45, s7
	s_barrier_wait -1
	global_inv scope:SCOPE_SE
	v_cndmask_b32_e64 v43, v43, v44, s6
	ds_load_u8 v41, v46
	ds_load_u8 v42, v42
	v_cndmask_b32_e64 v47, v47, v48, s7
	s_wait_loadcnt_dscnt 0x0
	s_barrier_signal -1
	s_barrier_wait -1
	global_inv scope:SCOPE_SE
	ds_store_b8 v1, v43
	ds_store_b8 v1, v47 offset:1
	v_mov_b32_e32 v43, v8
	s_wait_loadcnt_dscnt 0x0
	s_barrier_signal -1
	s_barrier_wait -1
	global_inv scope:SCOPE_SE
	s_and_saveexec_b32 s7, vcc_lo
	s_cbranch_execz .LBB93_54
; %bb.51:                               ;   in Loop: Header=BB93_2 Depth=1
	v_dual_mov_b32 v43, v8 :: v_dual_mov_b32 v44, v9
	s_mov_b32 s8, 0
.LBB93_52:                              ;   Parent Loop BB93_2 Depth=1
                                        ; =>  This Inner Loop Header: Depth=2
	s_delay_alu instid0(VALU_DEP_1) | instskip(NEXT) | instid1(VALU_DEP_1)
	v_sub_nc_u32_e32 v45, v44, v43
	v_lshrrev_b32_e32 v45, 1, v45
	s_delay_alu instid0(VALU_DEP_1) | instskip(NEXT) | instid1(VALU_DEP_1)
	v_add_nc_u32_e32 v45, v45, v43
	v_xad_u32 v46, v45, -1, v40
	v_add_nc_u32_e32 v48, 1, v45
	ds_load_u8 v47, v45
	ds_load_u8 v46, v46
	s_wait_dscnt 0x0
	v_cmp_lt_u16_e64 s6, v46, v47
	s_wait_alu 0xf1ff
	s_delay_alu instid0(VALU_DEP_1) | instskip(SKIP_1) | instid1(VALU_DEP_1)
	v_cndmask_b32_e64 v44, v44, v45, s6
	v_cndmask_b32_e64 v43, v48, v43, s6
	v_cmp_ge_i32_e64 s6, v43, v44
	s_or_b32 s8, s6, s8
	s_delay_alu instid0(SALU_CYCLE_1)
	s_and_not1_b32 exec_lo, exec_lo, s8
	s_cbranch_execnz .LBB93_52
; %bb.53:                               ;   in Loop: Header=BB93_2 Depth=1
	s_or_b32 exec_lo, exec_lo, s8
.LBB93_54:                              ;   in Loop: Header=BB93_2 Depth=1
	s_wait_alu 0xfffe
	s_or_b32 exec_lo, exec_lo, s7
	v_sub_nc_u32_e32 v44, v40, v43
	v_cmp_le_i32_e64 s6, 0x80, v43
	ds_load_u8 v45, v43
	ds_load_u8 v46, v44
	v_cmp_gt_i32_e64 s8, 0x100, v44
	s_wait_dscnt 0x1
	v_and_b32_e32 v47, 0xff, v45
	s_wait_dscnt 0x0
	v_and_b32_e32 v48, 0xff, v46
	s_delay_alu instid0(VALU_DEP_1)
	v_cmp_lt_u16_e64 s7, v48, v47
                                        ; implicit-def: $vgpr48
                                        ; implicit-def: $vgpr47
	s_or_b32 s6, s6, s7
	s_wait_alu 0xfffe
	s_and_b32 s6, s8, s6
	s_wait_alu 0xfffe
	s_xor_b32 s7, s6, -1
	s_wait_alu 0xfffe
	s_and_saveexec_b32 s8, s7
	s_delay_alu instid0(SALU_CYCLE_1)
	s_xor_b32 s7, exec_lo, s8
; %bb.55:                               ;   in Loop: Header=BB93_2 Depth=1
	ds_load_u8 v48, v43 offset:1
	v_add_nc_u32_e32 v47, 1, v43
; %bb.56:                               ;   in Loop: Header=BB93_2 Depth=1
	s_wait_alu 0xfffe
	s_or_saveexec_b32 s7, s7
	v_dual_mov_b32 v49, v43 :: v_dual_mov_b32 v50, v46
	s_wait_alu 0xfffe
	s_xor_b32 exec_lo, exec_lo, s7
	s_cbranch_execz .LBB93_1
; %bb.57:                               ;   in Loop: Header=BB93_2 Depth=1
	ds_load_u8 v50, v44 offset:1
	s_wait_dscnt 0x1
	v_dual_mov_b32 v49, v44 :: v_dual_add_nc_u32 v48, 1, v44
	s_delay_alu instid0(VALU_DEP_1)
	v_dual_mov_b32 v47, v43 :: v_dual_mov_b32 v44, v48
	v_mov_b32_e32 v48, v45
	s_branch .LBB93_1
.LBB93_58:
	s_add_nc_u64 s[0:1], s[10:11], s[12:13]
	s_wait_dscnt 0x1
	v_add_nc_u16 v2, v42, v44
	s_wait_alu 0xfffe
	v_add_co_u32 v0, s0, s0, v0
	s_wait_alu 0xf1ff
	v_add_co_ci_u32_e64 v1, null, s1, 0, s0
	s_wait_dscnt 0x0
	v_add_nc_u16 v3, v41, v43
	s_clause 0x1
	global_store_b8 v[0:1], v2, off
	global_store_b8 v[0:1], v3, off offset:128
	s_endpgm
	.section	.rodata,"a",@progbits
	.p2align	6, 0x0
	.amdhsa_kernel _Z17sort_pairs_kernelIhLj128ELj2EN10test_utils4lessELj10EEvPKT_PS2_T2_
		.amdhsa_group_segment_fixed_size 257
		.amdhsa_private_segment_fixed_size 0
		.amdhsa_kernarg_size 20
		.amdhsa_user_sgpr_count 2
		.amdhsa_user_sgpr_dispatch_ptr 0
		.amdhsa_user_sgpr_queue_ptr 0
		.amdhsa_user_sgpr_kernarg_segment_ptr 1
		.amdhsa_user_sgpr_dispatch_id 0
		.amdhsa_user_sgpr_private_segment_size 0
		.amdhsa_wavefront_size32 1
		.amdhsa_uses_dynamic_stack 0
		.amdhsa_enable_private_segment 0
		.amdhsa_system_sgpr_workgroup_id_x 1
		.amdhsa_system_sgpr_workgroup_id_y 0
		.amdhsa_system_sgpr_workgroup_id_z 0
		.amdhsa_system_sgpr_workgroup_info 0
		.amdhsa_system_vgpr_workitem_id 0
		.amdhsa_next_free_vgpr 54
		.amdhsa_next_free_sgpr 15
		.amdhsa_reserve_vcc 1
		.amdhsa_float_round_mode_32 0
		.amdhsa_float_round_mode_16_64 0
		.amdhsa_float_denorm_mode_32 3
		.amdhsa_float_denorm_mode_16_64 3
		.amdhsa_fp16_overflow 0
		.amdhsa_workgroup_processor_mode 1
		.amdhsa_memory_ordered 1
		.amdhsa_forward_progress 1
		.amdhsa_inst_pref_size 38
		.amdhsa_round_robin_scheduling 0
		.amdhsa_exception_fp_ieee_invalid_op 0
		.amdhsa_exception_fp_denorm_src 0
		.amdhsa_exception_fp_ieee_div_zero 0
		.amdhsa_exception_fp_ieee_overflow 0
		.amdhsa_exception_fp_ieee_underflow 0
		.amdhsa_exception_fp_ieee_inexact 0
		.amdhsa_exception_int_div_zero 0
	.end_amdhsa_kernel
	.section	.text._Z17sort_pairs_kernelIhLj128ELj2EN10test_utils4lessELj10EEvPKT_PS2_T2_,"axG",@progbits,_Z17sort_pairs_kernelIhLj128ELj2EN10test_utils4lessELj10EEvPKT_PS2_T2_,comdat
.Lfunc_end93:
	.size	_Z17sort_pairs_kernelIhLj128ELj2EN10test_utils4lessELj10EEvPKT_PS2_T2_, .Lfunc_end93-_Z17sort_pairs_kernelIhLj128ELj2EN10test_utils4lessELj10EEvPKT_PS2_T2_
                                        ; -- End function
	.set _Z17sort_pairs_kernelIhLj128ELj2EN10test_utils4lessELj10EEvPKT_PS2_T2_.num_vgpr, 54
	.set _Z17sort_pairs_kernelIhLj128ELj2EN10test_utils4lessELj10EEvPKT_PS2_T2_.num_agpr, 0
	.set _Z17sort_pairs_kernelIhLj128ELj2EN10test_utils4lessELj10EEvPKT_PS2_T2_.numbered_sgpr, 15
	.set _Z17sort_pairs_kernelIhLj128ELj2EN10test_utils4lessELj10EEvPKT_PS2_T2_.num_named_barrier, 0
	.set _Z17sort_pairs_kernelIhLj128ELj2EN10test_utils4lessELj10EEvPKT_PS2_T2_.private_seg_size, 0
	.set _Z17sort_pairs_kernelIhLj128ELj2EN10test_utils4lessELj10EEvPKT_PS2_T2_.uses_vcc, 1
	.set _Z17sort_pairs_kernelIhLj128ELj2EN10test_utils4lessELj10EEvPKT_PS2_T2_.uses_flat_scratch, 0
	.set _Z17sort_pairs_kernelIhLj128ELj2EN10test_utils4lessELj10EEvPKT_PS2_T2_.has_dyn_sized_stack, 0
	.set _Z17sort_pairs_kernelIhLj128ELj2EN10test_utils4lessELj10EEvPKT_PS2_T2_.has_recursion, 0
	.set _Z17sort_pairs_kernelIhLj128ELj2EN10test_utils4lessELj10EEvPKT_PS2_T2_.has_indirect_call, 0
	.section	.AMDGPU.csdata,"",@progbits
; Kernel info:
; codeLenInByte = 4744
; TotalNumSgprs: 17
; NumVgprs: 54
; ScratchSize: 0
; MemoryBound: 0
; FloatMode: 240
; IeeeMode: 1
; LDSByteSize: 257 bytes/workgroup (compile time only)
; SGPRBlocks: 0
; VGPRBlocks: 6
; NumSGPRsForWavesPerEU: 17
; NumVGPRsForWavesPerEU: 54
; Occupancy: 16
; WaveLimiterHint : 1
; COMPUTE_PGM_RSRC2:SCRATCH_EN: 0
; COMPUTE_PGM_RSRC2:USER_SGPR: 2
; COMPUTE_PGM_RSRC2:TRAP_HANDLER: 0
; COMPUTE_PGM_RSRC2:TGID_X_EN: 1
; COMPUTE_PGM_RSRC2:TGID_Y_EN: 0
; COMPUTE_PGM_RSRC2:TGID_Z_EN: 0
; COMPUTE_PGM_RSRC2:TIDIG_COMP_CNT: 0
	.section	.text._Z16sort_keys_kernelIhLj128ELj3EN10test_utils4lessELj10EEvPKT_PS2_T2_,"axG",@progbits,_Z16sort_keys_kernelIhLj128ELj3EN10test_utils4lessELj10EEvPKT_PS2_T2_,comdat
	.protected	_Z16sort_keys_kernelIhLj128ELj3EN10test_utils4lessELj10EEvPKT_PS2_T2_ ; -- Begin function _Z16sort_keys_kernelIhLj128ELj3EN10test_utils4lessELj10EEvPKT_PS2_T2_
	.globl	_Z16sort_keys_kernelIhLj128ELj3EN10test_utils4lessELj10EEvPKT_PS2_T2_
	.p2align	8
	.type	_Z16sort_keys_kernelIhLj128ELj3EN10test_utils4lessELj10EEvPKT_PS2_T2_,@function
_Z16sort_keys_kernelIhLj128ELj3EN10test_utils4lessELj10EEvPKT_PS2_T2_: ; @_Z16sort_keys_kernelIhLj128ELj3EN10test_utils4lessELj10EEvPKT_PS2_T2_
; %bb.0:
	s_load_b128 s[8:11], s[0:1], 0x0
	s_mul_i32 s12, ttmp9, 0x180
	s_mov_b32 s13, 0
	v_and_b32_e32 v3, 0x7e, v0
	v_and_b32_e32 v5, 0x7c, v0
	;; [unrolled: 1-line block ×5, first 2 shown]
	v_mul_u32_u24_e32 v10, 3, v3
	v_and_b32_e32 v8, 0x60, v0
	v_mul_u32_u24_e32 v11, 3, v5
	v_mul_u32_u24_e32 v12, 3, v6
	v_and_b32_e32 v9, 64, v0
	v_min_u32_e32 v23, 0x17d, v10
	v_min_u32_e32 v16, 0x17a, v10
	v_cmp_eq_u32_e32 vcc_lo, 1, v4
	v_mul_u32_u24_e32 v13, 3, v7
	v_mul_u32_u24_e32 v14, 3, v8
	v_min_u32_e32 v6, 0x180, v11
	v_min_u32_e32 v24, 0x17a, v11
	s_wait_kmcnt 0x0
	s_add_nc_u64 s[0:1], s[8:9], s[12:13]
	v_min_u32_e32 v17, 0x174, v11
	s_clause 0x2
	global_load_u8 v46, v0, s[0:1] offset:128
	global_load_u8 v47, v0, s[0:1] offset:256
	global_load_u8 v48, v0, s[0:1]
	v_min_u32_e32 v7, 0x180, v12
	v_min_u32_e32 v25, 0x174, v12
	;; [unrolled: 1-line block ×3, first 2 shown]
	v_add_nc_u32_e32 v11, 3, v23
	v_add_nc_u32_e32 v12, 6, v16
	v_and_b32_e32 v29, 3, v0
	v_cndmask_b32_e64 v40, 0, 3, vcc_lo
	v_mul_u32_u24_e32 v15, 3, v9
	v_min_u32_e32 v5, 0x180, v10
	v_min_u32_e32 v8, 0x180, v13
	;; [unrolled: 1-line block ×7, first 2 shown]
	v_add_nc_u32_e32 v13, 6, v24
	v_add_nc_u32_e32 v14, 12, v17
	v_sub_nc_u32_e32 v49, v12, v11
	v_and_b32_e32 v30, 7, v0
	v_mul_u32_u24_e32 v41, 3, v29
	v_min_u32_e32 v10, 0x180, v15
	v_min_u32_e32 v51, 0x120, v15
	;; [unrolled: 1-line block ×3, first 2 shown]
	v_add_nc_u32_e32 v15, 12, v25
	v_add_nc_u32_e32 v16, 24, v18
	v_sub_nc_u32_e32 v34, v11, v5
	v_sub_nc_u32_e32 v52, v14, v13
	;; [unrolled: 1-line block ×3, first 2 shown]
	v_cmp_ge_i32_e64 s0, v40, v49
	v_and_b32_e32 v31, 15, v0
	v_mul_u32_u24_e32 v42, 3, v30
	v_add_nc_u32_e32 v17, 24, v26
	v_add_nc_u32_e32 v18, 48, v19
	;; [unrolled: 1-line block ×4, first 2 shown]
	v_sub_nc_u32_e32 v35, v13, v6
	v_sub_nc_u32_e32 v53, v16, v15
	v_min_i32_e32 v34, v40, v34
	v_sub_nc_u32_e32 v58, v41, v52
	v_cndmask_b32_e64 v40, 0, v57, s0
	v_cmp_ge_i32_e64 s0, v41, v52
	v_and_b32_e32 v32, 31, v0
	v_mul_u32_u24_e32 v43, 3, v31
	v_add_nc_u32_e32 v19, 48, v27
	v_add_nc_u32_e32 v20, 0x60, v20
	v_sub_nc_u32_e32 v36, v15, v7
	v_sub_nc_u32_e32 v54, v18, v17
	v_min_i32_e32 v35, v41, v35
	v_sub_nc_u32_e32 v59, v42, v53
	s_wait_alu 0xf1ff
	v_cndmask_b32_e64 v41, 0, v58, s0
	v_cmp_ge_i32_e64 s0, v42, v53
	v_and_b32_e32 v50, 63, v0
	v_mul_u32_u24_e32 v44, 3, v32
	v_add_nc_u32_e32 v21, 0x60, v51
	v_add_nc_u32_e32 v22, 0xc0, v22
	v_sub_nc_u32_e32 v37, v17, v8
	v_sub_nc_u32_e32 v55, v20, v19
	v_min_i32_e32 v36, v42, v36
	v_sub_nc_u32_e32 v60, v43, v54
	s_wait_alu 0xf1ff
	v_cndmask_b32_e64 v42, 0, v59, s0
	v_cmp_ge_i32_e64 s0, v43, v54
	v_mul_u32_u24_e32 v45, 3, v50
	v_sub_nc_u32_e32 v38, v19, v9
	v_sub_nc_u32_e32 v56, v22, v21
	v_min_i32_e32 v37, v43, v37
	v_sub_nc_u32_e32 v61, v44, v55
	s_wait_alu 0xf1ff
	v_cndmask_b32_e64 v43, 0, v60, s0
	v_cmp_ge_i32_e64 s0, v44, v55
	v_sub_nc_u32_e32 v39, v21, v10
	v_min_i32_e32 v38, v44, v38
	v_sub_nc_u32_e32 v62, v45, v56
	v_mul_u32_u24_e32 v1, 3, v0
	s_wait_alu 0xf1ff
	v_cndmask_b32_e64 v44, 0, v61, s0
	v_cmp_ge_i32_e64 s0, v45, v56
	v_min_i32_e32 v39, v45, v39
	v_mad_u32_u24 v2, v0, 3, 0xc0
	v_subrev_nc_u32_e64 v3, 0xc0, v1 clamp
	v_min_i32_e32 v4, 0xc0, v1
	s_wait_alu 0xf1ff
	v_cndmask_b32_e64 v45, 0, v62, s0
	v_mad_u32_u24 v24, v29, 3, v24
	v_mad_u32_u24 v25, v30, 3, v25
	;; [unrolled: 1-line block ×9, first 2 shown]
	v_cmp_lt_i32_e64 s0, v40, v34
	v_cmp_lt_i32_e64 s1, v41, v35
	;; [unrolled: 1-line block ×6, first 2 shown]
	s_mov_b32 s14, s13
	v_cmp_lt_i32_e32 vcc_lo, v3, v4
	s_wait_loadcnt 0x0
	v_perm_b32 v46, v48, v46, 0xc0c0004
	s_delay_alu instid0(VALU_DEP_1)
	v_lshl_or_b32 v49, v47, 16, v46
	v_mad_u32_u24 v46, v50, 3, v51
	s_branch .LBB94_2
.LBB94_1:                               ;   in Loop: Header=BB94_2 Depth=1
	s_or_b32 exec_lo, exec_lo, s8
	s_wait_dscnt 0x0
	v_and_b32_e32 v54, 0xff, v52
	v_and_b32_e32 v56, 0xff, v55
	v_cndmask_b32_e64 v50, v50, v51, s7
	v_cmp_le_i32_e64 s7, 0xc0, v53
	v_cndmask_b32_e64 v47, v47, v48, s6
	v_cmp_gt_i32_e64 s6, 0x180, v49
	v_cmp_lt_u16_e64 s8, v56, v54
	v_lshlrev_b16 v49, 8, v50
	s_add_co_i32 s14, s14, 1
	v_and_b32_e32 v51, 0xff, v47
	s_or_b32 s7, s7, s8
	s_wait_alu 0xfffe
	s_and_b32 s6, s6, s7
	s_delay_alu instid0(VALU_DEP_1) | instskip(SKIP_3) | instid1(VALU_DEP_2)
	v_or_b32_e32 v49, v51, v49
	s_wait_alu 0xfffe
	v_cndmask_b32_e64 v48, v52, v55, s6
	s_cmp_eq_u32 s14, 10
	v_and_b32_e32 v49, 0xffff, v49
	s_delay_alu instid0(VALU_DEP_2) | instskip(NEXT) | instid1(VALU_DEP_1)
	v_and_b32_e32 v51, 0xff, v48
	v_lshlrev_b32_e32 v51, 16, v51
	s_delay_alu instid0(VALU_DEP_1)
	v_or_b32_e32 v49, v49, v51
	s_cbranch_scc1 .LBB94_86
.LBB94_2:                               ; =>This Loop Header: Depth=1
                                        ;     Child Loop BB94_4 Depth 2
                                        ;     Child Loop BB94_16 Depth 2
	;; [unrolled: 1-line block ×7, first 2 shown]
	s_delay_alu instid0(VALU_DEP_1) | instskip(SKIP_3) | instid1(VALU_DEP_3)
	v_lshrrev_b32_e32 v47, 8, v49
	v_and_b32_e32 v48, 0xff, v49
	v_perm_b32 v50, v49, v49, 0x7060405
	s_barrier_signal -1
	v_and_b32_e32 v47, 0xff, v47
	s_barrier_wait -1
	global_inv scope:SCOPE_SE
	v_cmp_lt_u16_e64 s6, v47, v48
	v_max_u16 v51, v47, v48
	v_min_u16 v47, v47, v48
	s_wait_alu 0xf1ff
	s_delay_alu instid0(VALU_DEP_3) | instskip(NEXT) | instid1(VALU_DEP_1)
	v_cndmask_b32_e64 v49, v49, v50, s6
	v_lshrrev_b32_e32 v50, 16, v49
	v_and_b32_e32 v52, 0xff, v49
	s_delay_alu instid0(VALU_DEP_2) | instskip(SKIP_2) | instid1(VALU_DEP_3)
	v_lshlrev_b16 v53, 8, v50
	v_and_b32_e32 v54, 0xffffff00, v50
	v_and_b32_e32 v48, 0xff, v50
	v_or_b32_e32 v50, v52, v53
	s_delay_alu instid0(VALU_DEP_3) | instskip(SKIP_1) | instid1(VALU_DEP_4)
	v_or_b32_e32 v52, v51, v54
	v_lshlrev_b16 v53, 8, v47
	v_min_u16 v54, v48, v51
	v_cmp_lt_u16_e64 s6, v48, v51
	v_and_b32_e32 v50, 0xffff, v50
	v_lshlrev_b32_e32 v52, 16, v52
	s_delay_alu instid0(VALU_DEP_4) | instskip(NEXT) | instid1(VALU_DEP_2)
	v_or_b32_e32 v53, v54, v53
	v_or_b32_e32 v50, v50, v52
	s_delay_alu instid0(VALU_DEP_2) | instskip(SKIP_1) | instid1(VALU_DEP_2)
	v_and_b32_e32 v52, 0xffff, v53
	s_wait_alu 0xf1ff
	v_cndmask_b32_e64 v49, v49, v50, s6
	v_cmp_lt_u16_e64 s6, v48, v47
	s_delay_alu instid0(VALU_DEP_2) | instskip(SKIP_1) | instid1(VALU_DEP_1)
	v_and_or_b32 v50, 0xffff0000, v49, v52
	s_wait_alu 0xf1ff
	v_cndmask_b32_e64 v47, v49, v50, s6
	v_mov_b32_e32 v49, v40
	s_delay_alu instid0(VALU_DEP_2)
	v_lshrrev_b32_e32 v48, 8, v47
	ds_store_b8 v1, v47
	ds_store_b8 v1, v48 offset:1
	ds_store_b8_d16_hi v1, v47 offset:2
	s_wait_loadcnt_dscnt 0x0
	s_barrier_signal -1
	s_barrier_wait -1
	global_inv scope:SCOPE_SE
	s_and_saveexec_b32 s7, s0
	s_cbranch_execz .LBB94_6
; %bb.3:                                ;   in Loop: Header=BB94_2 Depth=1
	v_mov_b32_e32 v49, v40
	v_mov_b32_e32 v47, v34
	s_mov_b32 s8, 0
.LBB94_4:                               ;   Parent Loop BB94_2 Depth=1
                                        ; =>  This Inner Loop Header: Depth=2
	s_delay_alu instid0(VALU_DEP_1) | instskip(NEXT) | instid1(VALU_DEP_1)
	v_sub_nc_u32_e32 v48, v47, v49
	v_lshrrev_b32_e32 v48, 1, v48
	s_delay_alu instid0(VALU_DEP_1) | instskip(NEXT) | instid1(VALU_DEP_1)
	v_add_nc_u32_e32 v48, v48, v49
	v_add_nc_u32_e32 v50, v5, v48
	v_xad_u32 v51, v48, -1, v23
	v_add_nc_u32_e32 v52, 1, v48
	ds_load_u8 v50, v50
	ds_load_u8 v51, v51 offset:3
	s_wait_dscnt 0x0
	v_cmp_lt_u16_e64 s6, v51, v50
	s_wait_alu 0xf1ff
	s_delay_alu instid0(VALU_DEP_1) | instskip(SKIP_1) | instid1(VALU_DEP_1)
	v_cndmask_b32_e64 v47, v47, v48, s6
	v_cndmask_b32_e64 v49, v52, v49, s6
	v_cmp_ge_i32_e64 s6, v49, v47
	s_or_b32 s8, s6, s8
	s_delay_alu instid0(SALU_CYCLE_1)
	s_and_not1_b32 exec_lo, exec_lo, s8
	s_cbranch_execnz .LBB94_4
; %bb.5:                                ;   in Loop: Header=BB94_2 Depth=1
	s_or_b32 exec_lo, exec_lo, s8
.LBB94_6:                               ;   in Loop: Header=BB94_2 Depth=1
	s_wait_alu 0xfffe
	s_or_b32 exec_lo, exec_lo, s7
	v_add_nc_u32_e32 v51, v49, v5
	v_sub_nc_u32_e32 v53, v23, v49
	v_sub_nc_u32_e32 v52, v28, v49
                                        ; implicit-def: $vgpr49
	ds_load_u8 v47, v51
	ds_load_u8 v48, v53 offset:3
	v_cmp_le_i32_e64 s6, v11, v51
	v_cmp_gt_i32_e64 s8, v12, v52
	s_wait_dscnt 0x1
	v_and_b32_e32 v50, 0xff, v47
	s_wait_dscnt 0x0
	v_and_b32_e32 v54, 0xff, v48
	s_delay_alu instid0(VALU_DEP_1)
	v_cmp_lt_u16_e64 s7, v54, v50
	s_or_b32 s6, s6, s7
	s_wait_alu 0xfffe
	s_and_b32 s6, s8, s6
	s_wait_alu 0xfffe
	s_xor_b32 s7, s6, -1
	s_wait_alu 0xfffe
	s_and_saveexec_b32 s8, s7
	s_delay_alu instid0(SALU_CYCLE_1)
	s_xor_b32 s7, exec_lo, s8
; %bb.7:                                ;   in Loop: Header=BB94_2 Depth=1
	ds_load_u8 v49, v51 offset:1
                                        ; implicit-def: $vgpr53
; %bb.8:                                ;   in Loop: Header=BB94_2 Depth=1
	s_wait_alu 0xfffe
	s_or_saveexec_b32 s7, s7
	v_mov_b32_e32 v50, v48
	s_wait_alu 0xfffe
	s_xor_b32 exec_lo, exec_lo, s7
	s_cbranch_execz .LBB94_10
; %bb.9:                                ;   in Loop: Header=BB94_2 Depth=1
	ds_load_u8 v50, v53 offset:4
	s_wait_dscnt 0x1
	v_mov_b32_e32 v49, v47
.LBB94_10:                              ;   in Loop: Header=BB94_2 Depth=1
	s_or_b32 exec_lo, exec_lo, s7
	v_add_nc_u32_e32 v53, 1, v51
	v_add_nc_u32_e32 v54, 1, v52
	s_wait_dscnt 0x0
	v_and_b32_e32 v55, 0xff, v49
	s_delay_alu instid0(VALU_DEP_3) | instskip(SKIP_2) | instid1(VALU_DEP_3)
	v_cndmask_b32_e64 v53, v53, v51, s6
	v_and_b32_e32 v51, 0xff, v50
	v_cndmask_b32_e64 v52, v52, v54, s6
	v_cmp_ge_i32_e64 s7, v53, v11
	s_delay_alu instid0(VALU_DEP_3) | instskip(NEXT) | instid1(VALU_DEP_3)
	v_cmp_lt_u16_e64 s8, v51, v55
	v_cmp_lt_i32_e64 s9, v52, v12
                                        ; implicit-def: $vgpr51
	s_or_b32 s7, s7, s8
	s_wait_alu 0xfffe
	s_and_b32 s7, s9, s7
	s_wait_alu 0xfffe
	s_xor_b32 s8, s7, -1
	s_delay_alu instid0(SALU_CYCLE_1) | instskip(NEXT) | instid1(SALU_CYCLE_1)
	s_and_saveexec_b32 s9, s8
	s_xor_b32 s8, exec_lo, s9
; %bb.11:                               ;   in Loop: Header=BB94_2 Depth=1
	ds_load_u8 v51, v53 offset:1
; %bb.12:                               ;   in Loop: Header=BB94_2 Depth=1
	s_or_saveexec_b32 s8, s8
	v_mov_b32_e32 v54, v50
	s_xor_b32 exec_lo, exec_lo, s8
	s_cbranch_execz .LBB94_14
; %bb.13:                               ;   in Loop: Header=BB94_2 Depth=1
	ds_load_u8 v54, v52 offset:1
	s_wait_dscnt 0x1
	v_mov_b32_e32 v51, v49
.LBB94_14:                              ;   in Loop: Header=BB94_2 Depth=1
	s_or_b32 exec_lo, exec_lo, s8
	v_add_nc_u32_e32 v55, 1, v53
	v_add_nc_u32_e32 v56, 1, v52
	s_wait_dscnt 0x0
	v_and_b32_e32 v57, 0xff, v51
	v_and_b32_e32 v58, 0xff, v54
	v_cndmask_b32_e64 v50, v49, v50, s7
	v_cndmask_b32_e64 v53, v55, v53, s7
	v_mov_b32_e32 v49, v41
	v_cndmask_b32_e64 v52, v52, v56, s7
	v_cmp_lt_u16_e64 s7, v58, v57
	v_cndmask_b32_e64 v47, v47, v48, s6
	v_cmp_ge_i32_e64 s8, v53, v11
	s_wait_loadcnt 0x0
	v_cmp_lt_i32_e64 s6, v52, v12
	s_barrier_signal -1
	s_barrier_wait -1
	s_or_b32 s7, s8, s7
	global_inv scope:SCOPE_SE
	s_wait_alu 0xfffe
	s_and_b32 s6, s6, s7
	s_wait_alu 0xfffe
	v_cndmask_b32_e64 v48, v51, v54, s6
	ds_store_b8 v1, v47
	ds_store_b8 v1, v50 offset:1
	ds_store_b8 v1, v48 offset:2
	s_wait_loadcnt_dscnt 0x0
	s_barrier_signal -1
	s_barrier_wait -1
	global_inv scope:SCOPE_SE
	s_and_saveexec_b32 s7, s1
	s_cbranch_execz .LBB94_18
; %bb.15:                               ;   in Loop: Header=BB94_2 Depth=1
	v_mov_b32_e32 v49, v41
	v_mov_b32_e32 v47, v35
	s_mov_b32 s8, 0
.LBB94_16:                              ;   Parent Loop BB94_2 Depth=1
                                        ; =>  This Inner Loop Header: Depth=2
	s_delay_alu instid0(VALU_DEP_1) | instskip(NEXT) | instid1(VALU_DEP_1)
	v_sub_nc_u32_e32 v48, v47, v49
	v_lshrrev_b32_e32 v48, 1, v48
	s_delay_alu instid0(VALU_DEP_1) | instskip(NEXT) | instid1(VALU_DEP_1)
	v_add_nc_u32_e32 v48, v48, v49
	v_add_nc_u32_e32 v50, v6, v48
	v_xad_u32 v51, v48, -1, v24
	v_add_nc_u32_e32 v52, 1, v48
	ds_load_u8 v50, v50
	ds_load_u8 v51, v51 offset:6
	s_wait_dscnt 0x0
	v_cmp_lt_u16_e64 s6, v51, v50
	s_wait_alu 0xf1ff
	s_delay_alu instid0(VALU_DEP_1) | instskip(SKIP_1) | instid1(VALU_DEP_1)
	v_cndmask_b32_e64 v47, v47, v48, s6
	v_cndmask_b32_e64 v49, v52, v49, s6
	v_cmp_ge_i32_e64 s6, v49, v47
	s_or_b32 s8, s6, s8
	s_delay_alu instid0(SALU_CYCLE_1)
	s_and_not1_b32 exec_lo, exec_lo, s8
	s_cbranch_execnz .LBB94_16
; %bb.17:                               ;   in Loop: Header=BB94_2 Depth=1
	s_or_b32 exec_lo, exec_lo, s8
.LBB94_18:                              ;   in Loop: Header=BB94_2 Depth=1
	s_wait_alu 0xfffe
	s_or_b32 exec_lo, exec_lo, s7
	v_add_nc_u32_e32 v51, v49, v6
	v_sub_nc_u32_e32 v53, v24, v49
	v_sub_nc_u32_e32 v52, v29, v49
                                        ; implicit-def: $vgpr49
	ds_load_u8 v47, v51
	ds_load_u8 v48, v53 offset:6
	v_cmp_le_i32_e64 s6, v13, v51
	v_cmp_gt_i32_e64 s8, v14, v52
	s_wait_dscnt 0x1
	v_and_b32_e32 v50, 0xff, v47
	s_wait_dscnt 0x0
	v_and_b32_e32 v54, 0xff, v48
	s_delay_alu instid0(VALU_DEP_1)
	v_cmp_lt_u16_e64 s7, v54, v50
	s_or_b32 s6, s6, s7
	s_wait_alu 0xfffe
	s_and_b32 s6, s8, s6
	s_wait_alu 0xfffe
	s_xor_b32 s7, s6, -1
	s_wait_alu 0xfffe
	s_and_saveexec_b32 s8, s7
	s_delay_alu instid0(SALU_CYCLE_1)
	s_xor_b32 s7, exec_lo, s8
; %bb.19:                               ;   in Loop: Header=BB94_2 Depth=1
	ds_load_u8 v49, v51 offset:1
                                        ; implicit-def: $vgpr53
; %bb.20:                               ;   in Loop: Header=BB94_2 Depth=1
	s_wait_alu 0xfffe
	s_or_saveexec_b32 s7, s7
	v_mov_b32_e32 v50, v48
	s_wait_alu 0xfffe
	s_xor_b32 exec_lo, exec_lo, s7
	s_cbranch_execz .LBB94_22
; %bb.21:                               ;   in Loop: Header=BB94_2 Depth=1
	ds_load_u8 v50, v53 offset:7
	s_wait_dscnt 0x1
	v_mov_b32_e32 v49, v47
.LBB94_22:                              ;   in Loop: Header=BB94_2 Depth=1
	s_or_b32 exec_lo, exec_lo, s7
	v_add_nc_u32_e32 v53, 1, v51
	v_add_nc_u32_e32 v54, 1, v52
	s_wait_dscnt 0x0
	v_and_b32_e32 v55, 0xff, v49
	s_delay_alu instid0(VALU_DEP_3) | instskip(SKIP_2) | instid1(VALU_DEP_3)
	v_cndmask_b32_e64 v53, v53, v51, s6
	v_and_b32_e32 v51, 0xff, v50
	v_cndmask_b32_e64 v52, v52, v54, s6
	v_cmp_ge_i32_e64 s7, v53, v13
	s_delay_alu instid0(VALU_DEP_3) | instskip(NEXT) | instid1(VALU_DEP_3)
	v_cmp_lt_u16_e64 s8, v51, v55
	v_cmp_lt_i32_e64 s9, v52, v14
                                        ; implicit-def: $vgpr51
	s_or_b32 s7, s7, s8
	s_wait_alu 0xfffe
	s_and_b32 s7, s9, s7
	s_wait_alu 0xfffe
	s_xor_b32 s8, s7, -1
	s_delay_alu instid0(SALU_CYCLE_1) | instskip(NEXT) | instid1(SALU_CYCLE_1)
	s_and_saveexec_b32 s9, s8
	s_xor_b32 s8, exec_lo, s9
; %bb.23:                               ;   in Loop: Header=BB94_2 Depth=1
	ds_load_u8 v51, v53 offset:1
; %bb.24:                               ;   in Loop: Header=BB94_2 Depth=1
	s_or_saveexec_b32 s8, s8
	v_mov_b32_e32 v54, v50
	s_xor_b32 exec_lo, exec_lo, s8
	s_cbranch_execz .LBB94_26
; %bb.25:                               ;   in Loop: Header=BB94_2 Depth=1
	ds_load_u8 v54, v52 offset:1
	s_wait_dscnt 0x1
	v_mov_b32_e32 v51, v49
.LBB94_26:                              ;   in Loop: Header=BB94_2 Depth=1
	s_or_b32 exec_lo, exec_lo, s8
	v_add_nc_u32_e32 v55, 1, v53
	v_add_nc_u32_e32 v56, 1, v52
	s_wait_dscnt 0x0
	v_and_b32_e32 v57, 0xff, v51
	v_and_b32_e32 v58, 0xff, v54
	v_cndmask_b32_e64 v50, v49, v50, s7
	v_cndmask_b32_e64 v53, v55, v53, s7
	v_mov_b32_e32 v49, v42
	v_cndmask_b32_e64 v52, v52, v56, s7
	v_cmp_lt_u16_e64 s7, v58, v57
	v_cndmask_b32_e64 v47, v47, v48, s6
	v_cmp_ge_i32_e64 s8, v53, v13
	s_wait_loadcnt 0x0
	v_cmp_lt_i32_e64 s6, v52, v14
	s_barrier_signal -1
	s_barrier_wait -1
	s_or_b32 s7, s8, s7
	global_inv scope:SCOPE_SE
	s_wait_alu 0xfffe
	s_and_b32 s6, s6, s7
	s_wait_alu 0xfffe
	v_cndmask_b32_e64 v48, v51, v54, s6
	ds_store_b8 v1, v47
	ds_store_b8 v1, v50 offset:1
	ds_store_b8 v1, v48 offset:2
	s_wait_loadcnt_dscnt 0x0
	s_barrier_signal -1
	s_barrier_wait -1
	global_inv scope:SCOPE_SE
	s_and_saveexec_b32 s7, s2
	s_cbranch_execz .LBB94_30
; %bb.27:                               ;   in Loop: Header=BB94_2 Depth=1
	v_mov_b32_e32 v49, v42
	v_mov_b32_e32 v47, v36
	s_mov_b32 s8, 0
.LBB94_28:                              ;   Parent Loop BB94_2 Depth=1
                                        ; =>  This Inner Loop Header: Depth=2
	s_delay_alu instid0(VALU_DEP_1) | instskip(NEXT) | instid1(VALU_DEP_1)
	v_sub_nc_u32_e32 v48, v47, v49
	v_lshrrev_b32_e32 v48, 1, v48
	s_delay_alu instid0(VALU_DEP_1) | instskip(NEXT) | instid1(VALU_DEP_1)
	v_add_nc_u32_e32 v48, v48, v49
	v_add_nc_u32_e32 v50, v7, v48
	v_xad_u32 v51, v48, -1, v25
	v_add_nc_u32_e32 v52, 1, v48
	ds_load_u8 v50, v50
	ds_load_u8 v51, v51 offset:12
	s_wait_dscnt 0x0
	v_cmp_lt_u16_e64 s6, v51, v50
	s_wait_alu 0xf1ff
	s_delay_alu instid0(VALU_DEP_1) | instskip(SKIP_1) | instid1(VALU_DEP_1)
	v_cndmask_b32_e64 v47, v47, v48, s6
	v_cndmask_b32_e64 v49, v52, v49, s6
	v_cmp_ge_i32_e64 s6, v49, v47
	s_or_b32 s8, s6, s8
	s_delay_alu instid0(SALU_CYCLE_1)
	s_and_not1_b32 exec_lo, exec_lo, s8
	s_cbranch_execnz .LBB94_28
; %bb.29:                               ;   in Loop: Header=BB94_2 Depth=1
	s_or_b32 exec_lo, exec_lo, s8
.LBB94_30:                              ;   in Loop: Header=BB94_2 Depth=1
	s_wait_alu 0xfffe
	s_or_b32 exec_lo, exec_lo, s7
	v_add_nc_u32_e32 v51, v49, v7
	v_sub_nc_u32_e32 v53, v25, v49
	v_sub_nc_u32_e32 v52, v30, v49
                                        ; implicit-def: $vgpr49
	ds_load_u8 v47, v51
	ds_load_u8 v48, v53 offset:12
	v_cmp_le_i32_e64 s6, v15, v51
	v_cmp_gt_i32_e64 s8, v16, v52
	s_wait_dscnt 0x1
	v_and_b32_e32 v50, 0xff, v47
	s_wait_dscnt 0x0
	v_and_b32_e32 v54, 0xff, v48
	s_delay_alu instid0(VALU_DEP_1)
	v_cmp_lt_u16_e64 s7, v54, v50
	s_or_b32 s6, s6, s7
	s_wait_alu 0xfffe
	s_and_b32 s6, s8, s6
	s_wait_alu 0xfffe
	s_xor_b32 s7, s6, -1
	s_wait_alu 0xfffe
	s_and_saveexec_b32 s8, s7
	s_delay_alu instid0(SALU_CYCLE_1)
	s_xor_b32 s7, exec_lo, s8
; %bb.31:                               ;   in Loop: Header=BB94_2 Depth=1
	ds_load_u8 v49, v51 offset:1
                                        ; implicit-def: $vgpr53
; %bb.32:                               ;   in Loop: Header=BB94_2 Depth=1
	s_wait_alu 0xfffe
	s_or_saveexec_b32 s7, s7
	v_mov_b32_e32 v50, v48
	s_wait_alu 0xfffe
	s_xor_b32 exec_lo, exec_lo, s7
	s_cbranch_execz .LBB94_34
; %bb.33:                               ;   in Loop: Header=BB94_2 Depth=1
	ds_load_u8 v50, v53 offset:13
	s_wait_dscnt 0x1
	v_mov_b32_e32 v49, v47
.LBB94_34:                              ;   in Loop: Header=BB94_2 Depth=1
	s_or_b32 exec_lo, exec_lo, s7
	v_add_nc_u32_e32 v53, 1, v51
	v_add_nc_u32_e32 v54, 1, v52
	s_wait_dscnt 0x0
	v_and_b32_e32 v55, 0xff, v49
	s_delay_alu instid0(VALU_DEP_3) | instskip(SKIP_2) | instid1(VALU_DEP_3)
	v_cndmask_b32_e64 v53, v53, v51, s6
	v_and_b32_e32 v51, 0xff, v50
	v_cndmask_b32_e64 v52, v52, v54, s6
	v_cmp_ge_i32_e64 s7, v53, v15
	s_delay_alu instid0(VALU_DEP_3) | instskip(NEXT) | instid1(VALU_DEP_3)
	v_cmp_lt_u16_e64 s8, v51, v55
	v_cmp_lt_i32_e64 s9, v52, v16
                                        ; implicit-def: $vgpr51
	s_or_b32 s7, s7, s8
	s_wait_alu 0xfffe
	s_and_b32 s7, s9, s7
	s_wait_alu 0xfffe
	s_xor_b32 s8, s7, -1
	s_delay_alu instid0(SALU_CYCLE_1) | instskip(NEXT) | instid1(SALU_CYCLE_1)
	s_and_saveexec_b32 s9, s8
	s_xor_b32 s8, exec_lo, s9
; %bb.35:                               ;   in Loop: Header=BB94_2 Depth=1
	ds_load_u8 v51, v53 offset:1
; %bb.36:                               ;   in Loop: Header=BB94_2 Depth=1
	s_or_saveexec_b32 s8, s8
	v_mov_b32_e32 v54, v50
	s_xor_b32 exec_lo, exec_lo, s8
	s_cbranch_execz .LBB94_38
; %bb.37:                               ;   in Loop: Header=BB94_2 Depth=1
	ds_load_u8 v54, v52 offset:1
	s_wait_dscnt 0x1
	v_mov_b32_e32 v51, v49
.LBB94_38:                              ;   in Loop: Header=BB94_2 Depth=1
	s_or_b32 exec_lo, exec_lo, s8
	v_add_nc_u32_e32 v55, 1, v53
	v_add_nc_u32_e32 v56, 1, v52
	s_wait_dscnt 0x0
	v_and_b32_e32 v57, 0xff, v51
	v_and_b32_e32 v58, 0xff, v54
	v_cndmask_b32_e64 v50, v49, v50, s7
	v_cndmask_b32_e64 v53, v55, v53, s7
	v_mov_b32_e32 v49, v43
	v_cndmask_b32_e64 v52, v52, v56, s7
	v_cmp_lt_u16_e64 s7, v58, v57
	v_cndmask_b32_e64 v47, v47, v48, s6
	v_cmp_ge_i32_e64 s8, v53, v15
	s_wait_loadcnt 0x0
	v_cmp_lt_i32_e64 s6, v52, v16
	s_barrier_signal -1
	s_barrier_wait -1
	s_or_b32 s7, s8, s7
	global_inv scope:SCOPE_SE
	s_wait_alu 0xfffe
	s_and_b32 s6, s6, s7
	s_wait_alu 0xfffe
	v_cndmask_b32_e64 v48, v51, v54, s6
	ds_store_b8 v1, v47
	ds_store_b8 v1, v50 offset:1
	ds_store_b8 v1, v48 offset:2
	s_wait_loadcnt_dscnt 0x0
	s_barrier_signal -1
	s_barrier_wait -1
	global_inv scope:SCOPE_SE
	s_and_saveexec_b32 s7, s3
	s_cbranch_execz .LBB94_42
; %bb.39:                               ;   in Loop: Header=BB94_2 Depth=1
	v_mov_b32_e32 v49, v43
	v_mov_b32_e32 v47, v37
	s_mov_b32 s8, 0
.LBB94_40:                              ;   Parent Loop BB94_2 Depth=1
                                        ; =>  This Inner Loop Header: Depth=2
	s_delay_alu instid0(VALU_DEP_1) | instskip(NEXT) | instid1(VALU_DEP_1)
	v_sub_nc_u32_e32 v48, v47, v49
	v_lshrrev_b32_e32 v48, 1, v48
	s_delay_alu instid0(VALU_DEP_1) | instskip(NEXT) | instid1(VALU_DEP_1)
	v_add_nc_u32_e32 v48, v48, v49
	v_add_nc_u32_e32 v50, v8, v48
	v_xad_u32 v51, v48, -1, v26
	v_add_nc_u32_e32 v52, 1, v48
	ds_load_u8 v50, v50
	ds_load_u8 v51, v51 offset:24
	s_wait_dscnt 0x0
	v_cmp_lt_u16_e64 s6, v51, v50
	s_wait_alu 0xf1ff
	s_delay_alu instid0(VALU_DEP_1) | instskip(SKIP_1) | instid1(VALU_DEP_1)
	v_cndmask_b32_e64 v47, v47, v48, s6
	v_cndmask_b32_e64 v49, v52, v49, s6
	v_cmp_ge_i32_e64 s6, v49, v47
	s_or_b32 s8, s6, s8
	s_delay_alu instid0(SALU_CYCLE_1)
	s_and_not1_b32 exec_lo, exec_lo, s8
	s_cbranch_execnz .LBB94_40
; %bb.41:                               ;   in Loop: Header=BB94_2 Depth=1
	s_or_b32 exec_lo, exec_lo, s8
.LBB94_42:                              ;   in Loop: Header=BB94_2 Depth=1
	s_wait_alu 0xfffe
	s_or_b32 exec_lo, exec_lo, s7
	v_add_nc_u32_e32 v51, v49, v8
	v_sub_nc_u32_e32 v53, v26, v49
	v_sub_nc_u32_e32 v52, v31, v49
                                        ; implicit-def: $vgpr49
	ds_load_u8 v47, v51
	ds_load_u8 v48, v53 offset:24
	v_cmp_le_i32_e64 s6, v17, v51
	v_cmp_gt_i32_e64 s8, v18, v52
	s_wait_dscnt 0x1
	v_and_b32_e32 v50, 0xff, v47
	s_wait_dscnt 0x0
	v_and_b32_e32 v54, 0xff, v48
	s_delay_alu instid0(VALU_DEP_1)
	v_cmp_lt_u16_e64 s7, v54, v50
	s_or_b32 s6, s6, s7
	s_wait_alu 0xfffe
	s_and_b32 s6, s8, s6
	s_wait_alu 0xfffe
	s_xor_b32 s7, s6, -1
	s_wait_alu 0xfffe
	s_and_saveexec_b32 s8, s7
	s_delay_alu instid0(SALU_CYCLE_1)
	s_xor_b32 s7, exec_lo, s8
; %bb.43:                               ;   in Loop: Header=BB94_2 Depth=1
	ds_load_u8 v49, v51 offset:1
                                        ; implicit-def: $vgpr53
; %bb.44:                               ;   in Loop: Header=BB94_2 Depth=1
	s_wait_alu 0xfffe
	s_or_saveexec_b32 s7, s7
	v_mov_b32_e32 v50, v48
	s_wait_alu 0xfffe
	s_xor_b32 exec_lo, exec_lo, s7
	s_cbranch_execz .LBB94_46
; %bb.45:                               ;   in Loop: Header=BB94_2 Depth=1
	ds_load_u8 v50, v53 offset:25
	s_wait_dscnt 0x1
	v_mov_b32_e32 v49, v47
.LBB94_46:                              ;   in Loop: Header=BB94_2 Depth=1
	s_or_b32 exec_lo, exec_lo, s7
	v_add_nc_u32_e32 v53, 1, v51
	v_add_nc_u32_e32 v54, 1, v52
	s_wait_dscnt 0x0
	v_and_b32_e32 v55, 0xff, v49
	s_delay_alu instid0(VALU_DEP_3) | instskip(SKIP_2) | instid1(VALU_DEP_3)
	v_cndmask_b32_e64 v53, v53, v51, s6
	v_and_b32_e32 v51, 0xff, v50
	v_cndmask_b32_e64 v52, v52, v54, s6
	v_cmp_ge_i32_e64 s7, v53, v17
	s_delay_alu instid0(VALU_DEP_3) | instskip(NEXT) | instid1(VALU_DEP_3)
	v_cmp_lt_u16_e64 s8, v51, v55
	v_cmp_lt_i32_e64 s9, v52, v18
                                        ; implicit-def: $vgpr51
	s_or_b32 s7, s7, s8
	s_wait_alu 0xfffe
	s_and_b32 s7, s9, s7
	s_wait_alu 0xfffe
	s_xor_b32 s8, s7, -1
	s_delay_alu instid0(SALU_CYCLE_1) | instskip(NEXT) | instid1(SALU_CYCLE_1)
	s_and_saveexec_b32 s9, s8
	s_xor_b32 s8, exec_lo, s9
; %bb.47:                               ;   in Loop: Header=BB94_2 Depth=1
	ds_load_u8 v51, v53 offset:1
; %bb.48:                               ;   in Loop: Header=BB94_2 Depth=1
	s_or_saveexec_b32 s8, s8
	v_mov_b32_e32 v54, v50
	s_xor_b32 exec_lo, exec_lo, s8
	s_cbranch_execz .LBB94_50
; %bb.49:                               ;   in Loop: Header=BB94_2 Depth=1
	ds_load_u8 v54, v52 offset:1
	s_wait_dscnt 0x1
	v_mov_b32_e32 v51, v49
.LBB94_50:                              ;   in Loop: Header=BB94_2 Depth=1
	s_or_b32 exec_lo, exec_lo, s8
	v_add_nc_u32_e32 v55, 1, v53
	v_add_nc_u32_e32 v56, 1, v52
	s_wait_dscnt 0x0
	v_and_b32_e32 v57, 0xff, v51
	v_and_b32_e32 v58, 0xff, v54
	v_cndmask_b32_e64 v50, v49, v50, s7
	v_cndmask_b32_e64 v53, v55, v53, s7
	v_mov_b32_e32 v49, v44
	v_cndmask_b32_e64 v52, v52, v56, s7
	v_cmp_lt_u16_e64 s7, v58, v57
	v_cndmask_b32_e64 v47, v47, v48, s6
	v_cmp_ge_i32_e64 s8, v53, v17
	s_wait_loadcnt 0x0
	v_cmp_lt_i32_e64 s6, v52, v18
	s_barrier_signal -1
	s_barrier_wait -1
	s_or_b32 s7, s8, s7
	global_inv scope:SCOPE_SE
	s_wait_alu 0xfffe
	s_and_b32 s6, s6, s7
	s_wait_alu 0xfffe
	v_cndmask_b32_e64 v48, v51, v54, s6
	ds_store_b8 v1, v47
	ds_store_b8 v1, v50 offset:1
	ds_store_b8 v1, v48 offset:2
	s_wait_loadcnt_dscnt 0x0
	s_barrier_signal -1
	s_barrier_wait -1
	global_inv scope:SCOPE_SE
	s_and_saveexec_b32 s7, s4
	s_cbranch_execz .LBB94_54
; %bb.51:                               ;   in Loop: Header=BB94_2 Depth=1
	v_mov_b32_e32 v49, v44
	v_mov_b32_e32 v47, v38
	s_mov_b32 s8, 0
.LBB94_52:                              ;   Parent Loop BB94_2 Depth=1
                                        ; =>  This Inner Loop Header: Depth=2
	s_delay_alu instid0(VALU_DEP_1) | instskip(NEXT) | instid1(VALU_DEP_1)
	v_sub_nc_u32_e32 v48, v47, v49
	v_lshrrev_b32_e32 v48, 1, v48
	s_delay_alu instid0(VALU_DEP_1) | instskip(NEXT) | instid1(VALU_DEP_1)
	v_add_nc_u32_e32 v48, v48, v49
	v_add_nc_u32_e32 v50, v9, v48
	v_xad_u32 v51, v48, -1, v27
	v_add_nc_u32_e32 v52, 1, v48
	ds_load_u8 v50, v50
	ds_load_u8 v51, v51 offset:48
	s_wait_dscnt 0x0
	v_cmp_lt_u16_e64 s6, v51, v50
	s_wait_alu 0xf1ff
	s_delay_alu instid0(VALU_DEP_1) | instskip(SKIP_1) | instid1(VALU_DEP_1)
	v_cndmask_b32_e64 v47, v47, v48, s6
	v_cndmask_b32_e64 v49, v52, v49, s6
	v_cmp_ge_i32_e64 s6, v49, v47
	s_or_b32 s8, s6, s8
	s_delay_alu instid0(SALU_CYCLE_1)
	s_and_not1_b32 exec_lo, exec_lo, s8
	s_cbranch_execnz .LBB94_52
; %bb.53:                               ;   in Loop: Header=BB94_2 Depth=1
	s_or_b32 exec_lo, exec_lo, s8
.LBB94_54:                              ;   in Loop: Header=BB94_2 Depth=1
	s_wait_alu 0xfffe
	s_or_b32 exec_lo, exec_lo, s7
	v_add_nc_u32_e32 v51, v49, v9
	v_sub_nc_u32_e32 v53, v27, v49
	v_sub_nc_u32_e32 v52, v32, v49
                                        ; implicit-def: $vgpr49
	ds_load_u8 v47, v51
	ds_load_u8 v48, v53 offset:48
	v_cmp_le_i32_e64 s6, v19, v51
	v_cmp_gt_i32_e64 s8, v20, v52
	s_wait_dscnt 0x1
	v_and_b32_e32 v50, 0xff, v47
	s_wait_dscnt 0x0
	v_and_b32_e32 v54, 0xff, v48
	s_delay_alu instid0(VALU_DEP_1)
	v_cmp_lt_u16_e64 s7, v54, v50
	s_or_b32 s6, s6, s7
	s_wait_alu 0xfffe
	s_and_b32 s6, s8, s6
	s_wait_alu 0xfffe
	s_xor_b32 s7, s6, -1
	s_wait_alu 0xfffe
	s_and_saveexec_b32 s8, s7
	s_delay_alu instid0(SALU_CYCLE_1)
	s_xor_b32 s7, exec_lo, s8
; %bb.55:                               ;   in Loop: Header=BB94_2 Depth=1
	ds_load_u8 v49, v51 offset:1
                                        ; implicit-def: $vgpr53
; %bb.56:                               ;   in Loop: Header=BB94_2 Depth=1
	s_wait_alu 0xfffe
	s_or_saveexec_b32 s7, s7
	v_mov_b32_e32 v50, v48
	s_wait_alu 0xfffe
	s_xor_b32 exec_lo, exec_lo, s7
	s_cbranch_execz .LBB94_58
; %bb.57:                               ;   in Loop: Header=BB94_2 Depth=1
	ds_load_u8 v50, v53 offset:49
	s_wait_dscnt 0x1
	v_mov_b32_e32 v49, v47
.LBB94_58:                              ;   in Loop: Header=BB94_2 Depth=1
	s_or_b32 exec_lo, exec_lo, s7
	v_add_nc_u32_e32 v53, 1, v51
	v_add_nc_u32_e32 v54, 1, v52
	s_wait_dscnt 0x0
	v_and_b32_e32 v55, 0xff, v49
	s_delay_alu instid0(VALU_DEP_3) | instskip(SKIP_2) | instid1(VALU_DEP_3)
	v_cndmask_b32_e64 v53, v53, v51, s6
	v_and_b32_e32 v51, 0xff, v50
	v_cndmask_b32_e64 v52, v52, v54, s6
	v_cmp_ge_i32_e64 s7, v53, v19
	s_delay_alu instid0(VALU_DEP_3) | instskip(NEXT) | instid1(VALU_DEP_3)
	v_cmp_lt_u16_e64 s8, v51, v55
	v_cmp_lt_i32_e64 s9, v52, v20
                                        ; implicit-def: $vgpr51
	s_or_b32 s7, s7, s8
	s_wait_alu 0xfffe
	s_and_b32 s7, s9, s7
	s_wait_alu 0xfffe
	s_xor_b32 s8, s7, -1
	s_delay_alu instid0(SALU_CYCLE_1) | instskip(NEXT) | instid1(SALU_CYCLE_1)
	s_and_saveexec_b32 s9, s8
	s_xor_b32 s8, exec_lo, s9
; %bb.59:                               ;   in Loop: Header=BB94_2 Depth=1
	ds_load_u8 v51, v53 offset:1
; %bb.60:                               ;   in Loop: Header=BB94_2 Depth=1
	s_or_saveexec_b32 s8, s8
	v_mov_b32_e32 v54, v50
	s_xor_b32 exec_lo, exec_lo, s8
	s_cbranch_execz .LBB94_62
; %bb.61:                               ;   in Loop: Header=BB94_2 Depth=1
	ds_load_u8 v54, v52 offset:1
	s_wait_dscnt 0x1
	v_mov_b32_e32 v51, v49
.LBB94_62:                              ;   in Loop: Header=BB94_2 Depth=1
	s_or_b32 exec_lo, exec_lo, s8
	v_add_nc_u32_e32 v55, 1, v53
	v_add_nc_u32_e32 v56, 1, v52
	s_wait_dscnt 0x0
	v_and_b32_e32 v57, 0xff, v51
	v_and_b32_e32 v58, 0xff, v54
	v_cndmask_b32_e64 v50, v49, v50, s7
	v_cndmask_b32_e64 v53, v55, v53, s7
	v_mov_b32_e32 v49, v45
	v_cndmask_b32_e64 v52, v52, v56, s7
	v_cmp_lt_u16_e64 s7, v58, v57
	v_cndmask_b32_e64 v47, v47, v48, s6
	v_cmp_ge_i32_e64 s8, v53, v19
	s_wait_loadcnt 0x0
	v_cmp_lt_i32_e64 s6, v52, v20
	s_barrier_signal -1
	s_barrier_wait -1
	s_or_b32 s7, s8, s7
	global_inv scope:SCOPE_SE
	s_wait_alu 0xfffe
	s_and_b32 s6, s6, s7
	s_wait_alu 0xfffe
	v_cndmask_b32_e64 v48, v51, v54, s6
	ds_store_b8 v1, v47
	ds_store_b8 v1, v50 offset:1
	ds_store_b8 v1, v48 offset:2
	s_wait_loadcnt_dscnt 0x0
	s_barrier_signal -1
	s_barrier_wait -1
	global_inv scope:SCOPE_SE
	s_and_saveexec_b32 s7, s5
	s_cbranch_execz .LBB94_66
; %bb.63:                               ;   in Loop: Header=BB94_2 Depth=1
	v_mov_b32_e32 v49, v45
	v_mov_b32_e32 v47, v39
	s_mov_b32 s8, 0
.LBB94_64:                              ;   Parent Loop BB94_2 Depth=1
                                        ; =>  This Inner Loop Header: Depth=2
	s_delay_alu instid0(VALU_DEP_1) | instskip(NEXT) | instid1(VALU_DEP_1)
	v_sub_nc_u32_e32 v48, v47, v49
	v_lshrrev_b32_e32 v48, 1, v48
	s_delay_alu instid0(VALU_DEP_1) | instskip(NEXT) | instid1(VALU_DEP_1)
	v_add_nc_u32_e32 v48, v48, v49
	v_add_nc_u32_e32 v50, v10, v48
	v_xad_u32 v51, v48, -1, v46
	v_add_nc_u32_e32 v52, 1, v48
	ds_load_u8 v50, v50
	ds_load_u8 v51, v51 offset:96
	s_wait_dscnt 0x0
	v_cmp_lt_u16_e64 s6, v51, v50
	s_wait_alu 0xf1ff
	s_delay_alu instid0(VALU_DEP_1) | instskip(SKIP_1) | instid1(VALU_DEP_1)
	v_cndmask_b32_e64 v47, v47, v48, s6
	v_cndmask_b32_e64 v49, v52, v49, s6
	v_cmp_ge_i32_e64 s6, v49, v47
	s_or_b32 s8, s6, s8
	s_delay_alu instid0(SALU_CYCLE_1)
	s_and_not1_b32 exec_lo, exec_lo, s8
	s_cbranch_execnz .LBB94_64
; %bb.65:                               ;   in Loop: Header=BB94_2 Depth=1
	s_or_b32 exec_lo, exec_lo, s8
.LBB94_66:                              ;   in Loop: Header=BB94_2 Depth=1
	s_wait_alu 0xfffe
	s_or_b32 exec_lo, exec_lo, s7
	v_add_nc_u32_e32 v51, v49, v10
	v_sub_nc_u32_e32 v53, v46, v49
	v_sub_nc_u32_e32 v52, v33, v49
                                        ; implicit-def: $vgpr49
	ds_load_u8 v47, v51
	ds_load_u8 v48, v53 offset:96
	v_cmp_le_i32_e64 s6, v21, v51
	v_cmp_gt_i32_e64 s8, v22, v52
	s_wait_dscnt 0x1
	v_and_b32_e32 v50, 0xff, v47
	s_wait_dscnt 0x0
	v_and_b32_e32 v54, 0xff, v48
	s_delay_alu instid0(VALU_DEP_1)
	v_cmp_lt_u16_e64 s7, v54, v50
	s_or_b32 s6, s6, s7
	s_wait_alu 0xfffe
	s_and_b32 s6, s8, s6
	s_wait_alu 0xfffe
	s_xor_b32 s7, s6, -1
	s_wait_alu 0xfffe
	s_and_saveexec_b32 s8, s7
	s_delay_alu instid0(SALU_CYCLE_1)
	s_xor_b32 s7, exec_lo, s8
; %bb.67:                               ;   in Loop: Header=BB94_2 Depth=1
	ds_load_u8 v49, v51 offset:1
                                        ; implicit-def: $vgpr53
; %bb.68:                               ;   in Loop: Header=BB94_2 Depth=1
	s_wait_alu 0xfffe
	s_or_saveexec_b32 s7, s7
	v_mov_b32_e32 v50, v48
	s_wait_alu 0xfffe
	s_xor_b32 exec_lo, exec_lo, s7
	s_cbranch_execz .LBB94_70
; %bb.69:                               ;   in Loop: Header=BB94_2 Depth=1
	ds_load_u8 v50, v53 offset:97
	s_wait_dscnt 0x1
	v_mov_b32_e32 v49, v47
.LBB94_70:                              ;   in Loop: Header=BB94_2 Depth=1
	s_or_b32 exec_lo, exec_lo, s7
	v_add_nc_u32_e32 v53, 1, v51
	v_add_nc_u32_e32 v54, 1, v52
	s_wait_dscnt 0x0
	v_and_b32_e32 v55, 0xff, v49
	s_delay_alu instid0(VALU_DEP_3) | instskip(SKIP_2) | instid1(VALU_DEP_3)
	v_cndmask_b32_e64 v53, v53, v51, s6
	v_and_b32_e32 v51, 0xff, v50
	v_cndmask_b32_e64 v52, v52, v54, s6
	v_cmp_ge_i32_e64 s7, v53, v21
	s_delay_alu instid0(VALU_DEP_3) | instskip(NEXT) | instid1(VALU_DEP_3)
	v_cmp_lt_u16_e64 s8, v51, v55
	v_cmp_lt_i32_e64 s9, v52, v22
                                        ; implicit-def: $vgpr51
	s_or_b32 s7, s7, s8
	s_wait_alu 0xfffe
	s_and_b32 s7, s9, s7
	s_wait_alu 0xfffe
	s_xor_b32 s8, s7, -1
	s_delay_alu instid0(SALU_CYCLE_1) | instskip(NEXT) | instid1(SALU_CYCLE_1)
	s_and_saveexec_b32 s9, s8
	s_xor_b32 s8, exec_lo, s9
; %bb.71:                               ;   in Loop: Header=BB94_2 Depth=1
	ds_load_u8 v51, v53 offset:1
; %bb.72:                               ;   in Loop: Header=BB94_2 Depth=1
	s_or_saveexec_b32 s8, s8
	v_mov_b32_e32 v54, v50
	s_xor_b32 exec_lo, exec_lo, s8
	s_cbranch_execz .LBB94_74
; %bb.73:                               ;   in Loop: Header=BB94_2 Depth=1
	ds_load_u8 v54, v52 offset:1
	s_wait_dscnt 0x1
	v_mov_b32_e32 v51, v49
.LBB94_74:                              ;   in Loop: Header=BB94_2 Depth=1
	s_or_b32 exec_lo, exec_lo, s8
	v_add_nc_u32_e32 v55, 1, v53
	v_add_nc_u32_e32 v56, 1, v52
	s_wait_dscnt 0x0
	v_and_b32_e32 v57, 0xff, v51
	v_and_b32_e32 v58, 0xff, v54
	v_cndmask_b32_e64 v50, v49, v50, s7
	v_cndmask_b32_e64 v53, v55, v53, s7
	v_mov_b32_e32 v49, v3
	v_cndmask_b32_e64 v52, v52, v56, s7
	v_cmp_lt_u16_e64 s7, v58, v57
	v_cndmask_b32_e64 v47, v47, v48, s6
	v_cmp_ge_i32_e64 s8, v53, v21
	s_wait_loadcnt 0x0
	v_cmp_lt_i32_e64 s6, v52, v22
	s_barrier_signal -1
	s_barrier_wait -1
	s_or_b32 s7, s8, s7
	global_inv scope:SCOPE_SE
	s_wait_alu 0xfffe
	s_and_b32 s6, s6, s7
	s_wait_alu 0xfffe
	v_cndmask_b32_e64 v48, v51, v54, s6
	ds_store_b8 v1, v47
	ds_store_b8 v1, v50 offset:1
	ds_store_b8 v1, v48 offset:2
	s_wait_loadcnt_dscnt 0x0
	s_barrier_signal -1
	s_barrier_wait -1
	global_inv scope:SCOPE_SE
	s_and_saveexec_b32 s7, vcc_lo
	s_cbranch_execz .LBB94_78
; %bb.75:                               ;   in Loop: Header=BB94_2 Depth=1
	v_mov_b32_e32 v49, v3
	v_mov_b32_e32 v47, v4
	s_mov_b32 s8, 0
.LBB94_76:                              ;   Parent Loop BB94_2 Depth=1
                                        ; =>  This Inner Loop Header: Depth=2
	s_delay_alu instid0(VALU_DEP_1) | instskip(NEXT) | instid1(VALU_DEP_1)
	v_sub_nc_u32_e32 v48, v47, v49
	v_lshrrev_b32_e32 v48, 1, v48
	s_delay_alu instid0(VALU_DEP_1) | instskip(NEXT) | instid1(VALU_DEP_1)
	v_add_nc_u32_e32 v48, v48, v49
	v_xad_u32 v50, v48, -1, v1
	v_add_nc_u32_e32 v52, 1, v48
	ds_load_u8 v51, v48
	ds_load_u8 v50, v50 offset:192
	s_wait_dscnt 0x0
	v_cmp_lt_u16_e64 s6, v50, v51
	s_wait_alu 0xf1ff
	s_delay_alu instid0(VALU_DEP_1) | instskip(SKIP_1) | instid1(VALU_DEP_1)
	v_cndmask_b32_e64 v47, v47, v48, s6
	v_cndmask_b32_e64 v49, v52, v49, s6
	v_cmp_ge_i32_e64 s6, v49, v47
	s_or_b32 s8, s6, s8
	s_delay_alu instid0(SALU_CYCLE_1)
	s_and_not1_b32 exec_lo, exec_lo, s8
	s_cbranch_execnz .LBB94_76
; %bb.77:                               ;   in Loop: Header=BB94_2 Depth=1
	s_or_b32 exec_lo, exec_lo, s8
.LBB94_78:                              ;   in Loop: Header=BB94_2 Depth=1
	s_wait_alu 0xfffe
	s_or_b32 exec_lo, exec_lo, s7
	v_sub_nc_u32_e32 v53, v1, v49
	v_sub_nc_u32_e32 v52, v2, v49
	v_cmp_le_i32_e64 s6, 0xc0, v49
	ds_load_u8 v47, v49
	ds_load_u8 v48, v53 offset:192
	v_cmp_gt_i32_e64 s8, 0x180, v52
	s_wait_dscnt 0x1
	v_and_b32_e32 v50, 0xff, v47
	s_wait_dscnt 0x0
	v_and_b32_e32 v51, 0xff, v48
	s_delay_alu instid0(VALU_DEP_1)
	v_cmp_lt_u16_e64 s7, v51, v50
                                        ; implicit-def: $vgpr50
	s_or_b32 s6, s6, s7
	s_wait_alu 0xfffe
	s_and_b32 s6, s8, s6
	s_wait_alu 0xfffe
	s_xor_b32 s7, s6, -1
	s_wait_alu 0xfffe
	s_and_saveexec_b32 s8, s7
	s_delay_alu instid0(SALU_CYCLE_1)
	s_xor_b32 s7, exec_lo, s8
; %bb.79:                               ;   in Loop: Header=BB94_2 Depth=1
	ds_load_u8 v50, v49 offset:1
                                        ; implicit-def: $vgpr53
; %bb.80:                               ;   in Loop: Header=BB94_2 Depth=1
	s_wait_alu 0xfffe
	s_or_saveexec_b32 s7, s7
	v_mov_b32_e32 v51, v48
	s_wait_alu 0xfffe
	s_xor_b32 exec_lo, exec_lo, s7
	s_cbranch_execz .LBB94_82
; %bb.81:                               ;   in Loop: Header=BB94_2 Depth=1
	ds_load_u8 v51, v53 offset:193
	s_wait_dscnt 0x1
	v_mov_b32_e32 v50, v47
.LBB94_82:                              ;   in Loop: Header=BB94_2 Depth=1
	s_or_b32 exec_lo, exec_lo, s7
	v_add_nc_u32_e32 v53, 1, v49
	v_add_nc_u32_e32 v55, 1, v52
	s_wait_dscnt 0x0
	v_and_b32_e32 v56, 0xff, v50
	s_delay_alu instid0(VALU_DEP_3) | instskip(SKIP_2) | instid1(VALU_DEP_3)
	v_cndmask_b32_e64 v54, v53, v49, s6
	v_and_b32_e32 v53, 0xff, v51
	v_cndmask_b32_e64 v49, v52, v55, s6
                                        ; implicit-def: $vgpr52
	v_cmp_le_i32_e64 s7, 0xc0, v54
	s_delay_alu instid0(VALU_DEP_3) | instskip(NEXT) | instid1(VALU_DEP_3)
	v_cmp_lt_u16_e64 s8, v53, v56
	v_cmp_gt_i32_e64 s9, 0x180, v49
                                        ; implicit-def: $vgpr53
	s_or_b32 s7, s7, s8
	s_wait_alu 0xfffe
	s_and_b32 s7, s9, s7
	s_wait_alu 0xfffe
	s_xor_b32 s8, s7, -1
	s_delay_alu instid0(SALU_CYCLE_1) | instskip(NEXT) | instid1(SALU_CYCLE_1)
	s_and_saveexec_b32 s9, s8
	s_xor_b32 s8, exec_lo, s9
; %bb.83:                               ;   in Loop: Header=BB94_2 Depth=1
	ds_load_u8 v52, v54 offset:1
	v_add_nc_u32_e32 v53, 1, v54
                                        ; implicit-def: $vgpr54
; %bb.84:                               ;   in Loop: Header=BB94_2 Depth=1
	s_or_saveexec_b32 s8, s8
	v_mov_b32_e32 v55, v51
	s_xor_b32 exec_lo, exec_lo, s8
	s_cbranch_execz .LBB94_1
; %bb.85:                               ;   in Loop: Header=BB94_2 Depth=1
	ds_load_u8 v55, v49 offset:1
	s_wait_dscnt 0x1
	v_dual_mov_b32 v52, v50 :: v_dual_add_nc_u32 v49, 1, v49
	v_mov_b32_e32 v53, v54
	s_branch .LBB94_1
.LBB94_86:
	s_add_nc_u64 s[0:1], s[10:11], s[12:13]
	s_wait_alu 0xfffe
	v_add_co_u32 v0, s0, s0, v0
	s_wait_alu 0xf1ff
	v_add_co_ci_u32_e64 v1, null, s1, 0, s0
	s_clause 0x2
	global_store_b8 v[0:1], v47, off
	global_store_b8 v[0:1], v50, off offset:128
	global_store_b8 v[0:1], v48, off offset:256
	s_endpgm
	.section	.rodata,"a",@progbits
	.p2align	6, 0x0
	.amdhsa_kernel _Z16sort_keys_kernelIhLj128ELj3EN10test_utils4lessELj10EEvPKT_PS2_T2_
		.amdhsa_group_segment_fixed_size 385
		.amdhsa_private_segment_fixed_size 0
		.amdhsa_kernarg_size 20
		.amdhsa_user_sgpr_count 2
		.amdhsa_user_sgpr_dispatch_ptr 0
		.amdhsa_user_sgpr_queue_ptr 0
		.amdhsa_user_sgpr_kernarg_segment_ptr 1
		.amdhsa_user_sgpr_dispatch_id 0
		.amdhsa_user_sgpr_private_segment_size 0
		.amdhsa_wavefront_size32 1
		.amdhsa_uses_dynamic_stack 0
		.amdhsa_enable_private_segment 0
		.amdhsa_system_sgpr_workgroup_id_x 1
		.amdhsa_system_sgpr_workgroup_id_y 0
		.amdhsa_system_sgpr_workgroup_id_z 0
		.amdhsa_system_sgpr_workgroup_info 0
		.amdhsa_system_vgpr_workitem_id 0
		.amdhsa_next_free_vgpr 63
		.amdhsa_next_free_sgpr 15
		.amdhsa_reserve_vcc 1
		.amdhsa_float_round_mode_32 0
		.amdhsa_float_round_mode_16_64 0
		.amdhsa_float_denorm_mode_32 3
		.amdhsa_float_denorm_mode_16_64 3
		.amdhsa_fp16_overflow 0
		.amdhsa_workgroup_processor_mode 1
		.amdhsa_memory_ordered 1
		.amdhsa_forward_progress 1
		.amdhsa_inst_pref_size 45
		.amdhsa_round_robin_scheduling 0
		.amdhsa_exception_fp_ieee_invalid_op 0
		.amdhsa_exception_fp_denorm_src 0
		.amdhsa_exception_fp_ieee_div_zero 0
		.amdhsa_exception_fp_ieee_overflow 0
		.amdhsa_exception_fp_ieee_underflow 0
		.amdhsa_exception_fp_ieee_inexact 0
		.amdhsa_exception_int_div_zero 0
	.end_amdhsa_kernel
	.section	.text._Z16sort_keys_kernelIhLj128ELj3EN10test_utils4lessELj10EEvPKT_PS2_T2_,"axG",@progbits,_Z16sort_keys_kernelIhLj128ELj3EN10test_utils4lessELj10EEvPKT_PS2_T2_,comdat
.Lfunc_end94:
	.size	_Z16sort_keys_kernelIhLj128ELj3EN10test_utils4lessELj10EEvPKT_PS2_T2_, .Lfunc_end94-_Z16sort_keys_kernelIhLj128ELj3EN10test_utils4lessELj10EEvPKT_PS2_T2_
                                        ; -- End function
	.set _Z16sort_keys_kernelIhLj128ELj3EN10test_utils4lessELj10EEvPKT_PS2_T2_.num_vgpr, 63
	.set _Z16sort_keys_kernelIhLj128ELj3EN10test_utils4lessELj10EEvPKT_PS2_T2_.num_agpr, 0
	.set _Z16sort_keys_kernelIhLj128ELj3EN10test_utils4lessELj10EEvPKT_PS2_T2_.numbered_sgpr, 15
	.set _Z16sort_keys_kernelIhLj128ELj3EN10test_utils4lessELj10EEvPKT_PS2_T2_.num_named_barrier, 0
	.set _Z16sort_keys_kernelIhLj128ELj3EN10test_utils4lessELj10EEvPKT_PS2_T2_.private_seg_size, 0
	.set _Z16sort_keys_kernelIhLj128ELj3EN10test_utils4lessELj10EEvPKT_PS2_T2_.uses_vcc, 1
	.set _Z16sort_keys_kernelIhLj128ELj3EN10test_utils4lessELj10EEvPKT_PS2_T2_.uses_flat_scratch, 0
	.set _Z16sort_keys_kernelIhLj128ELj3EN10test_utils4lessELj10EEvPKT_PS2_T2_.has_dyn_sized_stack, 0
	.set _Z16sort_keys_kernelIhLj128ELj3EN10test_utils4lessELj10EEvPKT_PS2_T2_.has_recursion, 0
	.set _Z16sort_keys_kernelIhLj128ELj3EN10test_utils4lessELj10EEvPKT_PS2_T2_.has_indirect_call, 0
	.section	.AMDGPU.csdata,"",@progbits
; Kernel info:
; codeLenInByte = 5744
; TotalNumSgprs: 17
; NumVgprs: 63
; ScratchSize: 0
; MemoryBound: 0
; FloatMode: 240
; IeeeMode: 1
; LDSByteSize: 385 bytes/workgroup (compile time only)
; SGPRBlocks: 0
; VGPRBlocks: 7
; NumSGPRsForWavesPerEU: 17
; NumVGPRsForWavesPerEU: 63
; Occupancy: 16
; WaveLimiterHint : 1
; COMPUTE_PGM_RSRC2:SCRATCH_EN: 0
; COMPUTE_PGM_RSRC2:USER_SGPR: 2
; COMPUTE_PGM_RSRC2:TRAP_HANDLER: 0
; COMPUTE_PGM_RSRC2:TGID_X_EN: 1
; COMPUTE_PGM_RSRC2:TGID_Y_EN: 0
; COMPUTE_PGM_RSRC2:TGID_Z_EN: 0
; COMPUTE_PGM_RSRC2:TIDIG_COMP_CNT: 0
	.section	.text._Z17sort_pairs_kernelIhLj128ELj3EN10test_utils4lessELj10EEvPKT_PS2_T2_,"axG",@progbits,_Z17sort_pairs_kernelIhLj128ELj3EN10test_utils4lessELj10EEvPKT_PS2_T2_,comdat
	.protected	_Z17sort_pairs_kernelIhLj128ELj3EN10test_utils4lessELj10EEvPKT_PS2_T2_ ; -- Begin function _Z17sort_pairs_kernelIhLj128ELj3EN10test_utils4lessELj10EEvPKT_PS2_T2_
	.globl	_Z17sort_pairs_kernelIhLj128ELj3EN10test_utils4lessELj10EEvPKT_PS2_T2_
	.p2align	8
	.type	_Z17sort_pairs_kernelIhLj128ELj3EN10test_utils4lessELj10EEvPKT_PS2_T2_,@function
_Z17sort_pairs_kernelIhLj128ELj3EN10test_utils4lessELj10EEvPKT_PS2_T2_: ; @_Z17sort_pairs_kernelIhLj128ELj3EN10test_utils4lessELj10EEvPKT_PS2_T2_
; %bb.0:
	s_load_b128 s[12:15], s[0:1], 0x0
	s_mul_i32 s16, ttmp9, 0x180
	s_mov_b32 s17, 0
	v_and_b32_e32 v3, 0x7e, v0
	v_and_b32_e32 v5, 0x7c, v0
	;; [unrolled: 1-line block ×5, first 2 shown]
	v_mul_u32_u24_e32 v10, 3, v3
	v_and_b32_e32 v8, 0x60, v0
	v_mul_u32_u24_e32 v11, 3, v5
	v_mul_u32_u24_e32 v12, 3, v6
	v_and_b32_e32 v9, 64, v0
	v_min_u32_e32 v23, 0x17d, v10
	v_min_u32_e32 v16, 0x17a, v10
	v_cmp_eq_u32_e32 vcc_lo, 1, v4
	v_mul_u32_u24_e32 v13, 3, v7
	v_mul_u32_u24_e32 v14, 3, v8
	v_min_u32_e32 v6, 0x180, v11
	v_min_u32_e32 v24, 0x17a, v11
	s_wait_kmcnt 0x0
	s_add_nc_u64 s[0:1], s[12:13], s[16:17]
	v_min_u32_e32 v17, 0x174, v11
	s_clause 0x2
	global_load_u8 v46, v0, s[0:1]
	global_load_u8 v47, v0, s[0:1] offset:128
	global_load_u8 v50, v0, s[0:1] offset:256
	v_min_u32_e32 v7, 0x180, v12
	v_min_u32_e32 v25, 0x174, v12
	;; [unrolled: 1-line block ×3, first 2 shown]
	v_add_nc_u32_e32 v11, 3, v23
	v_add_nc_u32_e32 v12, 6, v16
	v_and_b32_e32 v29, 3, v0
	v_cndmask_b32_e64 v40, 0, 3, vcc_lo
	v_mul_u32_u24_e32 v15, 3, v9
	v_min_u32_e32 v5, 0x180, v10
	v_min_u32_e32 v8, 0x180, v13
	;; [unrolled: 1-line block ×7, first 2 shown]
	v_add_nc_u32_e32 v13, 6, v24
	v_add_nc_u32_e32 v14, 12, v17
	v_sub_nc_u32_e32 v48, v12, v11
	v_and_b32_e32 v30, 7, v0
	v_mul_u32_u24_e32 v41, 3, v29
	v_min_u32_e32 v10, 0x180, v15
	v_min_u32_e32 v53, 0x120, v15
	;; [unrolled: 1-line block ×3, first 2 shown]
	v_add_nc_u32_e32 v15, 12, v25
	v_add_nc_u32_e32 v16, 24, v18
	v_sub_nc_u32_e32 v34, v11, v5
	v_sub_nc_u32_e32 v49, v14, v13
	;; [unrolled: 1-line block ×3, first 2 shown]
	v_cmp_ge_i32_e64 s0, v40, v48
	v_and_b32_e32 v31, 15, v0
	v_mul_u32_u24_e32 v42, 3, v30
	v_add_nc_u32_e32 v17, 24, v26
	v_add_nc_u32_e32 v18, 48, v19
	;; [unrolled: 1-line block ×4, first 2 shown]
	v_sub_nc_u32_e32 v35, v13, v6
	v_sub_nc_u32_e32 v51, v16, v15
	v_min_i32_e32 v34, v40, v34
	v_sub_nc_u32_e32 v58, v41, v49
	v_cndmask_b32_e64 v40, 0, v57, s0
	v_cmp_ge_i32_e64 s0, v41, v49
	v_and_b32_e32 v32, 31, v0
	v_mul_u32_u24_e32 v43, 3, v31
	v_add_nc_u32_e32 v19, 48, v27
	v_add_nc_u32_e32 v20, 0x60, v20
	v_sub_nc_u32_e32 v36, v15, v7
	v_sub_nc_u32_e32 v54, v18, v17
	v_min_i32_e32 v35, v41, v35
	v_sub_nc_u32_e32 v59, v42, v51
	s_wait_alu 0xf1ff
	v_cndmask_b32_e64 v41, 0, v58, s0
	v_cmp_ge_i32_e64 s0, v42, v51
	v_and_b32_e32 v52, 63, v0
	v_mul_u32_u24_e32 v44, 3, v32
	v_add_nc_u32_e32 v21, 0x60, v53
	v_add_nc_u32_e32 v22, 0xc0, v22
	v_sub_nc_u32_e32 v37, v17, v8
	v_sub_nc_u32_e32 v55, v20, v19
	v_min_i32_e32 v36, v42, v36
	v_sub_nc_u32_e32 v60, v43, v54
	s_wait_alu 0xf1ff
	v_cndmask_b32_e64 v42, 0, v59, s0
	v_cmp_ge_i32_e64 s0, v43, v54
	v_mul_u32_u24_e32 v45, 3, v52
	v_sub_nc_u32_e32 v38, v19, v9
	v_sub_nc_u32_e32 v56, v22, v21
	v_min_i32_e32 v37, v43, v37
	v_sub_nc_u32_e32 v61, v44, v55
	s_wait_alu 0xf1ff
	v_cndmask_b32_e64 v43, 0, v60, s0
	v_cmp_ge_i32_e64 s0, v44, v55
	v_sub_nc_u32_e32 v39, v21, v10
	v_min_i32_e32 v38, v44, v38
	v_sub_nc_u32_e32 v62, v45, v56
	v_mul_u32_u24_e32 v1, 3, v0
	s_wait_alu 0xf1ff
	v_cndmask_b32_e64 v44, 0, v61, s0
	v_cmp_ge_i32_e64 s0, v45, v56
	v_min_i32_e32 v39, v45, v39
	v_mad_u32_u24 v2, v0, 3, 0xc0
	v_subrev_nc_u32_e64 v3, 0xc0, v1 clamp
	v_min_i32_e32 v4, 0xc0, v1
	s_wait_alu 0xf1ff
	v_cndmask_b32_e64 v45, 0, v62, s0
	v_mad_u32_u24 v24, v29, 3, v24
	v_mad_u32_u24 v25, v30, 3, v25
	;; [unrolled: 1-line block ×9, first 2 shown]
	v_cmp_lt_i32_e64 s0, v40, v34
	v_cmp_lt_i32_e64 s1, v41, v35
	;; [unrolled: 1-line block ×6, first 2 shown]
	s_mov_b32 s13, s17
	v_cmp_lt_i32_e32 vcc_lo, v3, v4
	s_wait_loadcnt 0x2
	v_add_nc_u16 v49, v46, 1
	s_wait_loadcnt 0x1
	v_perm_b32 v51, v46, v47, 0xc0c0004
	s_wait_loadcnt 0x0
	v_lshlrev_b32_e32 v54, 16, v50
	v_add_nc_u16 v48, v47, 1
	v_add_nc_u16 v47, v50, 1
	v_mad_u32_u24 v46, v52, 3, v53
	s_delay_alu instid0(VALU_DEP_4)
	v_or_b32_e32 v51, v51, v54
	s_branch .LBB95_2
.LBB95_1:                               ;   in Loop: Header=BB95_2 Depth=1
	s_or_b32 exec_lo, exec_lo, s8
	s_wait_dscnt 0x0
	s_delay_alu instid0(VALU_DEP_1)
	v_and_b32_e32 v61, 0xff, v59
	v_and_b32_e32 v62, 0xff, v60
	v_cndmask_b32_e64 v53, v52, v53, s6
	v_cndmask_b32_e64 v52, v54, v55, s7
	v_cmp_le_i32_e64 s7, 0xc0, v57
	v_cndmask_b32_e64 v51, v50, v51, s6
	v_cmp_lt_u16_e64 s8, v62, v61
	v_cmp_gt_i32_e64 s6, 0x180, v56
	s_wait_loadcnt 0x0
	s_barrier_signal -1
	s_barrier_wait -1
	s_or_b32 s7, s7, s8
	global_inv scope:SCOPE_SE
	s_wait_alu 0xfffe
	s_and_b32 s6, s6, s7
	ds_store_b8 v1, v47
	ds_store_b8 v1, v49 offset:1
	ds_store_b8 v1, v48 offset:2
	s_wait_alu 0xfffe
	v_cndmask_b32_e64 v56, v57, v56, s6
	s_wait_loadcnt_dscnt 0x0
	s_barrier_signal -1
	s_barrier_wait -1
	global_inv scope:SCOPE_SE
	ds_load_u8 v49, v51
	ds_load_u8 v48, v58
	;; [unrolled: 1-line block ×3, first 2 shown]
	v_lshlrev_b16 v54, 8, v52
	v_and_b32_e32 v55, 0xff, v53
	v_cndmask_b32_e64 v50, v59, v60, s6
	s_add_co_i32 s13, s13, 1
	s_delay_alu instid0(SALU_CYCLE_1) | instskip(NEXT) | instid1(VALU_DEP_2)
	s_cmp_eq_u32 s13, 10
	v_or_b32_e32 v51, v55, v54
	s_delay_alu instid0(VALU_DEP_2) | instskip(NEXT) | instid1(VALU_DEP_2)
	v_and_b32_e32 v54, 0xff, v50
	v_and_b32_e32 v51, 0xffff, v51
	s_delay_alu instid0(VALU_DEP_2) | instskip(NEXT) | instid1(VALU_DEP_1)
	v_lshlrev_b32_e32 v54, 16, v54
	v_or_b32_e32 v51, v51, v54
	s_cbranch_scc1 .LBB95_86
.LBB95_2:                               ; =>This Loop Header: Depth=1
                                        ;     Child Loop BB95_4 Depth 2
                                        ;     Child Loop BB95_16 Depth 2
	;; [unrolled: 1-line block ×7, first 2 shown]
	s_delay_alu instid0(VALU_DEP_1) | instskip(SKIP_3) | instid1(VALU_DEP_3)
	v_lshrrev_b32_e32 v50, 8, v51
	v_and_b32_e32 v52, 0xff, v51
	v_perm_b32 v53, v51, v51, 0x7060405
	s_barrier_signal -1
	v_and_b32_e32 v50, 0xff, v50
	s_barrier_wait -1
	global_inv scope:SCOPE_SE
	v_cmp_lt_u16_e64 s7, v50, v52
	v_max_u16 v50, v50, v52
	s_wait_alu 0xf1ff
	s_delay_alu instid0(VALU_DEP_2) | instskip(NEXT) | instid1(VALU_DEP_1)
	v_cndmask_b32_e64 v51, v51, v53, s7
	v_lshrrev_b32_e32 v53, 16, v51
	v_and_b32_e32 v52, 0xff, v51
	s_delay_alu instid0(VALU_DEP_2) | instskip(SKIP_2) | instid1(VALU_DEP_3)
	v_lshlrev_b16 v54, 8, v53
	v_and_b32_e32 v55, 0xffffff00, v53
	v_and_b32_e32 v53, 0xff, v53
	v_or_b32_e32 v52, v52, v54
	s_delay_alu instid0(VALU_DEP_3) | instskip(NEXT) | instid1(VALU_DEP_3)
	v_or_b32_e32 v54, v50, v55
	v_cmp_lt_u16_e64 s8, v53, v50
	v_min_u16 v50, v53, v50
	s_delay_alu instid0(VALU_DEP_4) | instskip(NEXT) | instid1(VALU_DEP_4)
	v_and_b32_e32 v52, 0xffff, v52
	v_lshlrev_b32_e32 v54, 16, v54
	s_delay_alu instid0(VALU_DEP_1) | instskip(SKIP_1) | instid1(VALU_DEP_1)
	v_or_b32_e32 v52, v52, v54
	s_wait_alu 0xf1ff
	v_cndmask_b32_e64 v51, v51, v52, s8
	s_delay_alu instid0(VALU_DEP_1) | instskip(SKIP_1) | instid1(VALU_DEP_2)
	v_lshlrev_b16 v52, 8, v51
	v_and_b32_e32 v53, 0xff, v51
	v_or_b32_e32 v52, v50, v52
	s_delay_alu instid0(VALU_DEP_2) | instskip(NEXT) | instid1(VALU_DEP_2)
	v_cmp_lt_u16_e64 s6, v50, v53
	v_and_b32_e32 v52, 0xffff, v52
	s_delay_alu instid0(VALU_DEP_1) | instskip(SKIP_1) | instid1(VALU_DEP_1)
	v_and_or_b32 v52, 0xffff0000, v51, v52
	s_wait_alu 0xf1ff
	v_cndmask_b32_e64 v50, v51, v52, s6
	v_mov_b32_e32 v52, v40
	s_delay_alu instid0(VALU_DEP_2)
	v_lshrrev_b32_e32 v51, 8, v50
	ds_store_b8 v1, v50
	ds_store_b8 v1, v51 offset:1
	ds_store_b8_d16_hi v1, v50 offset:2
	s_wait_loadcnt_dscnt 0x0
	s_barrier_signal -1
	s_barrier_wait -1
	global_inv scope:SCOPE_SE
	s_and_saveexec_b32 s10, s0
	s_cbranch_execz .LBB95_6
; %bb.3:                                ;   in Loop: Header=BB95_2 Depth=1
	v_mov_b32_e32 v52, v40
	v_mov_b32_e32 v50, v34
	s_mov_b32 s11, 0
.LBB95_4:                               ;   Parent Loop BB95_2 Depth=1
                                        ; =>  This Inner Loop Header: Depth=2
	s_delay_alu instid0(VALU_DEP_1) | instskip(NEXT) | instid1(VALU_DEP_1)
	v_sub_nc_u32_e32 v51, v50, v52
	v_lshrrev_b32_e32 v51, 1, v51
	s_delay_alu instid0(VALU_DEP_1) | instskip(NEXT) | instid1(VALU_DEP_1)
	v_add_nc_u32_e32 v51, v51, v52
	v_add_nc_u32_e32 v53, v5, v51
	v_xad_u32 v54, v51, -1, v23
	v_add_nc_u32_e32 v55, 1, v51
	ds_load_u8 v53, v53
	ds_load_u8 v54, v54 offset:3
	s_wait_dscnt 0x0
	v_cmp_lt_u16_e64 s9, v54, v53
	s_wait_alu 0xf1ff
	s_delay_alu instid0(VALU_DEP_1) | instskip(SKIP_1) | instid1(VALU_DEP_1)
	v_cndmask_b32_e64 v50, v50, v51, s9
	v_cndmask_b32_e64 v52, v55, v52, s9
	v_cmp_ge_i32_e64 s9, v52, v50
	s_wait_alu 0xfffe
	s_or_b32 s11, s9, s11
	s_wait_alu 0xfffe
	s_and_not1_b32 exec_lo, exec_lo, s11
	s_cbranch_execnz .LBB95_4
; %bb.5:                                ;   in Loop: Header=BB95_2 Depth=1
	s_or_b32 exec_lo, exec_lo, s11
.LBB95_6:                               ;   in Loop: Header=BB95_2 Depth=1
	s_wait_alu 0xfffe
	s_or_b32 exec_lo, exec_lo, s10
	v_add_nc_u32_e32 v54, v52, v5
	v_sub_nc_u32_e32 v56, v23, v52
	v_sub_nc_u32_e32 v55, v28, v52
                                        ; implicit-def: $vgpr52
	ds_load_u8 v50, v54
	ds_load_u8 v51, v56 offset:3
	v_cmp_le_i32_e64 s9, v11, v54
	v_cmp_gt_i32_e64 s11, v12, v55
	s_wait_dscnt 0x1
	v_and_b32_e32 v53, 0xff, v50
	s_wait_dscnt 0x0
	v_and_b32_e32 v57, 0xff, v51
	s_delay_alu instid0(VALU_DEP_1)
	v_cmp_lt_u16_e64 s10, v57, v53
	s_or_b32 s9, s9, s10
	s_wait_alu 0xfffe
	s_and_b32 s9, s11, s9
	s_wait_alu 0xfffe
	s_xor_b32 s10, s9, -1
	s_wait_alu 0xfffe
	s_and_saveexec_b32 s11, s10
	s_wait_alu 0xfffe
	s_xor_b32 s10, exec_lo, s11
; %bb.7:                                ;   in Loop: Header=BB95_2 Depth=1
	ds_load_u8 v52, v54 offset:1
                                        ; implicit-def: $vgpr56
; %bb.8:                                ;   in Loop: Header=BB95_2 Depth=1
	s_wait_alu 0xfffe
	s_or_saveexec_b32 s10, s10
	v_mov_b32_e32 v53, v51
	s_wait_alu 0xfffe
	s_xor_b32 exec_lo, exec_lo, s10
	s_cbranch_execz .LBB95_10
; %bb.9:                                ;   in Loop: Header=BB95_2 Depth=1
	ds_load_u8 v53, v56 offset:4
	s_wait_dscnt 0x1
	v_mov_b32_e32 v52, v50
.LBB95_10:                              ;   in Loop: Header=BB95_2 Depth=1
	s_or_b32 exec_lo, exec_lo, s10
	v_add_nc_u32_e32 v56, 1, v54
	v_add_nc_u32_e32 v57, 1, v55
	s_wait_dscnt 0x0
	v_and_b32_e32 v59, 0xff, v52
	s_delay_alu instid0(VALU_DEP_3) | instskip(SKIP_2) | instid1(VALU_DEP_3)
	v_cndmask_b32_e64 v58, v56, v54, s9
	v_and_b32_e32 v56, 0xff, v53
	v_cndmask_b32_e64 v57, v55, v57, s9
	v_cmp_ge_i32_e64 s10, v58, v11
	s_delay_alu instid0(VALU_DEP_3) | instskip(NEXT) | instid1(VALU_DEP_3)
	v_cmp_lt_u16_e64 s11, v56, v59
	v_cmp_lt_i32_e64 s12, v57, v12
                                        ; implicit-def: $vgpr56
	s_or_b32 s10, s10, s11
	s_wait_alu 0xfffe
	s_and_b32 s10, s12, s10
	s_wait_alu 0xfffe
	s_xor_b32 s11, s10, -1
	s_wait_alu 0xfffe
	s_and_saveexec_b32 s12, s11
	s_delay_alu instid0(SALU_CYCLE_1)
	s_xor_b32 s11, exec_lo, s12
; %bb.11:                               ;   in Loop: Header=BB95_2 Depth=1
	ds_load_u8 v56, v58 offset:1
; %bb.12:                               ;   in Loop: Header=BB95_2 Depth=1
	s_wait_alu 0xfffe
	s_or_saveexec_b32 s11, s11
	v_mov_b32_e32 v59, v53
	s_wait_alu 0xfffe
	s_xor_b32 exec_lo, exec_lo, s11
	s_cbranch_execz .LBB95_14
; %bb.13:                               ;   in Loop: Header=BB95_2 Depth=1
	ds_load_u8 v59, v57 offset:1
	s_wait_dscnt 0x1
	v_mov_b32_e32 v56, v52
.LBB95_14:                              ;   in Loop: Header=BB95_2 Depth=1
	s_or_b32 exec_lo, exec_lo, s11
	v_perm_b32 v60, v48, v49, 0xc0c0004
	v_perm_b32 v48, v49, v48, 0xc0c0004
	v_and_b32_e32 v49, 0xff, v47
	v_cndmask_b32_e64 v54, v54, v55, s9
	s_wait_dscnt 0x0
	v_and_b32_e32 v61, 0xff, v56
	v_and_b32_e32 v62, 0xff, v59
	v_cndmask_b32_e64 v48, v48, v60, s7
	v_lshlrev_b32_e32 v49, 16, v49
	s_wait_loadcnt 0x0
	s_barrier_signal -1
	v_cmp_lt_u16_e64 s7, v62, v61
	v_lshrrev_b16 v60, 8, v48
	v_perm_b32 v47, v48, v47, 0xc0c0004
	v_or_b32_e32 v48, v48, v49
	v_add_nc_u32_e32 v49, 1, v58
	s_barrier_wait -1
	v_lshlrev_b32_e32 v60, 16, v60
	global_inv scope:SCOPE_SE
	v_cndmask_b32_e64 v50, v50, v51, s9
	v_cndmask_b32_e64 v49, v49, v58, s10
	;; [unrolled: 1-line block ×3, first 2 shown]
	v_or_b32_e32 v47, v47, v60
	v_cndmask_b32_e64 v60, v58, v57, s10
	s_delay_alu instid0(VALU_DEP_2) | instskip(SKIP_2) | instid1(VALU_DEP_3)
	v_cndmask_b32_e64 v47, v48, v47, s8
	v_add_nc_u32_e32 v48, 1, v57
	v_cmp_ge_i32_e64 s8, v49, v11
	v_perm_b32 v55, 0, v47, 0xc0c0001
	s_delay_alu instid0(VALU_DEP_3) | instskip(SKIP_1) | instid1(VALU_DEP_2)
	v_cndmask_b32_e64 v48, v57, v48, s10
	s_or_b32 s7, s8, s7
	v_and_or_b32 v55, 0xff0000, v47, v55
	s_delay_alu instid0(VALU_DEP_1) | instskip(NEXT) | instid1(VALU_DEP_3)
	v_cndmask_b32_e64 v47, v47, v55, s6
	v_cmp_lt_i32_e64 s6, v48, v12
	s_delay_alu instid0(VALU_DEP_2)
	v_lshrrev_b32_e32 v55, 8, v47
	s_wait_alu 0xfffe
	s_and_b32 s6, s6, s7
	ds_store_b8 v1, v47
	ds_store_b8 v1, v55 offset:1
	ds_store_b8_d16_hi v1, v47 offset:2
	s_wait_alu 0xfffe
	v_cndmask_b32_e64 v48, v49, v48, s6
	s_wait_loadcnt_dscnt 0x0
	s_barrier_signal -1
	s_barrier_wait -1
	global_inv scope:SCOPE_SE
	ds_load_u8 v47, v54
	ds_load_u8 v48, v48
	;; [unrolled: 1-line block ×3, first 2 shown]
	v_cndmask_b32_e64 v56, v56, v59, s6
	s_wait_loadcnt_dscnt 0x0
	s_barrier_signal -1
	s_barrier_wait -1
	global_inv scope:SCOPE_SE
	ds_store_b8 v1, v50
	ds_store_b8 v1, v52 offset:1
	ds_store_b8 v1, v56 offset:2
	v_mov_b32_e32 v52, v41
	s_wait_loadcnt_dscnt 0x0
	s_barrier_signal -1
	s_barrier_wait -1
	global_inv scope:SCOPE_SE
	s_and_saveexec_b32 s7, s1
	s_cbranch_execz .LBB95_18
; %bb.15:                               ;   in Loop: Header=BB95_2 Depth=1
	v_mov_b32_e32 v52, v41
	v_mov_b32_e32 v50, v35
	s_mov_b32 s8, 0
.LBB95_16:                              ;   Parent Loop BB95_2 Depth=1
                                        ; =>  This Inner Loop Header: Depth=2
	s_delay_alu instid0(VALU_DEP_1) | instskip(NEXT) | instid1(VALU_DEP_1)
	v_sub_nc_u32_e32 v51, v50, v52
	v_lshrrev_b32_e32 v51, 1, v51
	s_delay_alu instid0(VALU_DEP_1) | instskip(NEXT) | instid1(VALU_DEP_1)
	v_add_nc_u32_e32 v51, v51, v52
	v_add_nc_u32_e32 v53, v6, v51
	v_xad_u32 v54, v51, -1, v24
	v_add_nc_u32_e32 v55, 1, v51
	ds_load_u8 v53, v53
	ds_load_u8 v54, v54 offset:6
	s_wait_dscnt 0x0
	v_cmp_lt_u16_e64 s6, v54, v53
	s_wait_alu 0xf1ff
	s_delay_alu instid0(VALU_DEP_1) | instskip(SKIP_1) | instid1(VALU_DEP_1)
	v_cndmask_b32_e64 v50, v50, v51, s6
	v_cndmask_b32_e64 v52, v55, v52, s6
	v_cmp_ge_i32_e64 s6, v52, v50
	s_wait_alu 0xfffe
	s_or_b32 s8, s6, s8
	s_wait_alu 0xfffe
	s_and_not1_b32 exec_lo, exec_lo, s8
	s_cbranch_execnz .LBB95_16
; %bb.17:                               ;   in Loop: Header=BB95_2 Depth=1
	s_or_b32 exec_lo, exec_lo, s8
.LBB95_18:                              ;   in Loop: Header=BB95_2 Depth=1
	s_wait_alu 0xfffe
	s_or_b32 exec_lo, exec_lo, s7
	v_add_nc_u32_e32 v53, v52, v6
	v_sub_nc_u32_e32 v56, v24, v52
	v_sub_nc_u32_e32 v54, v29, v52
                                        ; implicit-def: $vgpr52
	ds_load_u8 v50, v53
	ds_load_u8 v51, v56 offset:6
	v_cmp_le_i32_e64 s6, v13, v53
	v_cmp_gt_i32_e64 s8, v14, v54
	s_wait_dscnt 0x1
	v_and_b32_e32 v55, 0xff, v50
	s_wait_dscnt 0x0
	v_and_b32_e32 v57, 0xff, v51
	s_delay_alu instid0(VALU_DEP_1)
	v_cmp_lt_u16_e64 s7, v57, v55
	s_or_b32 s6, s6, s7
	s_wait_alu 0xfffe
	s_and_b32 s6, s8, s6
	s_wait_alu 0xfffe
	s_xor_b32 s7, s6, -1
	s_wait_alu 0xfffe
	s_and_saveexec_b32 s8, s7
	s_wait_alu 0xfffe
	s_xor_b32 s7, exec_lo, s8
; %bb.19:                               ;   in Loop: Header=BB95_2 Depth=1
	ds_load_u8 v52, v53 offset:1
                                        ; implicit-def: $vgpr56
; %bb.20:                               ;   in Loop: Header=BB95_2 Depth=1
	s_wait_alu 0xfffe
	s_or_saveexec_b32 s7, s7
	v_mov_b32_e32 v55, v51
	s_wait_alu 0xfffe
	s_xor_b32 exec_lo, exec_lo, s7
	s_cbranch_execz .LBB95_22
; %bb.21:                               ;   in Loop: Header=BB95_2 Depth=1
	ds_load_u8 v55, v56 offset:7
	s_wait_dscnt 0x1
	v_mov_b32_e32 v52, v50
.LBB95_22:                              ;   in Loop: Header=BB95_2 Depth=1
	s_or_b32 exec_lo, exec_lo, s7
	v_add_nc_u32_e32 v56, 1, v53
	v_add_nc_u32_e32 v58, 1, v54
	s_wait_dscnt 0x0
	v_and_b32_e32 v59, 0xff, v52
	s_delay_alu instid0(VALU_DEP_3) | instskip(SKIP_2) | instid1(VALU_DEP_3)
	v_cndmask_b32_e64 v57, v56, v53, s6
	v_and_b32_e32 v56, 0xff, v55
	v_cndmask_b32_e64 v58, v54, v58, s6
	v_cmp_ge_i32_e64 s7, v57, v13
	s_delay_alu instid0(VALU_DEP_3) | instskip(NEXT) | instid1(VALU_DEP_3)
	v_cmp_lt_u16_e64 s8, v56, v59
	v_cmp_lt_i32_e64 s9, v58, v14
                                        ; implicit-def: $vgpr56
	s_or_b32 s7, s7, s8
	s_wait_alu 0xfffe
	s_and_b32 s7, s9, s7
	s_wait_alu 0xfffe
	s_xor_b32 s8, s7, -1
	s_wait_alu 0xfffe
	s_and_saveexec_b32 s9, s8
	s_wait_alu 0xfffe
	s_xor_b32 s8, exec_lo, s9
; %bb.23:                               ;   in Loop: Header=BB95_2 Depth=1
	ds_load_u8 v56, v57 offset:1
; %bb.24:                               ;   in Loop: Header=BB95_2 Depth=1
	s_wait_alu 0xfffe
	s_or_saveexec_b32 s8, s8
	v_mov_b32_e32 v59, v55
	s_wait_alu 0xfffe
	s_xor_b32 exec_lo, exec_lo, s8
	s_cbranch_execz .LBB95_26
; %bb.25:                               ;   in Loop: Header=BB95_2 Depth=1
	ds_load_u8 v59, v58 offset:1
	s_wait_dscnt 0x1
	v_mov_b32_e32 v56, v52
.LBB95_26:                              ;   in Loop: Header=BB95_2 Depth=1
	s_or_b32 exec_lo, exec_lo, s8
	v_add_nc_u32_e32 v60, 1, v57
	v_add_nc_u32_e32 v61, 1, v58
	s_wait_dscnt 0x0
	v_and_b32_e32 v62, 0xff, v56
	v_and_b32_e32 v63, 0xff, v59
	v_cndmask_b32_e64 v53, v53, v54, s6
	v_cndmask_b32_e64 v60, v60, v57, s7
	;; [unrolled: 1-line block ×4, first 2 shown]
	v_cmp_lt_u16_e64 s8, v63, v62
	s_wait_loadcnt 0x0
	v_cmp_ge_i32_e64 s9, v60, v13
	s_barrier_signal -1
	v_cmp_lt_i32_e64 s10, v58, v14
	s_barrier_wait -1
	global_inv scope:SCOPE_SE
	s_or_b32 s8, s9, s8
	ds_store_b8 v1, v47
	ds_store_b8 v1, v49 offset:1
	ds_store_b8 v1, v48 offset:2
	s_wait_alu 0xfffe
	s_and_b32 s8, s10, s8
	s_wait_loadcnt_dscnt 0x0
	s_wait_alu 0xfffe
	v_cndmask_b32_e64 v54, v56, v59, s8
	v_cndmask_b32_e64 v56, v60, v58, s8
	s_barrier_signal -1
	s_barrier_wait -1
	global_inv scope:SCOPE_SE
	ds_load_u8 v47, v53
	ds_load_u8 v48, v56
	ds_load_u8 v49, v57
	v_cndmask_b32_e64 v50, v50, v51, s6
	v_cndmask_b32_e64 v52, v52, v55, s7
	s_wait_loadcnt_dscnt 0x0
	s_barrier_signal -1
	s_barrier_wait -1
	global_inv scope:SCOPE_SE
	ds_store_b8 v1, v50
	ds_store_b8 v1, v52 offset:1
	ds_store_b8 v1, v54 offset:2
	v_mov_b32_e32 v52, v42
	s_wait_loadcnt_dscnt 0x0
	s_barrier_signal -1
	s_barrier_wait -1
	global_inv scope:SCOPE_SE
	s_and_saveexec_b32 s7, s2
	s_cbranch_execz .LBB95_30
; %bb.27:                               ;   in Loop: Header=BB95_2 Depth=1
	v_mov_b32_e32 v52, v42
	v_mov_b32_e32 v50, v36
	s_mov_b32 s8, 0
.LBB95_28:                              ;   Parent Loop BB95_2 Depth=1
                                        ; =>  This Inner Loop Header: Depth=2
	s_delay_alu instid0(VALU_DEP_1) | instskip(NEXT) | instid1(VALU_DEP_1)
	v_sub_nc_u32_e32 v51, v50, v52
	v_lshrrev_b32_e32 v51, 1, v51
	s_delay_alu instid0(VALU_DEP_1) | instskip(NEXT) | instid1(VALU_DEP_1)
	v_add_nc_u32_e32 v51, v51, v52
	v_add_nc_u32_e32 v53, v7, v51
	v_xad_u32 v54, v51, -1, v25
	v_add_nc_u32_e32 v55, 1, v51
	ds_load_u8 v53, v53
	ds_load_u8 v54, v54 offset:12
	s_wait_dscnt 0x0
	v_cmp_lt_u16_e64 s6, v54, v53
	s_wait_alu 0xf1ff
	s_delay_alu instid0(VALU_DEP_1) | instskip(SKIP_1) | instid1(VALU_DEP_1)
	v_cndmask_b32_e64 v50, v50, v51, s6
	v_cndmask_b32_e64 v52, v55, v52, s6
	v_cmp_ge_i32_e64 s6, v52, v50
	s_wait_alu 0xfffe
	s_or_b32 s8, s6, s8
	s_wait_alu 0xfffe
	s_and_not1_b32 exec_lo, exec_lo, s8
	s_cbranch_execnz .LBB95_28
; %bb.29:                               ;   in Loop: Header=BB95_2 Depth=1
	s_or_b32 exec_lo, exec_lo, s8
.LBB95_30:                              ;   in Loop: Header=BB95_2 Depth=1
	s_wait_alu 0xfffe
	s_or_b32 exec_lo, exec_lo, s7
	v_add_nc_u32_e32 v53, v52, v7
	v_sub_nc_u32_e32 v56, v25, v52
	v_sub_nc_u32_e32 v54, v30, v52
                                        ; implicit-def: $vgpr52
	ds_load_u8 v50, v53
	ds_load_u8 v51, v56 offset:12
	v_cmp_le_i32_e64 s6, v15, v53
	v_cmp_gt_i32_e64 s8, v16, v54
	s_wait_dscnt 0x1
	v_and_b32_e32 v55, 0xff, v50
	s_wait_dscnt 0x0
	v_and_b32_e32 v57, 0xff, v51
	s_delay_alu instid0(VALU_DEP_1)
	v_cmp_lt_u16_e64 s7, v57, v55
	s_or_b32 s6, s6, s7
	s_wait_alu 0xfffe
	s_and_b32 s6, s8, s6
	s_wait_alu 0xfffe
	s_xor_b32 s7, s6, -1
	s_wait_alu 0xfffe
	s_and_saveexec_b32 s8, s7
	s_wait_alu 0xfffe
	s_xor_b32 s7, exec_lo, s8
; %bb.31:                               ;   in Loop: Header=BB95_2 Depth=1
	ds_load_u8 v52, v53 offset:1
                                        ; implicit-def: $vgpr56
; %bb.32:                               ;   in Loop: Header=BB95_2 Depth=1
	s_wait_alu 0xfffe
	s_or_saveexec_b32 s7, s7
	v_mov_b32_e32 v55, v51
	s_wait_alu 0xfffe
	s_xor_b32 exec_lo, exec_lo, s7
	s_cbranch_execz .LBB95_34
; %bb.33:                               ;   in Loop: Header=BB95_2 Depth=1
	ds_load_u8 v55, v56 offset:13
	s_wait_dscnt 0x1
	v_mov_b32_e32 v52, v50
.LBB95_34:                              ;   in Loop: Header=BB95_2 Depth=1
	s_or_b32 exec_lo, exec_lo, s7
	v_add_nc_u32_e32 v56, 1, v53
	v_add_nc_u32_e32 v58, 1, v54
	s_wait_dscnt 0x0
	v_and_b32_e32 v59, 0xff, v52
	s_delay_alu instid0(VALU_DEP_3) | instskip(SKIP_2) | instid1(VALU_DEP_3)
	v_cndmask_b32_e64 v57, v56, v53, s6
	v_and_b32_e32 v56, 0xff, v55
	v_cndmask_b32_e64 v58, v54, v58, s6
	v_cmp_ge_i32_e64 s7, v57, v15
	s_delay_alu instid0(VALU_DEP_3) | instskip(NEXT) | instid1(VALU_DEP_3)
	v_cmp_lt_u16_e64 s8, v56, v59
	v_cmp_lt_i32_e64 s9, v58, v16
                                        ; implicit-def: $vgpr56
	s_or_b32 s7, s7, s8
	s_wait_alu 0xfffe
	s_and_b32 s7, s9, s7
	s_wait_alu 0xfffe
	s_xor_b32 s8, s7, -1
	s_wait_alu 0xfffe
	s_and_saveexec_b32 s9, s8
	s_wait_alu 0xfffe
	s_xor_b32 s8, exec_lo, s9
; %bb.35:                               ;   in Loop: Header=BB95_2 Depth=1
	ds_load_u8 v56, v57 offset:1
; %bb.36:                               ;   in Loop: Header=BB95_2 Depth=1
	s_wait_alu 0xfffe
	s_or_saveexec_b32 s8, s8
	v_mov_b32_e32 v59, v55
	s_wait_alu 0xfffe
	s_xor_b32 exec_lo, exec_lo, s8
	s_cbranch_execz .LBB95_38
; %bb.37:                               ;   in Loop: Header=BB95_2 Depth=1
	ds_load_u8 v59, v58 offset:1
	s_wait_dscnt 0x1
	v_mov_b32_e32 v56, v52
.LBB95_38:                              ;   in Loop: Header=BB95_2 Depth=1
	s_or_b32 exec_lo, exec_lo, s8
	v_add_nc_u32_e32 v60, 1, v57
	v_add_nc_u32_e32 v61, 1, v58
	s_wait_dscnt 0x0
	v_and_b32_e32 v62, 0xff, v56
	v_and_b32_e32 v63, 0xff, v59
	v_cndmask_b32_e64 v53, v53, v54, s6
	v_cndmask_b32_e64 v60, v60, v57, s7
	;; [unrolled: 1-line block ×4, first 2 shown]
	v_cmp_lt_u16_e64 s8, v63, v62
	s_wait_loadcnt 0x0
	v_cmp_ge_i32_e64 s9, v60, v15
	s_barrier_signal -1
	v_cmp_lt_i32_e64 s10, v58, v16
	s_barrier_wait -1
	global_inv scope:SCOPE_SE
	s_or_b32 s8, s9, s8
	ds_store_b8 v1, v47
	ds_store_b8 v1, v49 offset:1
	ds_store_b8 v1, v48 offset:2
	s_wait_alu 0xfffe
	s_and_b32 s8, s10, s8
	s_wait_loadcnt_dscnt 0x0
	s_wait_alu 0xfffe
	v_cndmask_b32_e64 v54, v56, v59, s8
	v_cndmask_b32_e64 v56, v60, v58, s8
	s_barrier_signal -1
	s_barrier_wait -1
	global_inv scope:SCOPE_SE
	ds_load_u8 v47, v53
	ds_load_u8 v48, v56
	;; [unrolled: 1-line block ×3, first 2 shown]
	v_cndmask_b32_e64 v50, v50, v51, s6
	v_cndmask_b32_e64 v52, v52, v55, s7
	s_wait_loadcnt_dscnt 0x0
	s_barrier_signal -1
	s_barrier_wait -1
	global_inv scope:SCOPE_SE
	ds_store_b8 v1, v50
	ds_store_b8 v1, v52 offset:1
	ds_store_b8 v1, v54 offset:2
	v_mov_b32_e32 v52, v43
	s_wait_loadcnt_dscnt 0x0
	s_barrier_signal -1
	s_barrier_wait -1
	global_inv scope:SCOPE_SE
	s_and_saveexec_b32 s7, s3
	s_cbranch_execz .LBB95_42
; %bb.39:                               ;   in Loop: Header=BB95_2 Depth=1
	v_mov_b32_e32 v52, v43
	v_mov_b32_e32 v50, v37
	s_mov_b32 s8, 0
.LBB95_40:                              ;   Parent Loop BB95_2 Depth=1
                                        ; =>  This Inner Loop Header: Depth=2
	s_delay_alu instid0(VALU_DEP_1) | instskip(NEXT) | instid1(VALU_DEP_1)
	v_sub_nc_u32_e32 v51, v50, v52
	v_lshrrev_b32_e32 v51, 1, v51
	s_delay_alu instid0(VALU_DEP_1) | instskip(NEXT) | instid1(VALU_DEP_1)
	v_add_nc_u32_e32 v51, v51, v52
	v_add_nc_u32_e32 v53, v8, v51
	v_xad_u32 v54, v51, -1, v26
	v_add_nc_u32_e32 v55, 1, v51
	ds_load_u8 v53, v53
	ds_load_u8 v54, v54 offset:24
	s_wait_dscnt 0x0
	v_cmp_lt_u16_e64 s6, v54, v53
	s_wait_alu 0xf1ff
	s_delay_alu instid0(VALU_DEP_1) | instskip(SKIP_1) | instid1(VALU_DEP_1)
	v_cndmask_b32_e64 v50, v50, v51, s6
	v_cndmask_b32_e64 v52, v55, v52, s6
	v_cmp_ge_i32_e64 s6, v52, v50
	s_wait_alu 0xfffe
	s_or_b32 s8, s6, s8
	s_wait_alu 0xfffe
	s_and_not1_b32 exec_lo, exec_lo, s8
	s_cbranch_execnz .LBB95_40
; %bb.41:                               ;   in Loop: Header=BB95_2 Depth=1
	s_or_b32 exec_lo, exec_lo, s8
.LBB95_42:                              ;   in Loop: Header=BB95_2 Depth=1
	s_wait_alu 0xfffe
	s_or_b32 exec_lo, exec_lo, s7
	v_add_nc_u32_e32 v53, v52, v8
	v_sub_nc_u32_e32 v56, v26, v52
	v_sub_nc_u32_e32 v54, v31, v52
                                        ; implicit-def: $vgpr52
	ds_load_u8 v50, v53
	ds_load_u8 v51, v56 offset:24
	v_cmp_le_i32_e64 s6, v17, v53
	v_cmp_gt_i32_e64 s8, v18, v54
	s_wait_dscnt 0x1
	v_and_b32_e32 v55, 0xff, v50
	s_wait_dscnt 0x0
	v_and_b32_e32 v57, 0xff, v51
	s_delay_alu instid0(VALU_DEP_1)
	v_cmp_lt_u16_e64 s7, v57, v55
	s_or_b32 s6, s6, s7
	s_wait_alu 0xfffe
	s_and_b32 s6, s8, s6
	s_wait_alu 0xfffe
	s_xor_b32 s7, s6, -1
	s_wait_alu 0xfffe
	s_and_saveexec_b32 s8, s7
	s_wait_alu 0xfffe
	s_xor_b32 s7, exec_lo, s8
; %bb.43:                               ;   in Loop: Header=BB95_2 Depth=1
	ds_load_u8 v52, v53 offset:1
                                        ; implicit-def: $vgpr56
; %bb.44:                               ;   in Loop: Header=BB95_2 Depth=1
	s_wait_alu 0xfffe
	s_or_saveexec_b32 s7, s7
	v_mov_b32_e32 v55, v51
	s_wait_alu 0xfffe
	s_xor_b32 exec_lo, exec_lo, s7
	s_cbranch_execz .LBB95_46
; %bb.45:                               ;   in Loop: Header=BB95_2 Depth=1
	ds_load_u8 v55, v56 offset:25
	s_wait_dscnt 0x1
	v_mov_b32_e32 v52, v50
.LBB95_46:                              ;   in Loop: Header=BB95_2 Depth=1
	s_or_b32 exec_lo, exec_lo, s7
	v_add_nc_u32_e32 v56, 1, v53
	v_add_nc_u32_e32 v58, 1, v54
	s_wait_dscnt 0x0
	v_and_b32_e32 v59, 0xff, v52
	s_delay_alu instid0(VALU_DEP_3) | instskip(SKIP_2) | instid1(VALU_DEP_3)
	v_cndmask_b32_e64 v57, v56, v53, s6
	v_and_b32_e32 v56, 0xff, v55
	v_cndmask_b32_e64 v58, v54, v58, s6
	v_cmp_ge_i32_e64 s7, v57, v17
	s_delay_alu instid0(VALU_DEP_3) | instskip(NEXT) | instid1(VALU_DEP_3)
	v_cmp_lt_u16_e64 s8, v56, v59
	v_cmp_lt_i32_e64 s9, v58, v18
                                        ; implicit-def: $vgpr56
	s_or_b32 s7, s7, s8
	s_wait_alu 0xfffe
	s_and_b32 s7, s9, s7
	s_wait_alu 0xfffe
	s_xor_b32 s8, s7, -1
	s_wait_alu 0xfffe
	s_and_saveexec_b32 s9, s8
	s_wait_alu 0xfffe
	s_xor_b32 s8, exec_lo, s9
; %bb.47:                               ;   in Loop: Header=BB95_2 Depth=1
	ds_load_u8 v56, v57 offset:1
; %bb.48:                               ;   in Loop: Header=BB95_2 Depth=1
	s_wait_alu 0xfffe
	s_or_saveexec_b32 s8, s8
	v_mov_b32_e32 v59, v55
	s_wait_alu 0xfffe
	s_xor_b32 exec_lo, exec_lo, s8
	s_cbranch_execz .LBB95_50
; %bb.49:                               ;   in Loop: Header=BB95_2 Depth=1
	ds_load_u8 v59, v58 offset:1
	s_wait_dscnt 0x1
	v_mov_b32_e32 v56, v52
.LBB95_50:                              ;   in Loop: Header=BB95_2 Depth=1
	s_or_b32 exec_lo, exec_lo, s8
	v_add_nc_u32_e32 v60, 1, v57
	v_add_nc_u32_e32 v61, 1, v58
	s_wait_dscnt 0x0
	v_and_b32_e32 v62, 0xff, v56
	v_and_b32_e32 v63, 0xff, v59
	v_cndmask_b32_e64 v53, v53, v54, s6
	v_cndmask_b32_e64 v60, v60, v57, s7
	;; [unrolled: 1-line block ×4, first 2 shown]
	v_cmp_lt_u16_e64 s8, v63, v62
	s_wait_loadcnt 0x0
	v_cmp_ge_i32_e64 s9, v60, v17
	s_barrier_signal -1
	v_cmp_lt_i32_e64 s10, v58, v18
	s_barrier_wait -1
	global_inv scope:SCOPE_SE
	s_or_b32 s8, s9, s8
	ds_store_b8 v1, v47
	ds_store_b8 v1, v49 offset:1
	ds_store_b8 v1, v48 offset:2
	s_wait_alu 0xfffe
	s_and_b32 s8, s10, s8
	s_wait_loadcnt_dscnt 0x0
	s_wait_alu 0xfffe
	v_cndmask_b32_e64 v54, v56, v59, s8
	v_cndmask_b32_e64 v56, v60, v58, s8
	s_barrier_signal -1
	s_barrier_wait -1
	global_inv scope:SCOPE_SE
	ds_load_u8 v47, v53
	ds_load_u8 v48, v56
	;; [unrolled: 1-line block ×3, first 2 shown]
	v_cndmask_b32_e64 v50, v50, v51, s6
	v_cndmask_b32_e64 v52, v52, v55, s7
	s_wait_loadcnt_dscnt 0x0
	s_barrier_signal -1
	s_barrier_wait -1
	global_inv scope:SCOPE_SE
	ds_store_b8 v1, v50
	ds_store_b8 v1, v52 offset:1
	ds_store_b8 v1, v54 offset:2
	v_mov_b32_e32 v52, v44
	s_wait_loadcnt_dscnt 0x0
	s_barrier_signal -1
	s_barrier_wait -1
	global_inv scope:SCOPE_SE
	s_and_saveexec_b32 s7, s4
	s_cbranch_execz .LBB95_54
; %bb.51:                               ;   in Loop: Header=BB95_2 Depth=1
	v_mov_b32_e32 v52, v44
	v_mov_b32_e32 v50, v38
	s_mov_b32 s8, 0
.LBB95_52:                              ;   Parent Loop BB95_2 Depth=1
                                        ; =>  This Inner Loop Header: Depth=2
	s_delay_alu instid0(VALU_DEP_1) | instskip(NEXT) | instid1(VALU_DEP_1)
	v_sub_nc_u32_e32 v51, v50, v52
	v_lshrrev_b32_e32 v51, 1, v51
	s_delay_alu instid0(VALU_DEP_1) | instskip(NEXT) | instid1(VALU_DEP_1)
	v_add_nc_u32_e32 v51, v51, v52
	v_add_nc_u32_e32 v53, v9, v51
	v_xad_u32 v54, v51, -1, v27
	v_add_nc_u32_e32 v55, 1, v51
	ds_load_u8 v53, v53
	ds_load_u8 v54, v54 offset:48
	s_wait_dscnt 0x0
	v_cmp_lt_u16_e64 s6, v54, v53
	s_wait_alu 0xf1ff
	s_delay_alu instid0(VALU_DEP_1) | instskip(SKIP_1) | instid1(VALU_DEP_1)
	v_cndmask_b32_e64 v50, v50, v51, s6
	v_cndmask_b32_e64 v52, v55, v52, s6
	v_cmp_ge_i32_e64 s6, v52, v50
	s_wait_alu 0xfffe
	s_or_b32 s8, s6, s8
	s_wait_alu 0xfffe
	s_and_not1_b32 exec_lo, exec_lo, s8
	s_cbranch_execnz .LBB95_52
; %bb.53:                               ;   in Loop: Header=BB95_2 Depth=1
	s_or_b32 exec_lo, exec_lo, s8
.LBB95_54:                              ;   in Loop: Header=BB95_2 Depth=1
	s_wait_alu 0xfffe
	s_or_b32 exec_lo, exec_lo, s7
	v_add_nc_u32_e32 v53, v52, v9
	v_sub_nc_u32_e32 v56, v27, v52
	v_sub_nc_u32_e32 v54, v32, v52
                                        ; implicit-def: $vgpr52
	ds_load_u8 v50, v53
	ds_load_u8 v51, v56 offset:48
	v_cmp_le_i32_e64 s6, v19, v53
	v_cmp_gt_i32_e64 s8, v20, v54
	s_wait_dscnt 0x1
	v_and_b32_e32 v55, 0xff, v50
	s_wait_dscnt 0x0
	v_and_b32_e32 v57, 0xff, v51
	s_delay_alu instid0(VALU_DEP_1)
	v_cmp_lt_u16_e64 s7, v57, v55
	s_or_b32 s6, s6, s7
	s_wait_alu 0xfffe
	s_and_b32 s6, s8, s6
	s_wait_alu 0xfffe
	s_xor_b32 s7, s6, -1
	s_wait_alu 0xfffe
	s_and_saveexec_b32 s8, s7
	s_wait_alu 0xfffe
	s_xor_b32 s7, exec_lo, s8
; %bb.55:                               ;   in Loop: Header=BB95_2 Depth=1
	ds_load_u8 v52, v53 offset:1
                                        ; implicit-def: $vgpr56
; %bb.56:                               ;   in Loop: Header=BB95_2 Depth=1
	s_wait_alu 0xfffe
	s_or_saveexec_b32 s7, s7
	v_mov_b32_e32 v55, v51
	s_wait_alu 0xfffe
	s_xor_b32 exec_lo, exec_lo, s7
	s_cbranch_execz .LBB95_58
; %bb.57:                               ;   in Loop: Header=BB95_2 Depth=1
	ds_load_u8 v55, v56 offset:49
	s_wait_dscnt 0x1
	v_mov_b32_e32 v52, v50
.LBB95_58:                              ;   in Loop: Header=BB95_2 Depth=1
	s_or_b32 exec_lo, exec_lo, s7
	v_add_nc_u32_e32 v56, 1, v53
	v_add_nc_u32_e32 v58, 1, v54
	s_wait_dscnt 0x0
	v_and_b32_e32 v59, 0xff, v52
	s_delay_alu instid0(VALU_DEP_3) | instskip(SKIP_2) | instid1(VALU_DEP_3)
	v_cndmask_b32_e64 v57, v56, v53, s6
	v_and_b32_e32 v56, 0xff, v55
	v_cndmask_b32_e64 v58, v54, v58, s6
	v_cmp_ge_i32_e64 s7, v57, v19
	s_delay_alu instid0(VALU_DEP_3) | instskip(NEXT) | instid1(VALU_DEP_3)
	v_cmp_lt_u16_e64 s8, v56, v59
	v_cmp_lt_i32_e64 s9, v58, v20
                                        ; implicit-def: $vgpr56
	s_or_b32 s7, s7, s8
	s_wait_alu 0xfffe
	s_and_b32 s7, s9, s7
	s_wait_alu 0xfffe
	s_xor_b32 s8, s7, -1
	s_wait_alu 0xfffe
	s_and_saveexec_b32 s9, s8
	s_wait_alu 0xfffe
	s_xor_b32 s8, exec_lo, s9
; %bb.59:                               ;   in Loop: Header=BB95_2 Depth=1
	ds_load_u8 v56, v57 offset:1
; %bb.60:                               ;   in Loop: Header=BB95_2 Depth=1
	s_wait_alu 0xfffe
	s_or_saveexec_b32 s8, s8
	v_mov_b32_e32 v59, v55
	s_wait_alu 0xfffe
	s_xor_b32 exec_lo, exec_lo, s8
	s_cbranch_execz .LBB95_62
; %bb.61:                               ;   in Loop: Header=BB95_2 Depth=1
	ds_load_u8 v59, v58 offset:1
	s_wait_dscnt 0x1
	v_mov_b32_e32 v56, v52
.LBB95_62:                              ;   in Loop: Header=BB95_2 Depth=1
	s_or_b32 exec_lo, exec_lo, s8
	v_add_nc_u32_e32 v60, 1, v57
	v_add_nc_u32_e32 v61, 1, v58
	s_wait_dscnt 0x0
	v_and_b32_e32 v62, 0xff, v56
	v_and_b32_e32 v63, 0xff, v59
	v_cndmask_b32_e64 v53, v53, v54, s6
	v_cndmask_b32_e64 v60, v60, v57, s7
	v_cndmask_b32_e64 v57, v57, v58, s7
	v_cndmask_b32_e64 v58, v58, v61, s7
	v_cmp_lt_u16_e64 s8, v63, v62
	s_wait_loadcnt 0x0
	v_cmp_ge_i32_e64 s9, v60, v19
	s_barrier_signal -1
	v_cmp_lt_i32_e64 s10, v58, v20
	s_barrier_wait -1
	global_inv scope:SCOPE_SE
	s_or_b32 s8, s9, s8
	ds_store_b8 v1, v47
	ds_store_b8 v1, v49 offset:1
	ds_store_b8 v1, v48 offset:2
	s_wait_alu 0xfffe
	s_and_b32 s8, s10, s8
	s_wait_loadcnt_dscnt 0x0
	s_wait_alu 0xfffe
	v_cndmask_b32_e64 v54, v56, v59, s8
	v_cndmask_b32_e64 v56, v60, v58, s8
	s_barrier_signal -1
	s_barrier_wait -1
	global_inv scope:SCOPE_SE
	ds_load_u8 v47, v53
	ds_load_u8 v48, v56
	ds_load_u8 v49, v57
	v_cndmask_b32_e64 v50, v50, v51, s6
	v_cndmask_b32_e64 v52, v52, v55, s7
	s_wait_loadcnt_dscnt 0x0
	s_barrier_signal -1
	s_barrier_wait -1
	global_inv scope:SCOPE_SE
	ds_store_b8 v1, v50
	ds_store_b8 v1, v52 offset:1
	ds_store_b8 v1, v54 offset:2
	v_mov_b32_e32 v52, v45
	s_wait_loadcnt_dscnt 0x0
	s_barrier_signal -1
	s_barrier_wait -1
	global_inv scope:SCOPE_SE
	s_and_saveexec_b32 s7, s5
	s_cbranch_execz .LBB95_66
; %bb.63:                               ;   in Loop: Header=BB95_2 Depth=1
	v_mov_b32_e32 v52, v45
	v_mov_b32_e32 v50, v39
	s_mov_b32 s8, 0
.LBB95_64:                              ;   Parent Loop BB95_2 Depth=1
                                        ; =>  This Inner Loop Header: Depth=2
	s_delay_alu instid0(VALU_DEP_1) | instskip(NEXT) | instid1(VALU_DEP_1)
	v_sub_nc_u32_e32 v51, v50, v52
	v_lshrrev_b32_e32 v51, 1, v51
	s_delay_alu instid0(VALU_DEP_1) | instskip(NEXT) | instid1(VALU_DEP_1)
	v_add_nc_u32_e32 v51, v51, v52
	v_add_nc_u32_e32 v53, v10, v51
	v_xad_u32 v54, v51, -1, v46
	v_add_nc_u32_e32 v55, 1, v51
	ds_load_u8 v53, v53
	ds_load_u8 v54, v54 offset:96
	s_wait_dscnt 0x0
	v_cmp_lt_u16_e64 s6, v54, v53
	s_wait_alu 0xf1ff
	s_delay_alu instid0(VALU_DEP_1) | instskip(SKIP_1) | instid1(VALU_DEP_1)
	v_cndmask_b32_e64 v50, v50, v51, s6
	v_cndmask_b32_e64 v52, v55, v52, s6
	v_cmp_ge_i32_e64 s6, v52, v50
	s_wait_alu 0xfffe
	s_or_b32 s8, s6, s8
	s_wait_alu 0xfffe
	s_and_not1_b32 exec_lo, exec_lo, s8
	s_cbranch_execnz .LBB95_64
; %bb.65:                               ;   in Loop: Header=BB95_2 Depth=1
	s_or_b32 exec_lo, exec_lo, s8
.LBB95_66:                              ;   in Loop: Header=BB95_2 Depth=1
	s_wait_alu 0xfffe
	s_or_b32 exec_lo, exec_lo, s7
	v_add_nc_u32_e32 v53, v52, v10
	v_sub_nc_u32_e32 v56, v46, v52
	v_sub_nc_u32_e32 v54, v33, v52
                                        ; implicit-def: $vgpr52
	ds_load_u8 v50, v53
	ds_load_u8 v51, v56 offset:96
	v_cmp_le_i32_e64 s6, v21, v53
	v_cmp_gt_i32_e64 s8, v22, v54
	s_wait_dscnt 0x1
	v_and_b32_e32 v55, 0xff, v50
	s_wait_dscnt 0x0
	v_and_b32_e32 v57, 0xff, v51
	s_delay_alu instid0(VALU_DEP_1)
	v_cmp_lt_u16_e64 s7, v57, v55
	s_or_b32 s6, s6, s7
	s_wait_alu 0xfffe
	s_and_b32 s6, s8, s6
	s_wait_alu 0xfffe
	s_xor_b32 s7, s6, -1
	s_wait_alu 0xfffe
	s_and_saveexec_b32 s8, s7
	s_wait_alu 0xfffe
	s_xor_b32 s7, exec_lo, s8
; %bb.67:                               ;   in Loop: Header=BB95_2 Depth=1
	ds_load_u8 v52, v53 offset:1
                                        ; implicit-def: $vgpr56
; %bb.68:                               ;   in Loop: Header=BB95_2 Depth=1
	s_wait_alu 0xfffe
	s_or_saveexec_b32 s7, s7
	v_mov_b32_e32 v55, v51
	s_wait_alu 0xfffe
	s_xor_b32 exec_lo, exec_lo, s7
	s_cbranch_execz .LBB95_70
; %bb.69:                               ;   in Loop: Header=BB95_2 Depth=1
	ds_load_u8 v55, v56 offset:97
	s_wait_dscnt 0x1
	v_mov_b32_e32 v52, v50
.LBB95_70:                              ;   in Loop: Header=BB95_2 Depth=1
	s_or_b32 exec_lo, exec_lo, s7
	v_add_nc_u32_e32 v56, 1, v53
	v_add_nc_u32_e32 v58, 1, v54
	s_wait_dscnt 0x0
	v_and_b32_e32 v59, 0xff, v52
	s_delay_alu instid0(VALU_DEP_3) | instskip(SKIP_2) | instid1(VALU_DEP_3)
	v_cndmask_b32_e64 v57, v56, v53, s6
	v_and_b32_e32 v56, 0xff, v55
	v_cndmask_b32_e64 v58, v54, v58, s6
	v_cmp_ge_i32_e64 s7, v57, v21
	s_delay_alu instid0(VALU_DEP_3) | instskip(NEXT) | instid1(VALU_DEP_3)
	v_cmp_lt_u16_e64 s8, v56, v59
	v_cmp_lt_i32_e64 s9, v58, v22
                                        ; implicit-def: $vgpr56
	s_or_b32 s7, s7, s8
	s_wait_alu 0xfffe
	s_and_b32 s7, s9, s7
	s_wait_alu 0xfffe
	s_xor_b32 s8, s7, -1
	s_wait_alu 0xfffe
	s_and_saveexec_b32 s9, s8
	s_wait_alu 0xfffe
	s_xor_b32 s8, exec_lo, s9
; %bb.71:                               ;   in Loop: Header=BB95_2 Depth=1
	ds_load_u8 v56, v57 offset:1
; %bb.72:                               ;   in Loop: Header=BB95_2 Depth=1
	s_wait_alu 0xfffe
	s_or_saveexec_b32 s8, s8
	v_mov_b32_e32 v59, v55
	s_wait_alu 0xfffe
	s_xor_b32 exec_lo, exec_lo, s8
	s_cbranch_execz .LBB95_74
; %bb.73:                               ;   in Loop: Header=BB95_2 Depth=1
	ds_load_u8 v59, v58 offset:1
	s_wait_dscnt 0x1
	v_mov_b32_e32 v56, v52
.LBB95_74:                              ;   in Loop: Header=BB95_2 Depth=1
	s_or_b32 exec_lo, exec_lo, s8
	v_add_nc_u32_e32 v60, 1, v57
	v_add_nc_u32_e32 v61, 1, v58
	s_wait_dscnt 0x0
	v_and_b32_e32 v62, 0xff, v56
	v_and_b32_e32 v63, 0xff, v59
	v_cndmask_b32_e64 v53, v53, v54, s6
	v_cndmask_b32_e64 v60, v60, v57, s7
	v_cndmask_b32_e64 v57, v57, v58, s7
	v_cndmask_b32_e64 v58, v58, v61, s7
	v_cmp_lt_u16_e64 s8, v63, v62
	s_wait_loadcnt 0x0
	v_cmp_ge_i32_e64 s9, v60, v21
	s_barrier_signal -1
	v_cmp_lt_i32_e64 s10, v58, v22
	s_barrier_wait -1
	global_inv scope:SCOPE_SE
	s_or_b32 s8, s9, s8
	ds_store_b8 v1, v47
	ds_store_b8 v1, v49 offset:1
	ds_store_b8 v1, v48 offset:2
	s_wait_alu 0xfffe
	s_and_b32 s8, s10, s8
	s_wait_loadcnt_dscnt 0x0
	s_wait_alu 0xfffe
	v_cndmask_b32_e64 v54, v56, v59, s8
	v_cndmask_b32_e64 v56, v60, v58, s8
	s_barrier_signal -1
	s_barrier_wait -1
	global_inv scope:SCOPE_SE
	ds_load_u8 v47, v53
	ds_load_u8 v48, v56
	;; [unrolled: 1-line block ×3, first 2 shown]
	v_cndmask_b32_e64 v50, v50, v51, s6
	v_cndmask_b32_e64 v52, v52, v55, s7
	s_wait_loadcnt_dscnt 0x0
	s_barrier_signal -1
	s_barrier_wait -1
	global_inv scope:SCOPE_SE
	ds_store_b8 v1, v50
	ds_store_b8 v1, v52 offset:1
	ds_store_b8 v1, v54 offset:2
	v_mov_b32_e32 v50, v3
	s_wait_loadcnt_dscnt 0x0
	s_barrier_signal -1
	s_barrier_wait -1
	global_inv scope:SCOPE_SE
	s_and_saveexec_b32 s7, vcc_lo
	s_cbranch_execz .LBB95_78
; %bb.75:                               ;   in Loop: Header=BB95_2 Depth=1
	v_dual_mov_b32 v50, v3 :: v_dual_mov_b32 v51, v4
	s_mov_b32 s8, 0
.LBB95_76:                              ;   Parent Loop BB95_2 Depth=1
                                        ; =>  This Inner Loop Header: Depth=2
	s_delay_alu instid0(VALU_DEP_1) | instskip(NEXT) | instid1(VALU_DEP_1)
	v_sub_nc_u32_e32 v52, v51, v50
	v_lshrrev_b32_e32 v52, 1, v52
	s_delay_alu instid0(VALU_DEP_1) | instskip(NEXT) | instid1(VALU_DEP_1)
	v_add_nc_u32_e32 v52, v52, v50
	v_xad_u32 v53, v52, -1, v1
	v_add_nc_u32_e32 v55, 1, v52
	ds_load_u8 v54, v52
	ds_load_u8 v53, v53 offset:192
	s_wait_dscnt 0x0
	v_cmp_lt_u16_e64 s6, v53, v54
	s_wait_alu 0xf1ff
	s_delay_alu instid0(VALU_DEP_1) | instskip(SKIP_1) | instid1(VALU_DEP_1)
	v_cndmask_b32_e64 v51, v51, v52, s6
	v_cndmask_b32_e64 v50, v55, v50, s6
	v_cmp_ge_i32_e64 s6, v50, v51
	s_wait_alu 0xfffe
	s_or_b32 s8, s6, s8
	s_wait_alu 0xfffe
	s_and_not1_b32 exec_lo, exec_lo, s8
	s_cbranch_execnz .LBB95_76
; %bb.77:                               ;   in Loop: Header=BB95_2 Depth=1
	s_or_b32 exec_lo, exec_lo, s8
.LBB95_78:                              ;   in Loop: Header=BB95_2 Depth=1
	s_wait_alu 0xfffe
	s_or_b32 exec_lo, exec_lo, s7
	v_sub_nc_u32_e32 v56, v1, v50
	v_sub_nc_u32_e32 v51, v2, v50
	v_cmp_le_i32_e64 s6, 0xc0, v50
	ds_load_u8 v52, v50
	ds_load_u8 v53, v56 offset:192
	v_cmp_gt_i32_e64 s8, 0x180, v51
	s_wait_dscnt 0x1
	v_and_b32_e32 v54, 0xff, v52
	s_wait_dscnt 0x0
	v_and_b32_e32 v55, 0xff, v53
	s_delay_alu instid0(VALU_DEP_1)
	v_cmp_lt_u16_e64 s7, v55, v54
                                        ; implicit-def: $vgpr54
	s_or_b32 s6, s6, s7
	s_wait_alu 0xfffe
	s_and_b32 s6, s8, s6
	s_wait_alu 0xfffe
	s_xor_b32 s7, s6, -1
	s_wait_alu 0xfffe
	s_and_saveexec_b32 s8, s7
	s_wait_alu 0xfffe
	s_xor_b32 s7, exec_lo, s8
; %bb.79:                               ;   in Loop: Header=BB95_2 Depth=1
	ds_load_u8 v54, v50 offset:1
                                        ; implicit-def: $vgpr56
; %bb.80:                               ;   in Loop: Header=BB95_2 Depth=1
	s_wait_alu 0xfffe
	s_or_saveexec_b32 s7, s7
	v_mov_b32_e32 v55, v53
	s_wait_alu 0xfffe
	s_xor_b32 exec_lo, exec_lo, s7
	s_cbranch_execz .LBB95_82
; %bb.81:                               ;   in Loop: Header=BB95_2 Depth=1
	ds_load_u8 v55, v56 offset:193
	s_wait_dscnt 0x1
	v_mov_b32_e32 v54, v52
.LBB95_82:                              ;   in Loop: Header=BB95_2 Depth=1
	s_or_b32 exec_lo, exec_lo, s7
	v_add_nc_u32_e32 v56, 1, v50
	v_add_nc_u32_e32 v57, 1, v51
	s_wait_dscnt 0x0
	v_and_b32_e32 v58, 0xff, v54
	v_and_b32_e32 v59, 0xff, v55
	v_cndmask_b32_e64 v61, v56, v50, s6
	v_cndmask_b32_e64 v56, v51, v57, s6
                                        ; implicit-def: $vgpr57
	s_delay_alu instid0(VALU_DEP_3) | instskip(NEXT) | instid1(VALU_DEP_3)
	v_cmp_lt_u16_e64 s8, v59, v58
                                        ; implicit-def: $vgpr59
	v_cmp_le_i32_e64 s7, 0xc0, v61
	s_delay_alu instid0(VALU_DEP_3)
	v_cmp_gt_i32_e64 s9, 0x180, v56
	s_or_b32 s7, s7, s8
	s_wait_alu 0xfffe
	s_and_b32 s7, s9, s7
	s_wait_alu 0xfffe
	s_xor_b32 s8, s7, -1
	s_wait_alu 0xfffe
	s_and_saveexec_b32 s9, s8
	s_wait_alu 0xfffe
	s_xor_b32 s8, exec_lo, s9
; %bb.83:                               ;   in Loop: Header=BB95_2 Depth=1
	ds_load_u8 v59, v61 offset:1
	v_add_nc_u32_e32 v57, 1, v61
; %bb.84:                               ;   in Loop: Header=BB95_2 Depth=1
	s_wait_alu 0xfffe
	s_or_saveexec_b32 s8, s8
	v_mov_b32_e32 v58, v61
	v_mov_b32_e32 v60, v55
	s_wait_alu 0xfffe
	s_xor_b32 exec_lo, exec_lo, s8
	s_cbranch_execz .LBB95_1
; %bb.85:                               ;   in Loop: Header=BB95_2 Depth=1
	ds_load_u8 v60, v56 offset:1
	s_wait_dscnt 0x1
	v_dual_mov_b32 v58, v56 :: v_dual_add_nc_u32 v59, 1, v56
	s_delay_alu instid0(VALU_DEP_1)
	v_dual_mov_b32 v57, v61 :: v_dual_mov_b32 v56, v59
	v_mov_b32_e32 v59, v54
	s_branch .LBB95_1
.LBB95_86:
	s_add_nc_u64 s[0:1], s[14:15], s[16:17]
	s_wait_dscnt 0x2
	v_add_nc_u16 v2, v53, v49
	s_wait_alu 0xfffe
	v_add_co_u32 v0, s0, s0, v0
	s_wait_alu 0xf1ff
	v_add_co_ci_u32_e64 v1, null, s1, 0, s0
	s_wait_dscnt 0x1
	v_add_nc_u16 v3, v52, v48
	s_wait_dscnt 0x0
	v_add_nc_u16 v4, v50, v47
	s_clause 0x2
	global_store_b8 v[0:1], v2, off
	global_store_b8 v[0:1], v3, off offset:128
	global_store_b8 v[0:1], v4, off offset:256
	s_endpgm
	.section	.rodata,"a",@progbits
	.p2align	6, 0x0
	.amdhsa_kernel _Z17sort_pairs_kernelIhLj128ELj3EN10test_utils4lessELj10EEvPKT_PS2_T2_
		.amdhsa_group_segment_fixed_size 385
		.amdhsa_private_segment_fixed_size 0
		.amdhsa_kernarg_size 20
		.amdhsa_user_sgpr_count 2
		.amdhsa_user_sgpr_dispatch_ptr 0
		.amdhsa_user_sgpr_queue_ptr 0
		.amdhsa_user_sgpr_kernarg_segment_ptr 1
		.amdhsa_user_sgpr_dispatch_id 0
		.amdhsa_user_sgpr_private_segment_size 0
		.amdhsa_wavefront_size32 1
		.amdhsa_uses_dynamic_stack 0
		.amdhsa_enable_private_segment 0
		.amdhsa_system_sgpr_workgroup_id_x 1
		.amdhsa_system_sgpr_workgroup_id_y 0
		.amdhsa_system_sgpr_workgroup_id_z 0
		.amdhsa_system_sgpr_workgroup_info 0
		.amdhsa_system_vgpr_workitem_id 0
		.amdhsa_next_free_vgpr 64
		.amdhsa_next_free_sgpr 18
		.amdhsa_reserve_vcc 1
		.amdhsa_float_round_mode_32 0
		.amdhsa_float_round_mode_16_64 0
		.amdhsa_float_denorm_mode_32 3
		.amdhsa_float_denorm_mode_16_64 3
		.amdhsa_fp16_overflow 0
		.amdhsa_workgroup_processor_mode 1
		.amdhsa_memory_ordered 1
		.amdhsa_forward_progress 1
		.amdhsa_inst_pref_size 55
		.amdhsa_round_robin_scheduling 0
		.amdhsa_exception_fp_ieee_invalid_op 0
		.amdhsa_exception_fp_denorm_src 0
		.amdhsa_exception_fp_ieee_div_zero 0
		.amdhsa_exception_fp_ieee_overflow 0
		.amdhsa_exception_fp_ieee_underflow 0
		.amdhsa_exception_fp_ieee_inexact 0
		.amdhsa_exception_int_div_zero 0
	.end_amdhsa_kernel
	.section	.text._Z17sort_pairs_kernelIhLj128ELj3EN10test_utils4lessELj10EEvPKT_PS2_T2_,"axG",@progbits,_Z17sort_pairs_kernelIhLj128ELj3EN10test_utils4lessELj10EEvPKT_PS2_T2_,comdat
.Lfunc_end95:
	.size	_Z17sort_pairs_kernelIhLj128ELj3EN10test_utils4lessELj10EEvPKT_PS2_T2_, .Lfunc_end95-_Z17sort_pairs_kernelIhLj128ELj3EN10test_utils4lessELj10EEvPKT_PS2_T2_
                                        ; -- End function
	.set _Z17sort_pairs_kernelIhLj128ELj3EN10test_utils4lessELj10EEvPKT_PS2_T2_.num_vgpr, 64
	.set _Z17sort_pairs_kernelIhLj128ELj3EN10test_utils4lessELj10EEvPKT_PS2_T2_.num_agpr, 0
	.set _Z17sort_pairs_kernelIhLj128ELj3EN10test_utils4lessELj10EEvPKT_PS2_T2_.numbered_sgpr, 18
	.set _Z17sort_pairs_kernelIhLj128ELj3EN10test_utils4lessELj10EEvPKT_PS2_T2_.num_named_barrier, 0
	.set _Z17sort_pairs_kernelIhLj128ELj3EN10test_utils4lessELj10EEvPKT_PS2_T2_.private_seg_size, 0
	.set _Z17sort_pairs_kernelIhLj128ELj3EN10test_utils4lessELj10EEvPKT_PS2_T2_.uses_vcc, 1
	.set _Z17sort_pairs_kernelIhLj128ELj3EN10test_utils4lessELj10EEvPKT_PS2_T2_.uses_flat_scratch, 0
	.set _Z17sort_pairs_kernelIhLj128ELj3EN10test_utils4lessELj10EEvPKT_PS2_T2_.has_dyn_sized_stack, 0
	.set _Z17sort_pairs_kernelIhLj128ELj3EN10test_utils4lessELj10EEvPKT_PS2_T2_.has_recursion, 0
	.set _Z17sort_pairs_kernelIhLj128ELj3EN10test_utils4lessELj10EEvPKT_PS2_T2_.has_indirect_call, 0
	.section	.AMDGPU.csdata,"",@progbits
; Kernel info:
; codeLenInByte = 6920
; TotalNumSgprs: 20
; NumVgprs: 64
; ScratchSize: 0
; MemoryBound: 0
; FloatMode: 240
; IeeeMode: 1
; LDSByteSize: 385 bytes/workgroup (compile time only)
; SGPRBlocks: 0
; VGPRBlocks: 7
; NumSGPRsForWavesPerEU: 20
; NumVGPRsForWavesPerEU: 64
; Occupancy: 16
; WaveLimiterHint : 1
; COMPUTE_PGM_RSRC2:SCRATCH_EN: 0
; COMPUTE_PGM_RSRC2:USER_SGPR: 2
; COMPUTE_PGM_RSRC2:TRAP_HANDLER: 0
; COMPUTE_PGM_RSRC2:TGID_X_EN: 1
; COMPUTE_PGM_RSRC2:TGID_Y_EN: 0
; COMPUTE_PGM_RSRC2:TGID_Z_EN: 0
; COMPUTE_PGM_RSRC2:TIDIG_COMP_CNT: 0
	.section	.text._Z16sort_keys_kernelIhLj128ELj4EN10test_utils4lessELj10EEvPKT_PS2_T2_,"axG",@progbits,_Z16sort_keys_kernelIhLj128ELj4EN10test_utils4lessELj10EEvPKT_PS2_T2_,comdat
	.protected	_Z16sort_keys_kernelIhLj128ELj4EN10test_utils4lessELj10EEvPKT_PS2_T2_ ; -- Begin function _Z16sort_keys_kernelIhLj128ELj4EN10test_utils4lessELj10EEvPKT_PS2_T2_
	.globl	_Z16sort_keys_kernelIhLj128ELj4EN10test_utils4lessELj10EEvPKT_PS2_T2_
	.p2align	8
	.type	_Z16sort_keys_kernelIhLj128ELj4EN10test_utils4lessELj10EEvPKT_PS2_T2_,@function
_Z16sort_keys_kernelIhLj128ELj4EN10test_utils4lessELj10EEvPKT_PS2_T2_: ; @_Z16sort_keys_kernelIhLj128ELj4EN10test_utils4lessELj10EEvPKT_PS2_T2_
; %bb.0:
	s_load_b128 s[12:15], s[0:1], 0x0
	s_lshl_b32 s16, ttmp9, 9
	s_mov_b32 s17, 0
	v_lshlrev_b32_e32 v1, 2, v0
	s_delay_alu instid0(VALU_DEP_1)
	v_and_b32_e32 v2, 0x1f8, v1
	v_and_b32_e32 v3, 0x1f0, v1
	;; [unrolled: 1-line block ×5, first 2 shown]
	v_or_b32_e32 v10, 4, v2
	v_add_nc_u32_e32 v11, 8, v2
	v_or_b32_e32 v12, 8, v3
	v_add_nc_u32_e32 v13, 16, v3
	v_and_b32_e32 v5, 0x1c0, v1
	v_or_b32_e32 v14, 16, v4
	v_sub_nc_u32_e32 v44, v11, v10
	s_wait_kmcnt 0x0
	s_add_nc_u64 s[0:1], s[12:13], s[16:17]
	v_add_nc_u32_e32 v15, 32, v4
	s_clause 0x3
	global_load_u8 v40, v0, s[0:1] offset:128
	global_load_u8 v41, v0, s[0:1] offset:256
	global_load_u8 v42, v0, s[0:1]
	global_load_u8 v43, v0, s[0:1] offset:384
	v_sub_nc_u32_e32 v28, v10, v2
	v_sub_nc_u32_e32 v45, v13, v12
	;; [unrolled: 1-line block ×3, first 2 shown]
	v_cmp_ge_i32_e64 s0, v34, v44
	v_and_b32_e32 v36, 28, v1
	v_and_b32_e32 v6, 0x180, v1
	v_or_b32_e32 v16, 32, v5
	v_add_nc_u32_e32 v17, 64, v5
	v_add_nc_u32_e32 v22, v10, v34
	v_sub_nc_u32_e32 v29, v12, v3
	v_sub_nc_u32_e32 v46, v15, v14
	v_min_i32_e32 v28, v34, v28
	v_sub_nc_u32_e32 v51, v35, v45
	v_cndmask_b32_e64 v34, 0, v50, s0
	v_cmp_ge_i32_e64 s0, v35, v45
	v_and_b32_e32 v37, 60, v1
	v_and_b32_e32 v7, 0x100, v1
	v_or_b32_e32 v18, 64, v6
	v_add_nc_u32_e32 v19, 0x80, v6
	v_add_nc_u32_e32 v23, v12, v35
	v_sub_nc_u32_e32 v30, v14, v4
	v_sub_nc_u32_e32 v47, v17, v16
	v_min_i32_e32 v29, v35, v29
	v_sub_nc_u32_e32 v52, v36, v46
	s_wait_alu 0xf1ff
	v_cndmask_b32_e64 v35, 0, v51, s0
	v_cmp_ge_i32_e64 s0, v36, v46
	v_and_b32_e32 v38, 0x7c, v1
	v_or_b32_e32 v20, 0x80, v7
	v_add_nc_u32_e32 v21, 0x100, v7
	v_add_nc_u32_e32 v24, v14, v36
	v_sub_nc_u32_e32 v31, v16, v5
	v_sub_nc_u32_e32 v48, v19, v18
	v_min_i32_e32 v30, v36, v30
	v_sub_nc_u32_e32 v53, v37, v47
	s_wait_alu 0xf1ff
	v_cndmask_b32_e64 v36, 0, v52, s0
	v_cmp_ge_i32_e64 s0, v37, v47
	v_and_b32_e32 v39, 0xfc, v1
	v_add_nc_u32_e32 v25, v16, v37
	v_sub_nc_u32_e32 v32, v18, v6
	v_sub_nc_u32_e32 v49, v21, v20
	v_min_i32_e32 v31, v37, v31
	v_sub_nc_u32_e32 v54, v38, v48
	s_wait_alu 0xf1ff
	v_cndmask_b32_e64 v37, 0, v53, s0
	v_cmp_ge_i32_e64 s0, v38, v48
	v_add_nc_u32_e32 v26, v18, v38
	v_sub_nc_u32_e32 v33, v20, v7
	v_min_i32_e32 v32, v38, v32
	v_sub_nc_u32_e32 v55, v39, v49
	s_wait_alu 0xf1ff
	v_cndmask_b32_e64 v38, 0, v54, s0
	v_cmp_ge_i32_e64 s0, v39, v49
	v_add_nc_u32_e32 v27, v20, v39
	v_min_i32_e32 v33, v39, v33
	v_subrev_nc_u32_e64 v8, 0x100, v1 clamp
	v_min_i32_e32 v9, 0x100, v1
	s_wait_alu 0xf1ff
	v_cndmask_b32_e64 v39, 0, v55, s0
	v_cmp_lt_i32_e64 s0, v34, v28
	v_cmp_lt_i32_e64 s1, v35, v29
	;; [unrolled: 1-line block ×6, first 2 shown]
	s_mov_b32 s12, s17
	v_cmp_lt_i32_e32 vcc_lo, v8, v9
	s_wait_loadcnt 0x1
	v_perm_b32 v40, v42, v40, 0xc0c0004
	s_wait_loadcnt 0x0
	v_perm_b32 v41, v41, v43, 0xc0c0004
	s_delay_alu instid0(VALU_DEP_1)
	v_lshl_or_b32 v45, v41, 16, v40
	v_add_nc_u32_e32 v40, 0x100, v1
	s_branch .LBB96_2
.LBB96_1:                               ;   in Loop: Header=BB96_2 Depth=1
	s_or_b32 exec_lo, exec_lo, s9
	s_wait_dscnt 0x0
	v_and_b32_e32 v50, 0xff, v48
	v_and_b32_e32 v52, 0xff, v51
	v_cmp_le_i32_e64 s9, 0x100, v49
	v_cmp_gt_i32_e64 s11, 0x200, v47
	v_cndmask_b32_e64 v41, v41, v42, s6
	v_cndmask_b32_e64 v42, v43, v44, s7
	v_cmp_lt_u16_e64 s10, v52, v50
	v_cndmask_b32_e64 v43, v45, v46, s8
	s_add_co_i32 s12, s12, 1
	v_and_b32_e32 v46, 0xff, v41
	v_lshlrev_b16 v45, 8, v42
	s_or_b32 s6, s9, s10
	v_and_b32_e32 v47, 0xff, v43
	s_wait_alu 0xfffe
	s_and_b32 s6, s11, s6
	s_cmp_eq_u32 s12, 10
	s_wait_alu 0xfffe
	v_cndmask_b32_e64 v44, v48, v51, s6
	v_or_b32_e32 v45, v46, v45
	s_delay_alu instid0(VALU_DEP_2) | instskip(NEXT) | instid1(VALU_DEP_2)
	v_lshlrev_b16 v48, 8, v44
	v_and_b32_e32 v45, 0xffff, v45
	s_delay_alu instid0(VALU_DEP_2) | instskip(NEXT) | instid1(VALU_DEP_1)
	v_or_b32_e32 v46, v47, v48
	v_lshlrev_b32_e32 v46, 16, v46
	s_delay_alu instid0(VALU_DEP_1)
	v_or_b32_e32 v45, v45, v46
	s_cbranch_scc1 .LBB96_114
.LBB96_2:                               ; =>This Loop Header: Depth=1
                                        ;     Child Loop BB96_4 Depth 2
                                        ;     Child Loop BB96_20 Depth 2
	;; [unrolled: 1-line block ×7, first 2 shown]
	s_delay_alu instid0(VALU_DEP_1) | instskip(SKIP_3) | instid1(VALU_DEP_3)
	v_lshrrev_b32_e32 v41, 8, v45
	v_and_b32_e32 v42, 0xff, v45
	v_perm_b32 v43, v45, v45, 0x7060405
	s_barrier_signal -1
	v_and_b32_e32 v41, 0xff, v41
	s_barrier_wait -1
	global_inv scope:SCOPE_SE
	v_cmp_lt_u16_e64 s6, v41, v42
	v_max_u16 v48, v41, v42
	v_min_u16 v41, v41, v42
	s_wait_alu 0xf1ff
	s_delay_alu instid0(VALU_DEP_3) | instskip(NEXT) | instid1(VALU_DEP_1)
	v_cndmask_b32_e64 v43, v45, v43, s6
	v_lshrrev_b32_e32 v44, 16, v43
	v_lshrrev_b32_e32 v46, 24, v43
	s_delay_alu instid0(VALU_DEP_2) | instskip(SKIP_1) | instid1(VALU_DEP_2)
	v_perm_b32 v45, 0, v44, 0xc0c0001
	v_and_b32_e32 v44, 0xff, v44
	v_lshlrev_b32_e32 v45, 16, v45
	s_delay_alu instid0(VALU_DEP_2) | instskip(NEXT) | instid1(VALU_DEP_2)
	v_cmp_lt_u16_e64 s6, v46, v44
	v_and_or_b32 v45, 0xffff, v43, v45
	s_wait_alu 0xf1ff
	s_delay_alu instid0(VALU_DEP_1) | instskip(SKIP_2) | instid1(VALU_DEP_3)
	v_cndmask_b32_e64 v43, v43, v45, s6
	v_min_u16 v45, v46, v44
	v_max_u16 v44, v46, v44
	v_lshrrev_b32_e32 v47, 16, v43
	s_delay_alu instid0(VALU_DEP_3)
	v_lshlrev_b16 v49, 8, v45
	v_and_b32_e32 v50, 0xff, v43
	v_max_u16 v51, v45, v48
	v_cmp_lt_u16_e64 s6, v45, v48
	v_and_b32_e32 v47, 0xffffff00, v47
	v_cmp_gt_u16_e64 s7, v48, v44
	v_or_b32_e32 v42, v50, v49
	v_lshlrev_b16 v49, 8, v41
	v_min_u16 v50, v45, v48
	v_or_b32_e32 v47, v48, v47
	v_lshlrev_b16 v46, 8, v51
	v_and_b32_e32 v42, 0xffff, v42
	s_delay_alu instid0(VALU_DEP_4) | instskip(NEXT) | instid1(VALU_DEP_4)
	v_or_b32_e32 v49, v50, v49
	v_lshlrev_b32_e32 v47, 16, v47
	s_delay_alu instid0(VALU_DEP_1) | instskip(NEXT) | instid1(VALU_DEP_3)
	v_or_b32_e32 v42, v42, v47
	v_and_b32_e32 v47, 0xffff, v49
	s_wait_alu 0xf1ff
	s_delay_alu instid0(VALU_DEP_2) | instskip(SKIP_2) | instid1(VALU_DEP_3)
	v_cndmask_b32_e64 v42, v43, v42, s6
	v_or_b32_e32 v43, v44, v46
	v_cmp_lt_u16_e64 s6, v45, v41
	v_and_or_b32 v46, 0xffff0000, v42, v47
	s_delay_alu instid0(VALU_DEP_3) | instskip(SKIP_1) | instid1(VALU_DEP_3)
	v_lshlrev_b32_e32 v43, 16, v43
	s_wait_alu 0xf1ff
	v_cndmask_b32_e64 v41, v50, v41, s6
	s_delay_alu instid0(VALU_DEP_3) | instskip(NEXT) | instid1(VALU_DEP_1)
	v_cndmask_b32_e64 v42, v42, v46, s6
	v_and_or_b32 v43, 0xffff, v42, v43
	s_delay_alu instid0(VALU_DEP_1) | instskip(SKIP_1) | instid1(VALU_DEP_2)
	v_cndmask_b32_e64 v42, v42, v43, s7
	v_cndmask_b32_e64 v43, v51, v44, s7
	v_lshrrev_b32_e32 v44, 16, v42
	v_and_b32_e32 v45, 0xff, v42
	s_delay_alu instid0(VALU_DEP_3) | instskip(SKIP_1) | instid1(VALU_DEP_4)
	v_lshlrev_b16 v46, 8, v43
	v_cmp_lt_u16_e64 s6, v43, v41
	v_and_b32_e32 v44, 0xffffff00, v44
	s_delay_alu instid0(VALU_DEP_3) | instskip(NEXT) | instid1(VALU_DEP_2)
	v_or_b32_e32 v45, v45, v46
	v_or_b32_e32 v44, v41, v44
	v_mov_b32_e32 v41, v34
	s_delay_alu instid0(VALU_DEP_3) | instskip(NEXT) | instid1(VALU_DEP_3)
	v_and_b32_e32 v45, 0xffff, v45
	v_lshlrev_b32_e32 v44, 16, v44
	s_delay_alu instid0(VALU_DEP_1) | instskip(SKIP_1) | instid1(VALU_DEP_1)
	v_or_b32_e32 v44, v45, v44
	s_wait_alu 0xf1ff
	v_cndmask_b32_e64 v42, v42, v44, s6
	ds_store_b32 v1, v42
	s_wait_loadcnt_dscnt 0x0
	s_barrier_signal -1
	s_barrier_wait -1
	global_inv scope:SCOPE_SE
	s_and_saveexec_b32 s7, s0
	s_cbranch_execz .LBB96_6
; %bb.3:                                ;   in Loop: Header=BB96_2 Depth=1
	v_dual_mov_b32 v41, v34 :: v_dual_mov_b32 v42, v28
	s_mov_b32 s8, 0
.LBB96_4:                               ;   Parent Loop BB96_2 Depth=1
                                        ; =>  This Inner Loop Header: Depth=2
	s_delay_alu instid0(VALU_DEP_1) | instskip(NEXT) | instid1(VALU_DEP_1)
	v_sub_nc_u32_e32 v43, v42, v41
	v_lshrrev_b32_e32 v43, 1, v43
	s_delay_alu instid0(VALU_DEP_1) | instskip(NEXT) | instid1(VALU_DEP_1)
	v_add_nc_u32_e32 v43, v43, v41
	v_add_nc_u32_e32 v44, v2, v43
	v_xad_u32 v45, v43, -1, v22
	v_add_nc_u32_e32 v46, 1, v43
	ds_load_u8 v44, v44
	ds_load_u8 v45, v45
	s_wait_dscnt 0x0
	v_cmp_lt_u16_e64 s6, v45, v44
	s_wait_alu 0xf1ff
	s_delay_alu instid0(VALU_DEP_1) | instskip(SKIP_1) | instid1(VALU_DEP_1)
	v_cndmask_b32_e64 v42, v42, v43, s6
	v_cndmask_b32_e64 v41, v46, v41, s6
	v_cmp_ge_i32_e64 s6, v41, v42
	s_wait_alu 0xfffe
	s_or_b32 s8, s6, s8
	s_wait_alu 0xfffe
	s_and_not1_b32 exec_lo, exec_lo, s8
	s_cbranch_execnz .LBB96_4
; %bb.5:                                ;   in Loop: Header=BB96_2 Depth=1
	s_or_b32 exec_lo, exec_lo, s8
.LBB96_6:                               ;   in Loop: Header=BB96_2 Depth=1
	s_wait_alu 0xfffe
	s_or_b32 exec_lo, exec_lo, s7
	v_add_nc_u32_e32 v46, v41, v2
	v_sub_nc_u32_e32 v45, v22, v41
	ds_load_u8 v41, v46
	ds_load_u8 v42, v45
	v_cmp_le_i32_e64 s6, v10, v46
	v_cmp_gt_i32_e64 s8, v11, v45
	s_wait_dscnt 0x1
	v_and_b32_e32 v43, 0xff, v41
	s_wait_dscnt 0x0
	v_and_b32_e32 v44, 0xff, v42
	s_delay_alu instid0(VALU_DEP_1)
	v_cmp_lt_u16_e64 s7, v44, v43
                                        ; implicit-def: $vgpr43
	s_or_b32 s6, s6, s7
	s_wait_alu 0xfffe
	s_and_b32 s6, s8, s6
	s_wait_alu 0xfffe
	s_xor_b32 s7, s6, -1
	s_wait_alu 0xfffe
	s_and_saveexec_b32 s8, s7
	s_wait_alu 0xfffe
	s_xor_b32 s7, exec_lo, s8
; %bb.7:                                ;   in Loop: Header=BB96_2 Depth=1
	ds_load_u8 v43, v46 offset:1
; %bb.8:                                ;   in Loop: Header=BB96_2 Depth=1
	s_wait_alu 0xfffe
	s_or_saveexec_b32 s7, s7
	v_mov_b32_e32 v44, v42
	s_wait_alu 0xfffe
	s_xor_b32 exec_lo, exec_lo, s7
	s_cbranch_execz .LBB96_10
; %bb.9:                                ;   in Loop: Header=BB96_2 Depth=1
	ds_load_u8 v44, v45 offset:1
	s_wait_dscnt 0x1
	v_mov_b32_e32 v43, v41
.LBB96_10:                              ;   in Loop: Header=BB96_2 Depth=1
	s_or_b32 exec_lo, exec_lo, s7
	v_add_nc_u32_e32 v47, 1, v46
	v_add_nc_u32_e32 v49, 1, v45
	s_wait_dscnt 0x0
	v_and_b32_e32 v50, 0xff, v43
	s_delay_alu instid0(VALU_DEP_3) | instskip(SKIP_2) | instid1(VALU_DEP_3)
	v_cndmask_b32_e64 v48, v47, v46, s6
	v_and_b32_e32 v46, 0xff, v44
	v_cndmask_b32_e64 v47, v45, v49, s6
                                        ; implicit-def: $vgpr45
	v_cmp_ge_i32_e64 s7, v48, v10
	s_delay_alu instid0(VALU_DEP_3) | instskip(NEXT) | instid1(VALU_DEP_3)
	v_cmp_lt_u16_e64 s8, v46, v50
	v_cmp_lt_i32_e64 s9, v47, v11
	s_or_b32 s7, s7, s8
	s_wait_alu 0xfffe
	s_and_b32 s7, s9, s7
	s_wait_alu 0xfffe
	s_xor_b32 s8, s7, -1
	s_wait_alu 0xfffe
	s_and_saveexec_b32 s9, s8
	s_wait_alu 0xfffe
	s_xor_b32 s8, exec_lo, s9
; %bb.11:                               ;   in Loop: Header=BB96_2 Depth=1
	ds_load_u8 v45, v48 offset:1
; %bb.12:                               ;   in Loop: Header=BB96_2 Depth=1
	s_wait_alu 0xfffe
	s_or_saveexec_b32 s8, s8
	v_mov_b32_e32 v46, v44
	s_wait_alu 0xfffe
	s_xor_b32 exec_lo, exec_lo, s8
	s_cbranch_execz .LBB96_14
; %bb.13:                               ;   in Loop: Header=BB96_2 Depth=1
	ds_load_u8 v46, v47 offset:1
	s_wait_dscnt 0x1
	v_mov_b32_e32 v45, v43
.LBB96_14:                              ;   in Loop: Header=BB96_2 Depth=1
	s_or_b32 exec_lo, exec_lo, s8
	v_add_nc_u32_e32 v49, 1, v48
	v_add_nc_u32_e32 v50, 1, v47
	s_wait_dscnt 0x0
	v_and_b32_e32 v51, 0xff, v45
	v_and_b32_e32 v52, 0xff, v46
	v_cndmask_b32_e64 v49, v49, v48, s7
	v_cndmask_b32_e64 v48, v47, v50, s7
                                        ; implicit-def: $vgpr47
	s_delay_alu instid0(VALU_DEP_3) | instskip(NEXT) | instid1(VALU_DEP_3)
	v_cmp_lt_u16_e64 s9, v52, v51
	v_cmp_ge_i32_e64 s8, v49, v10
	s_delay_alu instid0(VALU_DEP_3)
	v_cmp_lt_i32_e64 s10, v48, v11
	s_or_b32 s8, s8, s9
	s_wait_alu 0xfffe
	s_and_b32 s8, s10, s8
	s_wait_alu 0xfffe
	s_xor_b32 s9, s8, -1
	s_wait_alu 0xfffe
	s_and_saveexec_b32 s10, s9
	s_delay_alu instid0(SALU_CYCLE_1)
	s_xor_b32 s9, exec_lo, s10
; %bb.15:                               ;   in Loop: Header=BB96_2 Depth=1
	ds_load_u8 v47, v49 offset:1
; %bb.16:                               ;   in Loop: Header=BB96_2 Depth=1
	s_wait_alu 0xfffe
	s_or_saveexec_b32 s9, s9
	v_mov_b32_e32 v50, v46
	s_wait_alu 0xfffe
	s_xor_b32 exec_lo, exec_lo, s9
	s_cbranch_execz .LBB96_18
; %bb.17:                               ;   in Loop: Header=BB96_2 Depth=1
	ds_load_u8 v50, v48 offset:1
	s_wait_dscnt 0x1
	v_mov_b32_e32 v47, v45
.LBB96_18:                              ;   in Loop: Header=BB96_2 Depth=1
	s_or_b32 exec_lo, exec_lo, s9
	v_add_nc_u32_e32 v51, 1, v49
	v_add_nc_u32_e32 v52, 1, v48
	s_wait_dscnt 0x0
	v_and_b32_e32 v53, 0xff, v47
	v_and_b32_e32 v54, 0xff, v50
	v_cndmask_b32_e64 v45, v45, v46, s8
	v_cndmask_b32_e64 v49, v51, v49, s8
	;; [unrolled: 1-line block ×4, first 2 shown]
	v_cmp_lt_u16_e64 s7, v54, v53
	v_cndmask_b32_e64 v41, v41, v42, s6
	v_cmp_ge_i32_e64 s8, v49, v10
	v_cmp_lt_i32_e64 s6, v46, v11
	s_wait_loadcnt 0x0
	s_barrier_signal -1
	s_barrier_wait -1
	s_or_b32 s7, s8, s7
	global_inv scope:SCOPE_SE
	s_wait_alu 0xfffe
	s_and_b32 s6, s6, s7
	s_wait_alu 0xfffe
	v_cndmask_b32_e64 v42, v47, v50, s6
	ds_store_b8 v1, v41
	ds_store_b8 v1, v43 offset:1
	ds_store_b8 v1, v45 offset:2
	;; [unrolled: 1-line block ×3, first 2 shown]
	v_mov_b32_e32 v41, v35
	s_wait_loadcnt_dscnt 0x0
	s_barrier_signal -1
	s_barrier_wait -1
	global_inv scope:SCOPE_SE
	s_and_saveexec_b32 s7, s1
	s_cbranch_execz .LBB96_22
; %bb.19:                               ;   in Loop: Header=BB96_2 Depth=1
	v_dual_mov_b32 v41, v35 :: v_dual_mov_b32 v42, v29
	s_mov_b32 s8, 0
.LBB96_20:                              ;   Parent Loop BB96_2 Depth=1
                                        ; =>  This Inner Loop Header: Depth=2
	s_delay_alu instid0(VALU_DEP_1) | instskip(NEXT) | instid1(VALU_DEP_1)
	v_sub_nc_u32_e32 v43, v42, v41
	v_lshrrev_b32_e32 v43, 1, v43
	s_delay_alu instid0(VALU_DEP_1) | instskip(NEXT) | instid1(VALU_DEP_1)
	v_add_nc_u32_e32 v43, v43, v41
	v_add_nc_u32_e32 v44, v3, v43
	v_xad_u32 v45, v43, -1, v23
	v_add_nc_u32_e32 v46, 1, v43
	ds_load_u8 v44, v44
	ds_load_u8 v45, v45
	s_wait_dscnt 0x0
	v_cmp_lt_u16_e64 s6, v45, v44
	s_wait_alu 0xf1ff
	s_delay_alu instid0(VALU_DEP_1) | instskip(SKIP_1) | instid1(VALU_DEP_1)
	v_cndmask_b32_e64 v42, v42, v43, s6
	v_cndmask_b32_e64 v41, v46, v41, s6
	v_cmp_ge_i32_e64 s6, v41, v42
	s_wait_alu 0xfffe
	s_or_b32 s8, s6, s8
	s_wait_alu 0xfffe
	s_and_not1_b32 exec_lo, exec_lo, s8
	s_cbranch_execnz .LBB96_20
; %bb.21:                               ;   in Loop: Header=BB96_2 Depth=1
	s_or_b32 exec_lo, exec_lo, s8
.LBB96_22:                              ;   in Loop: Header=BB96_2 Depth=1
	s_wait_alu 0xfffe
	s_or_b32 exec_lo, exec_lo, s7
	v_add_nc_u32_e32 v46, v41, v3
	v_sub_nc_u32_e32 v45, v23, v41
	ds_load_u8 v41, v46
	ds_load_u8 v42, v45
	v_cmp_le_i32_e64 s6, v12, v46
	v_cmp_gt_i32_e64 s8, v13, v45
	s_wait_dscnt 0x1
	v_and_b32_e32 v43, 0xff, v41
	s_wait_dscnt 0x0
	v_and_b32_e32 v44, 0xff, v42
	s_delay_alu instid0(VALU_DEP_1)
	v_cmp_lt_u16_e64 s7, v44, v43
                                        ; implicit-def: $vgpr43
	s_or_b32 s6, s6, s7
	s_wait_alu 0xfffe
	s_and_b32 s6, s8, s6
	s_wait_alu 0xfffe
	s_xor_b32 s7, s6, -1
	s_wait_alu 0xfffe
	s_and_saveexec_b32 s8, s7
	s_wait_alu 0xfffe
	s_xor_b32 s7, exec_lo, s8
; %bb.23:                               ;   in Loop: Header=BB96_2 Depth=1
	ds_load_u8 v43, v46 offset:1
; %bb.24:                               ;   in Loop: Header=BB96_2 Depth=1
	s_wait_alu 0xfffe
	s_or_saveexec_b32 s7, s7
	v_mov_b32_e32 v44, v42
	s_wait_alu 0xfffe
	s_xor_b32 exec_lo, exec_lo, s7
	s_cbranch_execz .LBB96_26
; %bb.25:                               ;   in Loop: Header=BB96_2 Depth=1
	ds_load_u8 v44, v45 offset:1
	s_wait_dscnt 0x1
	v_mov_b32_e32 v43, v41
.LBB96_26:                              ;   in Loop: Header=BB96_2 Depth=1
	s_or_b32 exec_lo, exec_lo, s7
	v_add_nc_u32_e32 v47, 1, v46
	v_add_nc_u32_e32 v49, 1, v45
	s_wait_dscnt 0x0
	v_and_b32_e32 v50, 0xff, v43
	s_delay_alu instid0(VALU_DEP_3) | instskip(SKIP_2) | instid1(VALU_DEP_3)
	v_cndmask_b32_e64 v48, v47, v46, s6
	v_and_b32_e32 v46, 0xff, v44
	v_cndmask_b32_e64 v47, v45, v49, s6
                                        ; implicit-def: $vgpr45
	v_cmp_ge_i32_e64 s7, v48, v12
	s_delay_alu instid0(VALU_DEP_3) | instskip(NEXT) | instid1(VALU_DEP_3)
	v_cmp_lt_u16_e64 s8, v46, v50
	v_cmp_lt_i32_e64 s9, v47, v13
	s_or_b32 s7, s7, s8
	s_wait_alu 0xfffe
	s_and_b32 s7, s9, s7
	s_wait_alu 0xfffe
	s_xor_b32 s8, s7, -1
	s_wait_alu 0xfffe
	s_and_saveexec_b32 s9, s8
	s_wait_alu 0xfffe
	s_xor_b32 s8, exec_lo, s9
; %bb.27:                               ;   in Loop: Header=BB96_2 Depth=1
	ds_load_u8 v45, v48 offset:1
; %bb.28:                               ;   in Loop: Header=BB96_2 Depth=1
	s_wait_alu 0xfffe
	s_or_saveexec_b32 s8, s8
	v_mov_b32_e32 v46, v44
	s_wait_alu 0xfffe
	s_xor_b32 exec_lo, exec_lo, s8
	s_cbranch_execz .LBB96_30
; %bb.29:                               ;   in Loop: Header=BB96_2 Depth=1
	ds_load_u8 v46, v47 offset:1
	s_wait_dscnt 0x1
	v_mov_b32_e32 v45, v43
.LBB96_30:                              ;   in Loop: Header=BB96_2 Depth=1
	s_or_b32 exec_lo, exec_lo, s8
	v_add_nc_u32_e32 v49, 1, v48
	v_add_nc_u32_e32 v50, 1, v47
	s_wait_dscnt 0x0
	v_and_b32_e32 v51, 0xff, v45
	v_and_b32_e32 v52, 0xff, v46
	v_cndmask_b32_e64 v49, v49, v48, s7
	v_cndmask_b32_e64 v48, v47, v50, s7
                                        ; implicit-def: $vgpr47
	s_delay_alu instid0(VALU_DEP_3) | instskip(NEXT) | instid1(VALU_DEP_3)
	v_cmp_lt_u16_e64 s9, v52, v51
	v_cmp_ge_i32_e64 s8, v49, v12
	s_delay_alu instid0(VALU_DEP_3)
	v_cmp_lt_i32_e64 s10, v48, v13
	s_or_b32 s8, s8, s9
	s_wait_alu 0xfffe
	s_and_b32 s8, s10, s8
	s_wait_alu 0xfffe
	s_xor_b32 s9, s8, -1
	s_wait_alu 0xfffe
	s_and_saveexec_b32 s10, s9
	s_delay_alu instid0(SALU_CYCLE_1)
	s_xor_b32 s9, exec_lo, s10
; %bb.31:                               ;   in Loop: Header=BB96_2 Depth=1
	ds_load_u8 v47, v49 offset:1
; %bb.32:                               ;   in Loop: Header=BB96_2 Depth=1
	s_wait_alu 0xfffe
	s_or_saveexec_b32 s9, s9
	v_mov_b32_e32 v50, v46
	s_wait_alu 0xfffe
	s_xor_b32 exec_lo, exec_lo, s9
	s_cbranch_execz .LBB96_34
; %bb.33:                               ;   in Loop: Header=BB96_2 Depth=1
	ds_load_u8 v50, v48 offset:1
	s_wait_dscnt 0x1
	v_mov_b32_e32 v47, v45
.LBB96_34:                              ;   in Loop: Header=BB96_2 Depth=1
	s_or_b32 exec_lo, exec_lo, s9
	v_add_nc_u32_e32 v51, 1, v49
	v_add_nc_u32_e32 v52, 1, v48
	s_wait_dscnt 0x0
	v_and_b32_e32 v53, 0xff, v47
	v_and_b32_e32 v54, 0xff, v50
	v_cndmask_b32_e64 v45, v45, v46, s8
	v_cndmask_b32_e64 v49, v51, v49, s8
	;; [unrolled: 1-line block ×4, first 2 shown]
	v_cmp_lt_u16_e64 s7, v54, v53
	v_cndmask_b32_e64 v41, v41, v42, s6
	v_cmp_ge_i32_e64 s8, v49, v12
	v_cmp_lt_i32_e64 s6, v46, v13
	s_wait_loadcnt 0x0
	s_barrier_signal -1
	s_barrier_wait -1
	s_or_b32 s7, s8, s7
	global_inv scope:SCOPE_SE
	s_wait_alu 0xfffe
	s_and_b32 s6, s6, s7
	s_wait_alu 0xfffe
	v_cndmask_b32_e64 v42, v47, v50, s6
	ds_store_b8 v1, v41
	ds_store_b8 v1, v43 offset:1
	ds_store_b8 v1, v45 offset:2
	;; [unrolled: 1-line block ×3, first 2 shown]
	v_mov_b32_e32 v41, v36
	s_wait_loadcnt_dscnt 0x0
	s_barrier_signal -1
	s_barrier_wait -1
	global_inv scope:SCOPE_SE
	s_and_saveexec_b32 s7, s2
	s_cbranch_execz .LBB96_38
; %bb.35:                               ;   in Loop: Header=BB96_2 Depth=1
	v_dual_mov_b32 v41, v36 :: v_dual_mov_b32 v42, v30
	s_mov_b32 s8, 0
.LBB96_36:                              ;   Parent Loop BB96_2 Depth=1
                                        ; =>  This Inner Loop Header: Depth=2
	s_delay_alu instid0(VALU_DEP_1) | instskip(NEXT) | instid1(VALU_DEP_1)
	v_sub_nc_u32_e32 v43, v42, v41
	v_lshrrev_b32_e32 v43, 1, v43
	s_delay_alu instid0(VALU_DEP_1) | instskip(NEXT) | instid1(VALU_DEP_1)
	v_add_nc_u32_e32 v43, v43, v41
	v_add_nc_u32_e32 v44, v4, v43
	v_xad_u32 v45, v43, -1, v24
	v_add_nc_u32_e32 v46, 1, v43
	ds_load_u8 v44, v44
	ds_load_u8 v45, v45
	s_wait_dscnt 0x0
	v_cmp_lt_u16_e64 s6, v45, v44
	s_wait_alu 0xf1ff
	s_delay_alu instid0(VALU_DEP_1) | instskip(SKIP_1) | instid1(VALU_DEP_1)
	v_cndmask_b32_e64 v42, v42, v43, s6
	v_cndmask_b32_e64 v41, v46, v41, s6
	v_cmp_ge_i32_e64 s6, v41, v42
	s_wait_alu 0xfffe
	s_or_b32 s8, s6, s8
	s_wait_alu 0xfffe
	s_and_not1_b32 exec_lo, exec_lo, s8
	s_cbranch_execnz .LBB96_36
; %bb.37:                               ;   in Loop: Header=BB96_2 Depth=1
	s_or_b32 exec_lo, exec_lo, s8
.LBB96_38:                              ;   in Loop: Header=BB96_2 Depth=1
	s_wait_alu 0xfffe
	s_or_b32 exec_lo, exec_lo, s7
	v_add_nc_u32_e32 v46, v41, v4
	v_sub_nc_u32_e32 v45, v24, v41
	ds_load_u8 v41, v46
	ds_load_u8 v42, v45
	v_cmp_le_i32_e64 s6, v14, v46
	v_cmp_gt_i32_e64 s8, v15, v45
	s_wait_dscnt 0x1
	v_and_b32_e32 v43, 0xff, v41
	s_wait_dscnt 0x0
	v_and_b32_e32 v44, 0xff, v42
	s_delay_alu instid0(VALU_DEP_1)
	v_cmp_lt_u16_e64 s7, v44, v43
                                        ; implicit-def: $vgpr43
	s_or_b32 s6, s6, s7
	s_wait_alu 0xfffe
	s_and_b32 s6, s8, s6
	s_wait_alu 0xfffe
	s_xor_b32 s7, s6, -1
	s_wait_alu 0xfffe
	s_and_saveexec_b32 s8, s7
	s_wait_alu 0xfffe
	s_xor_b32 s7, exec_lo, s8
; %bb.39:                               ;   in Loop: Header=BB96_2 Depth=1
	ds_load_u8 v43, v46 offset:1
; %bb.40:                               ;   in Loop: Header=BB96_2 Depth=1
	s_wait_alu 0xfffe
	s_or_saveexec_b32 s7, s7
	v_mov_b32_e32 v44, v42
	s_wait_alu 0xfffe
	s_xor_b32 exec_lo, exec_lo, s7
	s_cbranch_execz .LBB96_42
; %bb.41:                               ;   in Loop: Header=BB96_2 Depth=1
	ds_load_u8 v44, v45 offset:1
	s_wait_dscnt 0x1
	v_mov_b32_e32 v43, v41
.LBB96_42:                              ;   in Loop: Header=BB96_2 Depth=1
	s_or_b32 exec_lo, exec_lo, s7
	v_add_nc_u32_e32 v47, 1, v46
	v_add_nc_u32_e32 v49, 1, v45
	s_wait_dscnt 0x0
	v_and_b32_e32 v50, 0xff, v43
	s_delay_alu instid0(VALU_DEP_3) | instskip(SKIP_2) | instid1(VALU_DEP_3)
	v_cndmask_b32_e64 v48, v47, v46, s6
	v_and_b32_e32 v46, 0xff, v44
	v_cndmask_b32_e64 v47, v45, v49, s6
                                        ; implicit-def: $vgpr45
	v_cmp_ge_i32_e64 s7, v48, v14
	s_delay_alu instid0(VALU_DEP_3) | instskip(NEXT) | instid1(VALU_DEP_3)
	v_cmp_lt_u16_e64 s8, v46, v50
	v_cmp_lt_i32_e64 s9, v47, v15
	s_or_b32 s7, s7, s8
	s_wait_alu 0xfffe
	s_and_b32 s7, s9, s7
	s_wait_alu 0xfffe
	s_xor_b32 s8, s7, -1
	s_wait_alu 0xfffe
	s_and_saveexec_b32 s9, s8
	s_wait_alu 0xfffe
	s_xor_b32 s8, exec_lo, s9
; %bb.43:                               ;   in Loop: Header=BB96_2 Depth=1
	ds_load_u8 v45, v48 offset:1
; %bb.44:                               ;   in Loop: Header=BB96_2 Depth=1
	s_wait_alu 0xfffe
	s_or_saveexec_b32 s8, s8
	v_mov_b32_e32 v46, v44
	s_wait_alu 0xfffe
	s_xor_b32 exec_lo, exec_lo, s8
	s_cbranch_execz .LBB96_46
; %bb.45:                               ;   in Loop: Header=BB96_2 Depth=1
	ds_load_u8 v46, v47 offset:1
	s_wait_dscnt 0x1
	v_mov_b32_e32 v45, v43
.LBB96_46:                              ;   in Loop: Header=BB96_2 Depth=1
	s_or_b32 exec_lo, exec_lo, s8
	v_add_nc_u32_e32 v49, 1, v48
	v_add_nc_u32_e32 v50, 1, v47
	s_wait_dscnt 0x0
	v_and_b32_e32 v51, 0xff, v45
	v_and_b32_e32 v52, 0xff, v46
	v_cndmask_b32_e64 v49, v49, v48, s7
	v_cndmask_b32_e64 v48, v47, v50, s7
                                        ; implicit-def: $vgpr47
	s_delay_alu instid0(VALU_DEP_3) | instskip(NEXT) | instid1(VALU_DEP_3)
	v_cmp_lt_u16_e64 s9, v52, v51
	v_cmp_ge_i32_e64 s8, v49, v14
	s_delay_alu instid0(VALU_DEP_3)
	v_cmp_lt_i32_e64 s10, v48, v15
	s_or_b32 s8, s8, s9
	s_wait_alu 0xfffe
	s_and_b32 s8, s10, s8
	s_wait_alu 0xfffe
	s_xor_b32 s9, s8, -1
	s_wait_alu 0xfffe
	s_and_saveexec_b32 s10, s9
	s_delay_alu instid0(SALU_CYCLE_1)
	s_xor_b32 s9, exec_lo, s10
; %bb.47:                               ;   in Loop: Header=BB96_2 Depth=1
	ds_load_u8 v47, v49 offset:1
; %bb.48:                               ;   in Loop: Header=BB96_2 Depth=1
	s_wait_alu 0xfffe
	s_or_saveexec_b32 s9, s9
	v_mov_b32_e32 v50, v46
	s_wait_alu 0xfffe
	s_xor_b32 exec_lo, exec_lo, s9
	s_cbranch_execz .LBB96_50
; %bb.49:                               ;   in Loop: Header=BB96_2 Depth=1
	ds_load_u8 v50, v48 offset:1
	s_wait_dscnt 0x1
	v_mov_b32_e32 v47, v45
.LBB96_50:                              ;   in Loop: Header=BB96_2 Depth=1
	s_or_b32 exec_lo, exec_lo, s9
	v_add_nc_u32_e32 v51, 1, v49
	v_add_nc_u32_e32 v52, 1, v48
	s_wait_dscnt 0x0
	v_and_b32_e32 v53, 0xff, v47
	v_and_b32_e32 v54, 0xff, v50
	v_cndmask_b32_e64 v45, v45, v46, s8
	v_cndmask_b32_e64 v49, v51, v49, s8
	;; [unrolled: 1-line block ×4, first 2 shown]
	v_cmp_lt_u16_e64 s7, v54, v53
	v_cndmask_b32_e64 v41, v41, v42, s6
	v_cmp_ge_i32_e64 s8, v49, v14
	v_cmp_lt_i32_e64 s6, v46, v15
	s_wait_loadcnt 0x0
	s_barrier_signal -1
	s_barrier_wait -1
	s_or_b32 s7, s8, s7
	global_inv scope:SCOPE_SE
	s_wait_alu 0xfffe
	s_and_b32 s6, s6, s7
	s_wait_alu 0xfffe
	v_cndmask_b32_e64 v42, v47, v50, s6
	ds_store_b8 v1, v41
	ds_store_b8 v1, v43 offset:1
	ds_store_b8 v1, v45 offset:2
	;; [unrolled: 1-line block ×3, first 2 shown]
	v_mov_b32_e32 v41, v37
	s_wait_loadcnt_dscnt 0x0
	s_barrier_signal -1
	s_barrier_wait -1
	global_inv scope:SCOPE_SE
	s_and_saveexec_b32 s7, s3
	s_cbranch_execz .LBB96_54
; %bb.51:                               ;   in Loop: Header=BB96_2 Depth=1
	v_dual_mov_b32 v41, v37 :: v_dual_mov_b32 v42, v31
	s_mov_b32 s8, 0
.LBB96_52:                              ;   Parent Loop BB96_2 Depth=1
                                        ; =>  This Inner Loop Header: Depth=2
	s_delay_alu instid0(VALU_DEP_1) | instskip(NEXT) | instid1(VALU_DEP_1)
	v_sub_nc_u32_e32 v43, v42, v41
	v_lshrrev_b32_e32 v43, 1, v43
	s_delay_alu instid0(VALU_DEP_1) | instskip(NEXT) | instid1(VALU_DEP_1)
	v_add_nc_u32_e32 v43, v43, v41
	v_add_nc_u32_e32 v44, v5, v43
	v_xad_u32 v45, v43, -1, v25
	v_add_nc_u32_e32 v46, 1, v43
	ds_load_u8 v44, v44
	ds_load_u8 v45, v45
	s_wait_dscnt 0x0
	v_cmp_lt_u16_e64 s6, v45, v44
	s_wait_alu 0xf1ff
	s_delay_alu instid0(VALU_DEP_1) | instskip(SKIP_1) | instid1(VALU_DEP_1)
	v_cndmask_b32_e64 v42, v42, v43, s6
	v_cndmask_b32_e64 v41, v46, v41, s6
	v_cmp_ge_i32_e64 s6, v41, v42
	s_wait_alu 0xfffe
	s_or_b32 s8, s6, s8
	s_wait_alu 0xfffe
	s_and_not1_b32 exec_lo, exec_lo, s8
	s_cbranch_execnz .LBB96_52
; %bb.53:                               ;   in Loop: Header=BB96_2 Depth=1
	s_or_b32 exec_lo, exec_lo, s8
.LBB96_54:                              ;   in Loop: Header=BB96_2 Depth=1
	s_wait_alu 0xfffe
	s_or_b32 exec_lo, exec_lo, s7
	v_add_nc_u32_e32 v46, v41, v5
	v_sub_nc_u32_e32 v45, v25, v41
	ds_load_u8 v41, v46
	ds_load_u8 v42, v45
	v_cmp_le_i32_e64 s6, v16, v46
	v_cmp_gt_i32_e64 s8, v17, v45
	s_wait_dscnt 0x1
	v_and_b32_e32 v43, 0xff, v41
	s_wait_dscnt 0x0
	v_and_b32_e32 v44, 0xff, v42
	s_delay_alu instid0(VALU_DEP_1)
	v_cmp_lt_u16_e64 s7, v44, v43
                                        ; implicit-def: $vgpr43
	s_or_b32 s6, s6, s7
	s_wait_alu 0xfffe
	s_and_b32 s6, s8, s6
	s_wait_alu 0xfffe
	s_xor_b32 s7, s6, -1
	s_wait_alu 0xfffe
	s_and_saveexec_b32 s8, s7
	s_wait_alu 0xfffe
	s_xor_b32 s7, exec_lo, s8
; %bb.55:                               ;   in Loop: Header=BB96_2 Depth=1
	ds_load_u8 v43, v46 offset:1
; %bb.56:                               ;   in Loop: Header=BB96_2 Depth=1
	s_wait_alu 0xfffe
	s_or_saveexec_b32 s7, s7
	v_mov_b32_e32 v44, v42
	s_wait_alu 0xfffe
	s_xor_b32 exec_lo, exec_lo, s7
	s_cbranch_execz .LBB96_58
; %bb.57:                               ;   in Loop: Header=BB96_2 Depth=1
	ds_load_u8 v44, v45 offset:1
	s_wait_dscnt 0x1
	v_mov_b32_e32 v43, v41
.LBB96_58:                              ;   in Loop: Header=BB96_2 Depth=1
	s_or_b32 exec_lo, exec_lo, s7
	v_add_nc_u32_e32 v47, 1, v46
	v_add_nc_u32_e32 v49, 1, v45
	s_wait_dscnt 0x0
	v_and_b32_e32 v50, 0xff, v43
	s_delay_alu instid0(VALU_DEP_3) | instskip(SKIP_2) | instid1(VALU_DEP_3)
	v_cndmask_b32_e64 v48, v47, v46, s6
	v_and_b32_e32 v46, 0xff, v44
	v_cndmask_b32_e64 v47, v45, v49, s6
                                        ; implicit-def: $vgpr45
	v_cmp_ge_i32_e64 s7, v48, v16
	s_delay_alu instid0(VALU_DEP_3) | instskip(NEXT) | instid1(VALU_DEP_3)
	v_cmp_lt_u16_e64 s8, v46, v50
	v_cmp_lt_i32_e64 s9, v47, v17
	s_or_b32 s7, s7, s8
	s_wait_alu 0xfffe
	s_and_b32 s7, s9, s7
	s_wait_alu 0xfffe
	s_xor_b32 s8, s7, -1
	s_wait_alu 0xfffe
	s_and_saveexec_b32 s9, s8
	s_wait_alu 0xfffe
	s_xor_b32 s8, exec_lo, s9
; %bb.59:                               ;   in Loop: Header=BB96_2 Depth=1
	ds_load_u8 v45, v48 offset:1
; %bb.60:                               ;   in Loop: Header=BB96_2 Depth=1
	s_wait_alu 0xfffe
	s_or_saveexec_b32 s8, s8
	v_mov_b32_e32 v46, v44
	s_wait_alu 0xfffe
	s_xor_b32 exec_lo, exec_lo, s8
	s_cbranch_execz .LBB96_62
; %bb.61:                               ;   in Loop: Header=BB96_2 Depth=1
	ds_load_u8 v46, v47 offset:1
	s_wait_dscnt 0x1
	v_mov_b32_e32 v45, v43
.LBB96_62:                              ;   in Loop: Header=BB96_2 Depth=1
	s_or_b32 exec_lo, exec_lo, s8
	v_add_nc_u32_e32 v49, 1, v48
	v_add_nc_u32_e32 v50, 1, v47
	s_wait_dscnt 0x0
	v_and_b32_e32 v51, 0xff, v45
	v_and_b32_e32 v52, 0xff, v46
	v_cndmask_b32_e64 v49, v49, v48, s7
	v_cndmask_b32_e64 v48, v47, v50, s7
                                        ; implicit-def: $vgpr47
	s_delay_alu instid0(VALU_DEP_3) | instskip(NEXT) | instid1(VALU_DEP_3)
	v_cmp_lt_u16_e64 s9, v52, v51
	v_cmp_ge_i32_e64 s8, v49, v16
	s_delay_alu instid0(VALU_DEP_3)
	v_cmp_lt_i32_e64 s10, v48, v17
	s_or_b32 s8, s8, s9
	s_wait_alu 0xfffe
	s_and_b32 s8, s10, s8
	s_wait_alu 0xfffe
	s_xor_b32 s9, s8, -1
	s_wait_alu 0xfffe
	s_and_saveexec_b32 s10, s9
	s_delay_alu instid0(SALU_CYCLE_1)
	s_xor_b32 s9, exec_lo, s10
; %bb.63:                               ;   in Loop: Header=BB96_2 Depth=1
	ds_load_u8 v47, v49 offset:1
; %bb.64:                               ;   in Loop: Header=BB96_2 Depth=1
	s_wait_alu 0xfffe
	s_or_saveexec_b32 s9, s9
	v_mov_b32_e32 v50, v46
	s_wait_alu 0xfffe
	s_xor_b32 exec_lo, exec_lo, s9
	s_cbranch_execz .LBB96_66
; %bb.65:                               ;   in Loop: Header=BB96_2 Depth=1
	ds_load_u8 v50, v48 offset:1
	s_wait_dscnt 0x1
	v_mov_b32_e32 v47, v45
.LBB96_66:                              ;   in Loop: Header=BB96_2 Depth=1
	s_or_b32 exec_lo, exec_lo, s9
	v_add_nc_u32_e32 v51, 1, v49
	v_add_nc_u32_e32 v52, 1, v48
	s_wait_dscnt 0x0
	v_and_b32_e32 v53, 0xff, v47
	v_and_b32_e32 v54, 0xff, v50
	v_cndmask_b32_e64 v45, v45, v46, s8
	v_cndmask_b32_e64 v49, v51, v49, s8
	;; [unrolled: 1-line block ×4, first 2 shown]
	v_cmp_lt_u16_e64 s7, v54, v53
	v_cndmask_b32_e64 v41, v41, v42, s6
	v_cmp_ge_i32_e64 s8, v49, v16
	v_cmp_lt_i32_e64 s6, v46, v17
	s_wait_loadcnt 0x0
	s_barrier_signal -1
	s_barrier_wait -1
	s_or_b32 s7, s8, s7
	global_inv scope:SCOPE_SE
	s_wait_alu 0xfffe
	s_and_b32 s6, s6, s7
	s_wait_alu 0xfffe
	v_cndmask_b32_e64 v42, v47, v50, s6
	ds_store_b8 v1, v41
	ds_store_b8 v1, v43 offset:1
	ds_store_b8 v1, v45 offset:2
	;; [unrolled: 1-line block ×3, first 2 shown]
	v_mov_b32_e32 v41, v38
	s_wait_loadcnt_dscnt 0x0
	s_barrier_signal -1
	s_barrier_wait -1
	global_inv scope:SCOPE_SE
	s_and_saveexec_b32 s7, s4
	s_cbranch_execz .LBB96_70
; %bb.67:                               ;   in Loop: Header=BB96_2 Depth=1
	v_dual_mov_b32 v41, v38 :: v_dual_mov_b32 v42, v32
	s_mov_b32 s8, 0
.LBB96_68:                              ;   Parent Loop BB96_2 Depth=1
                                        ; =>  This Inner Loop Header: Depth=2
	s_delay_alu instid0(VALU_DEP_1) | instskip(NEXT) | instid1(VALU_DEP_1)
	v_sub_nc_u32_e32 v43, v42, v41
	v_lshrrev_b32_e32 v43, 1, v43
	s_delay_alu instid0(VALU_DEP_1) | instskip(NEXT) | instid1(VALU_DEP_1)
	v_add_nc_u32_e32 v43, v43, v41
	v_add_nc_u32_e32 v44, v6, v43
	v_xad_u32 v45, v43, -1, v26
	v_add_nc_u32_e32 v46, 1, v43
	ds_load_u8 v44, v44
	ds_load_u8 v45, v45
	s_wait_dscnt 0x0
	v_cmp_lt_u16_e64 s6, v45, v44
	s_wait_alu 0xf1ff
	s_delay_alu instid0(VALU_DEP_1) | instskip(SKIP_1) | instid1(VALU_DEP_1)
	v_cndmask_b32_e64 v42, v42, v43, s6
	v_cndmask_b32_e64 v41, v46, v41, s6
	v_cmp_ge_i32_e64 s6, v41, v42
	s_wait_alu 0xfffe
	s_or_b32 s8, s6, s8
	s_wait_alu 0xfffe
	s_and_not1_b32 exec_lo, exec_lo, s8
	s_cbranch_execnz .LBB96_68
; %bb.69:                               ;   in Loop: Header=BB96_2 Depth=1
	s_or_b32 exec_lo, exec_lo, s8
.LBB96_70:                              ;   in Loop: Header=BB96_2 Depth=1
	s_wait_alu 0xfffe
	s_or_b32 exec_lo, exec_lo, s7
	v_add_nc_u32_e32 v46, v41, v6
	v_sub_nc_u32_e32 v45, v26, v41
	ds_load_u8 v41, v46
	ds_load_u8 v42, v45
	v_cmp_le_i32_e64 s6, v18, v46
	v_cmp_gt_i32_e64 s8, v19, v45
	s_wait_dscnt 0x1
	v_and_b32_e32 v43, 0xff, v41
	s_wait_dscnt 0x0
	v_and_b32_e32 v44, 0xff, v42
	s_delay_alu instid0(VALU_DEP_1)
	v_cmp_lt_u16_e64 s7, v44, v43
                                        ; implicit-def: $vgpr43
	s_or_b32 s6, s6, s7
	s_wait_alu 0xfffe
	s_and_b32 s6, s8, s6
	s_wait_alu 0xfffe
	s_xor_b32 s7, s6, -1
	s_wait_alu 0xfffe
	s_and_saveexec_b32 s8, s7
	s_wait_alu 0xfffe
	s_xor_b32 s7, exec_lo, s8
; %bb.71:                               ;   in Loop: Header=BB96_2 Depth=1
	ds_load_u8 v43, v46 offset:1
; %bb.72:                               ;   in Loop: Header=BB96_2 Depth=1
	s_wait_alu 0xfffe
	s_or_saveexec_b32 s7, s7
	v_mov_b32_e32 v44, v42
	s_wait_alu 0xfffe
	s_xor_b32 exec_lo, exec_lo, s7
	s_cbranch_execz .LBB96_74
; %bb.73:                               ;   in Loop: Header=BB96_2 Depth=1
	ds_load_u8 v44, v45 offset:1
	s_wait_dscnt 0x1
	v_mov_b32_e32 v43, v41
.LBB96_74:                              ;   in Loop: Header=BB96_2 Depth=1
	s_or_b32 exec_lo, exec_lo, s7
	v_add_nc_u32_e32 v47, 1, v46
	v_add_nc_u32_e32 v49, 1, v45
	s_wait_dscnt 0x0
	v_and_b32_e32 v50, 0xff, v43
	s_delay_alu instid0(VALU_DEP_3) | instskip(SKIP_2) | instid1(VALU_DEP_3)
	v_cndmask_b32_e64 v48, v47, v46, s6
	v_and_b32_e32 v46, 0xff, v44
	v_cndmask_b32_e64 v47, v45, v49, s6
                                        ; implicit-def: $vgpr45
	v_cmp_ge_i32_e64 s7, v48, v18
	s_delay_alu instid0(VALU_DEP_3) | instskip(NEXT) | instid1(VALU_DEP_3)
	v_cmp_lt_u16_e64 s8, v46, v50
	v_cmp_lt_i32_e64 s9, v47, v19
	s_or_b32 s7, s7, s8
	s_wait_alu 0xfffe
	s_and_b32 s7, s9, s7
	s_wait_alu 0xfffe
	s_xor_b32 s8, s7, -1
	s_wait_alu 0xfffe
	s_and_saveexec_b32 s9, s8
	s_wait_alu 0xfffe
	s_xor_b32 s8, exec_lo, s9
; %bb.75:                               ;   in Loop: Header=BB96_2 Depth=1
	ds_load_u8 v45, v48 offset:1
; %bb.76:                               ;   in Loop: Header=BB96_2 Depth=1
	s_wait_alu 0xfffe
	s_or_saveexec_b32 s8, s8
	v_mov_b32_e32 v46, v44
	s_wait_alu 0xfffe
	s_xor_b32 exec_lo, exec_lo, s8
	s_cbranch_execz .LBB96_78
; %bb.77:                               ;   in Loop: Header=BB96_2 Depth=1
	ds_load_u8 v46, v47 offset:1
	s_wait_dscnt 0x1
	v_mov_b32_e32 v45, v43
.LBB96_78:                              ;   in Loop: Header=BB96_2 Depth=1
	s_or_b32 exec_lo, exec_lo, s8
	v_add_nc_u32_e32 v49, 1, v48
	v_add_nc_u32_e32 v50, 1, v47
	s_wait_dscnt 0x0
	v_and_b32_e32 v51, 0xff, v45
	v_and_b32_e32 v52, 0xff, v46
	v_cndmask_b32_e64 v49, v49, v48, s7
	v_cndmask_b32_e64 v48, v47, v50, s7
                                        ; implicit-def: $vgpr47
	s_delay_alu instid0(VALU_DEP_3) | instskip(NEXT) | instid1(VALU_DEP_3)
	v_cmp_lt_u16_e64 s9, v52, v51
	v_cmp_ge_i32_e64 s8, v49, v18
	s_delay_alu instid0(VALU_DEP_3)
	v_cmp_lt_i32_e64 s10, v48, v19
	s_or_b32 s8, s8, s9
	s_wait_alu 0xfffe
	s_and_b32 s8, s10, s8
	s_wait_alu 0xfffe
	s_xor_b32 s9, s8, -1
	s_wait_alu 0xfffe
	s_and_saveexec_b32 s10, s9
	s_delay_alu instid0(SALU_CYCLE_1)
	s_xor_b32 s9, exec_lo, s10
; %bb.79:                               ;   in Loop: Header=BB96_2 Depth=1
	ds_load_u8 v47, v49 offset:1
; %bb.80:                               ;   in Loop: Header=BB96_2 Depth=1
	s_wait_alu 0xfffe
	s_or_saveexec_b32 s9, s9
	v_mov_b32_e32 v50, v46
	s_wait_alu 0xfffe
	s_xor_b32 exec_lo, exec_lo, s9
	s_cbranch_execz .LBB96_82
; %bb.81:                               ;   in Loop: Header=BB96_2 Depth=1
	ds_load_u8 v50, v48 offset:1
	s_wait_dscnt 0x1
	v_mov_b32_e32 v47, v45
.LBB96_82:                              ;   in Loop: Header=BB96_2 Depth=1
	s_or_b32 exec_lo, exec_lo, s9
	v_add_nc_u32_e32 v51, 1, v49
	v_add_nc_u32_e32 v52, 1, v48
	s_wait_dscnt 0x0
	v_and_b32_e32 v53, 0xff, v47
	v_and_b32_e32 v54, 0xff, v50
	v_cndmask_b32_e64 v45, v45, v46, s8
	v_cndmask_b32_e64 v49, v51, v49, s8
	;; [unrolled: 1-line block ×4, first 2 shown]
	v_cmp_lt_u16_e64 s7, v54, v53
	v_cndmask_b32_e64 v41, v41, v42, s6
	v_cmp_ge_i32_e64 s8, v49, v18
	v_cmp_lt_i32_e64 s6, v46, v19
	s_wait_loadcnt 0x0
	s_barrier_signal -1
	s_barrier_wait -1
	s_or_b32 s7, s8, s7
	global_inv scope:SCOPE_SE
	s_wait_alu 0xfffe
	s_and_b32 s6, s6, s7
	s_wait_alu 0xfffe
	v_cndmask_b32_e64 v42, v47, v50, s6
	ds_store_b8 v1, v41
	ds_store_b8 v1, v43 offset:1
	ds_store_b8 v1, v45 offset:2
	;; [unrolled: 1-line block ×3, first 2 shown]
	v_mov_b32_e32 v41, v39
	s_wait_loadcnt_dscnt 0x0
	s_barrier_signal -1
	s_barrier_wait -1
	global_inv scope:SCOPE_SE
	s_and_saveexec_b32 s7, s5
	s_cbranch_execz .LBB96_86
; %bb.83:                               ;   in Loop: Header=BB96_2 Depth=1
	v_dual_mov_b32 v41, v39 :: v_dual_mov_b32 v42, v33
	s_mov_b32 s8, 0
.LBB96_84:                              ;   Parent Loop BB96_2 Depth=1
                                        ; =>  This Inner Loop Header: Depth=2
	s_delay_alu instid0(VALU_DEP_1) | instskip(NEXT) | instid1(VALU_DEP_1)
	v_sub_nc_u32_e32 v43, v42, v41
	v_lshrrev_b32_e32 v43, 1, v43
	s_delay_alu instid0(VALU_DEP_1) | instskip(NEXT) | instid1(VALU_DEP_1)
	v_add_nc_u32_e32 v43, v43, v41
	v_add_nc_u32_e32 v44, v7, v43
	v_xad_u32 v45, v43, -1, v27
	v_add_nc_u32_e32 v46, 1, v43
	ds_load_u8 v44, v44
	ds_load_u8 v45, v45
	s_wait_dscnt 0x0
	v_cmp_lt_u16_e64 s6, v45, v44
	s_wait_alu 0xf1ff
	s_delay_alu instid0(VALU_DEP_1) | instskip(SKIP_1) | instid1(VALU_DEP_1)
	v_cndmask_b32_e64 v42, v42, v43, s6
	v_cndmask_b32_e64 v41, v46, v41, s6
	v_cmp_ge_i32_e64 s6, v41, v42
	s_wait_alu 0xfffe
	s_or_b32 s8, s6, s8
	s_wait_alu 0xfffe
	s_and_not1_b32 exec_lo, exec_lo, s8
	s_cbranch_execnz .LBB96_84
; %bb.85:                               ;   in Loop: Header=BB96_2 Depth=1
	s_or_b32 exec_lo, exec_lo, s8
.LBB96_86:                              ;   in Loop: Header=BB96_2 Depth=1
	s_wait_alu 0xfffe
	s_or_b32 exec_lo, exec_lo, s7
	v_add_nc_u32_e32 v46, v41, v7
	v_sub_nc_u32_e32 v45, v27, v41
	ds_load_u8 v41, v46
	ds_load_u8 v42, v45
	v_cmp_le_i32_e64 s6, v20, v46
	v_cmp_gt_i32_e64 s8, v21, v45
	s_wait_dscnt 0x1
	v_and_b32_e32 v43, 0xff, v41
	s_wait_dscnt 0x0
	v_and_b32_e32 v44, 0xff, v42
	s_delay_alu instid0(VALU_DEP_1)
	v_cmp_lt_u16_e64 s7, v44, v43
                                        ; implicit-def: $vgpr43
	s_or_b32 s6, s6, s7
	s_wait_alu 0xfffe
	s_and_b32 s6, s8, s6
	s_wait_alu 0xfffe
	s_xor_b32 s7, s6, -1
	s_wait_alu 0xfffe
	s_and_saveexec_b32 s8, s7
	s_wait_alu 0xfffe
	s_xor_b32 s7, exec_lo, s8
; %bb.87:                               ;   in Loop: Header=BB96_2 Depth=1
	ds_load_u8 v43, v46 offset:1
; %bb.88:                               ;   in Loop: Header=BB96_2 Depth=1
	s_wait_alu 0xfffe
	s_or_saveexec_b32 s7, s7
	v_mov_b32_e32 v44, v42
	s_wait_alu 0xfffe
	s_xor_b32 exec_lo, exec_lo, s7
	s_cbranch_execz .LBB96_90
; %bb.89:                               ;   in Loop: Header=BB96_2 Depth=1
	ds_load_u8 v44, v45 offset:1
	s_wait_dscnt 0x1
	v_mov_b32_e32 v43, v41
.LBB96_90:                              ;   in Loop: Header=BB96_2 Depth=1
	s_or_b32 exec_lo, exec_lo, s7
	v_add_nc_u32_e32 v47, 1, v46
	v_add_nc_u32_e32 v49, 1, v45
	s_wait_dscnt 0x0
	v_and_b32_e32 v50, 0xff, v43
	s_delay_alu instid0(VALU_DEP_3) | instskip(SKIP_2) | instid1(VALU_DEP_3)
	v_cndmask_b32_e64 v48, v47, v46, s6
	v_and_b32_e32 v46, 0xff, v44
	v_cndmask_b32_e64 v47, v45, v49, s6
                                        ; implicit-def: $vgpr45
	v_cmp_ge_i32_e64 s7, v48, v20
	s_delay_alu instid0(VALU_DEP_3) | instskip(NEXT) | instid1(VALU_DEP_3)
	v_cmp_lt_u16_e64 s8, v46, v50
	v_cmp_lt_i32_e64 s9, v47, v21
	s_or_b32 s7, s7, s8
	s_wait_alu 0xfffe
	s_and_b32 s7, s9, s7
	s_wait_alu 0xfffe
	s_xor_b32 s8, s7, -1
	s_wait_alu 0xfffe
	s_and_saveexec_b32 s9, s8
	s_wait_alu 0xfffe
	s_xor_b32 s8, exec_lo, s9
; %bb.91:                               ;   in Loop: Header=BB96_2 Depth=1
	ds_load_u8 v45, v48 offset:1
; %bb.92:                               ;   in Loop: Header=BB96_2 Depth=1
	s_wait_alu 0xfffe
	s_or_saveexec_b32 s8, s8
	v_mov_b32_e32 v46, v44
	s_wait_alu 0xfffe
	s_xor_b32 exec_lo, exec_lo, s8
	s_cbranch_execz .LBB96_94
; %bb.93:                               ;   in Loop: Header=BB96_2 Depth=1
	ds_load_u8 v46, v47 offset:1
	s_wait_dscnt 0x1
	v_mov_b32_e32 v45, v43
.LBB96_94:                              ;   in Loop: Header=BB96_2 Depth=1
	s_or_b32 exec_lo, exec_lo, s8
	v_add_nc_u32_e32 v49, 1, v48
	v_add_nc_u32_e32 v50, 1, v47
	s_wait_dscnt 0x0
	v_and_b32_e32 v51, 0xff, v45
	v_and_b32_e32 v52, 0xff, v46
	v_cndmask_b32_e64 v49, v49, v48, s7
	v_cndmask_b32_e64 v48, v47, v50, s7
                                        ; implicit-def: $vgpr47
	s_delay_alu instid0(VALU_DEP_3) | instskip(NEXT) | instid1(VALU_DEP_3)
	v_cmp_lt_u16_e64 s9, v52, v51
	v_cmp_ge_i32_e64 s8, v49, v20
	s_delay_alu instid0(VALU_DEP_3)
	v_cmp_lt_i32_e64 s10, v48, v21
	s_or_b32 s8, s8, s9
	s_wait_alu 0xfffe
	s_and_b32 s8, s10, s8
	s_wait_alu 0xfffe
	s_xor_b32 s9, s8, -1
	s_wait_alu 0xfffe
	s_and_saveexec_b32 s10, s9
	s_delay_alu instid0(SALU_CYCLE_1)
	s_xor_b32 s9, exec_lo, s10
; %bb.95:                               ;   in Loop: Header=BB96_2 Depth=1
	ds_load_u8 v47, v49 offset:1
; %bb.96:                               ;   in Loop: Header=BB96_2 Depth=1
	s_wait_alu 0xfffe
	s_or_saveexec_b32 s9, s9
	v_mov_b32_e32 v50, v46
	s_wait_alu 0xfffe
	s_xor_b32 exec_lo, exec_lo, s9
	s_cbranch_execz .LBB96_98
; %bb.97:                               ;   in Loop: Header=BB96_2 Depth=1
	ds_load_u8 v50, v48 offset:1
	s_wait_dscnt 0x1
	v_mov_b32_e32 v47, v45
.LBB96_98:                              ;   in Loop: Header=BB96_2 Depth=1
	s_or_b32 exec_lo, exec_lo, s9
	v_add_nc_u32_e32 v51, 1, v49
	v_add_nc_u32_e32 v52, 1, v48
	s_wait_dscnt 0x0
	v_and_b32_e32 v53, 0xff, v47
	v_and_b32_e32 v54, 0xff, v50
	v_cndmask_b32_e64 v45, v45, v46, s8
	v_cndmask_b32_e64 v49, v51, v49, s8
	v_cndmask_b32_e64 v46, v48, v52, s8
	v_cndmask_b32_e64 v43, v43, v44, s7
	v_cmp_lt_u16_e64 s7, v54, v53
	v_cndmask_b32_e64 v41, v41, v42, s6
	v_cmp_ge_i32_e64 s8, v49, v20
	v_cmp_lt_i32_e64 s6, v46, v21
	s_wait_loadcnt 0x0
	s_barrier_signal -1
	s_barrier_wait -1
	s_or_b32 s7, s8, s7
	global_inv scope:SCOPE_SE
	s_wait_alu 0xfffe
	s_and_b32 s6, s6, s7
	s_wait_alu 0xfffe
	v_cndmask_b32_e64 v42, v47, v50, s6
	ds_store_b8 v1, v41
	ds_store_b8 v1, v43 offset:1
	ds_store_b8 v1, v45 offset:2
	;; [unrolled: 1-line block ×3, first 2 shown]
	v_mov_b32_e32 v45, v8
	s_wait_loadcnt_dscnt 0x0
	s_barrier_signal -1
	s_barrier_wait -1
	global_inv scope:SCOPE_SE
	s_and_saveexec_b32 s7, vcc_lo
	s_cbranch_execz .LBB96_102
; %bb.99:                               ;   in Loop: Header=BB96_2 Depth=1
	v_mov_b32_e32 v45, v8
	v_mov_b32_e32 v41, v9
	s_mov_b32 s8, 0
.LBB96_100:                             ;   Parent Loop BB96_2 Depth=1
                                        ; =>  This Inner Loop Header: Depth=2
	s_delay_alu instid0(VALU_DEP_1) | instskip(NEXT) | instid1(VALU_DEP_1)
	v_sub_nc_u32_e32 v42, v41, v45
	v_lshrrev_b32_e32 v42, 1, v42
	s_delay_alu instid0(VALU_DEP_1) | instskip(NEXT) | instid1(VALU_DEP_1)
	v_add_nc_u32_e32 v42, v42, v45
	v_xad_u32 v43, v42, -1, v40
	v_add_nc_u32_e32 v46, 1, v42
	ds_load_u8 v44, v42
	ds_load_u8 v43, v43
	s_wait_dscnt 0x0
	v_cmp_lt_u16_e64 s6, v43, v44
	s_wait_alu 0xf1ff
	s_delay_alu instid0(VALU_DEP_1) | instskip(SKIP_1) | instid1(VALU_DEP_1)
	v_cndmask_b32_e64 v41, v41, v42, s6
	v_cndmask_b32_e64 v45, v46, v45, s6
	v_cmp_ge_i32_e64 s6, v45, v41
	s_wait_alu 0xfffe
	s_or_b32 s8, s6, s8
	s_wait_alu 0xfffe
	s_and_not1_b32 exec_lo, exec_lo, s8
	s_cbranch_execnz .LBB96_100
; %bb.101:                              ;   in Loop: Header=BB96_2 Depth=1
	s_or_b32 exec_lo, exec_lo, s8
.LBB96_102:                             ;   in Loop: Header=BB96_2 Depth=1
	s_wait_alu 0xfffe
	s_or_b32 exec_lo, exec_lo, s7
	v_sub_nc_u32_e32 v46, v40, v45
	v_cmp_le_i32_e64 s6, 0x100, v45
	ds_load_u8 v41, v45
	ds_load_u8 v42, v46
	v_cmp_gt_i32_e64 s8, 0x200, v46
	s_wait_dscnt 0x1
	v_and_b32_e32 v43, 0xff, v41
	s_wait_dscnt 0x0
	v_and_b32_e32 v44, 0xff, v42
	s_delay_alu instid0(VALU_DEP_1)
	v_cmp_lt_u16_e64 s7, v44, v43
                                        ; implicit-def: $vgpr43
	s_or_b32 s6, s6, s7
	s_wait_alu 0xfffe
	s_and_b32 s6, s8, s6
	s_wait_alu 0xfffe
	s_xor_b32 s7, s6, -1
	s_wait_alu 0xfffe
	s_and_saveexec_b32 s8, s7
	s_wait_alu 0xfffe
	s_xor_b32 s7, exec_lo, s8
; %bb.103:                              ;   in Loop: Header=BB96_2 Depth=1
	ds_load_u8 v43, v45 offset:1
; %bb.104:                              ;   in Loop: Header=BB96_2 Depth=1
	s_wait_alu 0xfffe
	s_or_saveexec_b32 s7, s7
	v_mov_b32_e32 v44, v42
	s_wait_alu 0xfffe
	s_xor_b32 exec_lo, exec_lo, s7
	s_cbranch_execz .LBB96_106
; %bb.105:                              ;   in Loop: Header=BB96_2 Depth=1
	ds_load_u8 v44, v46 offset:1
	s_wait_dscnt 0x1
	v_mov_b32_e32 v43, v41
.LBB96_106:                             ;   in Loop: Header=BB96_2 Depth=1
	s_or_b32 exec_lo, exec_lo, s7
	v_add_nc_u32_e32 v47, 1, v45
	v_add_nc_u32_e32 v49, 1, v46
	s_wait_dscnt 0x0
	v_and_b32_e32 v50, 0xff, v43
	s_delay_alu instid0(VALU_DEP_3) | instskip(SKIP_2) | instid1(VALU_DEP_3)
	v_cndmask_b32_e64 v48, v47, v45, s6
	v_and_b32_e32 v45, 0xff, v44
	v_cndmask_b32_e64 v47, v46, v49, s6
	v_cmp_le_i32_e64 s7, 0x100, v48
	s_delay_alu instid0(VALU_DEP_3) | instskip(NEXT) | instid1(VALU_DEP_3)
	v_cmp_lt_u16_e64 s8, v45, v50
	v_cmp_gt_i32_e64 s9, 0x200, v47
                                        ; implicit-def: $vgpr45
	s_or_b32 s7, s7, s8
	s_wait_alu 0xfffe
	s_and_b32 s7, s9, s7
	s_wait_alu 0xfffe
	s_xor_b32 s8, s7, -1
	s_wait_alu 0xfffe
	s_and_saveexec_b32 s9, s8
	s_wait_alu 0xfffe
	s_xor_b32 s8, exec_lo, s9
; %bb.107:                              ;   in Loop: Header=BB96_2 Depth=1
	ds_load_u8 v45, v48 offset:1
; %bb.108:                              ;   in Loop: Header=BB96_2 Depth=1
	s_wait_alu 0xfffe
	s_or_saveexec_b32 s8, s8
	v_mov_b32_e32 v46, v44
	s_wait_alu 0xfffe
	s_xor_b32 exec_lo, exec_lo, s8
	s_cbranch_execz .LBB96_110
; %bb.109:                              ;   in Loop: Header=BB96_2 Depth=1
	ds_load_u8 v46, v47 offset:1
	s_wait_dscnt 0x1
	v_mov_b32_e32 v45, v43
.LBB96_110:                             ;   in Loop: Header=BB96_2 Depth=1
	s_or_b32 exec_lo, exec_lo, s8
	v_add_nc_u32_e32 v49, 1, v48
	v_add_nc_u32_e32 v51, 1, v47
	s_wait_dscnt 0x0
	v_and_b32_e32 v52, 0xff, v45
	s_delay_alu instid0(VALU_DEP_3) | instskip(SKIP_2) | instid1(VALU_DEP_3)
	v_cndmask_b32_e64 v50, v49, v48, s7
	v_and_b32_e32 v48, 0xff, v46
	v_cndmask_b32_e64 v47, v47, v51, s7
                                        ; implicit-def: $vgpr49
	v_cmp_le_i32_e64 s8, 0x100, v50
	s_delay_alu instid0(VALU_DEP_3) | instskip(NEXT) | instid1(VALU_DEP_3)
	v_cmp_lt_u16_e64 s9, v48, v52
	v_cmp_gt_i32_e64 s10, 0x200, v47
                                        ; implicit-def: $vgpr48
	s_or_b32 s8, s8, s9
	s_wait_alu 0xfffe
	s_and_b32 s8, s10, s8
	s_wait_alu 0xfffe
	s_xor_b32 s9, s8, -1
	s_wait_alu 0xfffe
	s_and_saveexec_b32 s10, s9
	s_delay_alu instid0(SALU_CYCLE_1)
	s_xor_b32 s9, exec_lo, s10
; %bb.111:                              ;   in Loop: Header=BB96_2 Depth=1
	ds_load_u8 v48, v50 offset:1
	v_add_nc_u32_e32 v49, 1, v50
                                        ; implicit-def: $vgpr50
; %bb.112:                              ;   in Loop: Header=BB96_2 Depth=1
	s_wait_alu 0xfffe
	s_or_saveexec_b32 s9, s9
	v_mov_b32_e32 v51, v46
	s_wait_alu 0xfffe
	s_xor_b32 exec_lo, exec_lo, s9
	s_cbranch_execz .LBB96_1
; %bb.113:                              ;   in Loop: Header=BB96_2 Depth=1
	ds_load_u8 v51, v47 offset:1
	s_wait_dscnt 0x1
	v_dual_mov_b32 v48, v45 :: v_dual_add_nc_u32 v47, 1, v47
	v_mov_b32_e32 v49, v50
	s_branch .LBB96_1
.LBB96_114:
	s_add_nc_u64 s[0:1], s[14:15], s[16:17]
	s_wait_alu 0xfffe
	v_add_co_u32 v0, s0, s0, v0
	s_wait_alu 0xf1ff
	v_add_co_ci_u32_e64 v1, null, s1, 0, s0
	s_clause 0x3
	global_store_b8 v[0:1], v41, off
	global_store_b8 v[0:1], v42, off offset:128
	global_store_b8 v[0:1], v43, off offset:256
	;; [unrolled: 1-line block ×3, first 2 shown]
	s_endpgm
	.section	.rodata,"a",@progbits
	.p2align	6, 0x0
	.amdhsa_kernel _Z16sort_keys_kernelIhLj128ELj4EN10test_utils4lessELj10EEvPKT_PS2_T2_
		.amdhsa_group_segment_fixed_size 513
		.amdhsa_private_segment_fixed_size 0
		.amdhsa_kernarg_size 20
		.amdhsa_user_sgpr_count 2
		.amdhsa_user_sgpr_dispatch_ptr 0
		.amdhsa_user_sgpr_queue_ptr 0
		.amdhsa_user_sgpr_kernarg_segment_ptr 1
		.amdhsa_user_sgpr_dispatch_id 0
		.amdhsa_user_sgpr_private_segment_size 0
		.amdhsa_wavefront_size32 1
		.amdhsa_uses_dynamic_stack 0
		.amdhsa_enable_private_segment 0
		.amdhsa_system_sgpr_workgroup_id_x 1
		.amdhsa_system_sgpr_workgroup_id_y 0
		.amdhsa_system_sgpr_workgroup_id_z 0
		.amdhsa_system_sgpr_workgroup_info 0
		.amdhsa_system_vgpr_workitem_id 0
		.amdhsa_next_free_vgpr 56
		.amdhsa_next_free_sgpr 18
		.amdhsa_reserve_vcc 1
		.amdhsa_float_round_mode_32 0
		.amdhsa_float_round_mode_16_64 0
		.amdhsa_float_denorm_mode_32 3
		.amdhsa_float_denorm_mode_16_64 3
		.amdhsa_fp16_overflow 0
		.amdhsa_workgroup_processor_mode 1
		.amdhsa_memory_ordered 1
		.amdhsa_forward_progress 1
		.amdhsa_inst_pref_size 56
		.amdhsa_round_robin_scheduling 0
		.amdhsa_exception_fp_ieee_invalid_op 0
		.amdhsa_exception_fp_denorm_src 0
		.amdhsa_exception_fp_ieee_div_zero 0
		.amdhsa_exception_fp_ieee_overflow 0
		.amdhsa_exception_fp_ieee_underflow 0
		.amdhsa_exception_fp_ieee_inexact 0
		.amdhsa_exception_int_div_zero 0
	.end_amdhsa_kernel
	.section	.text._Z16sort_keys_kernelIhLj128ELj4EN10test_utils4lessELj10EEvPKT_PS2_T2_,"axG",@progbits,_Z16sort_keys_kernelIhLj128ELj4EN10test_utils4lessELj10EEvPKT_PS2_T2_,comdat
.Lfunc_end96:
	.size	_Z16sort_keys_kernelIhLj128ELj4EN10test_utils4lessELj10EEvPKT_PS2_T2_, .Lfunc_end96-_Z16sort_keys_kernelIhLj128ELj4EN10test_utils4lessELj10EEvPKT_PS2_T2_
                                        ; -- End function
	.set _Z16sort_keys_kernelIhLj128ELj4EN10test_utils4lessELj10EEvPKT_PS2_T2_.num_vgpr, 56
	.set _Z16sort_keys_kernelIhLj128ELj4EN10test_utils4lessELj10EEvPKT_PS2_T2_.num_agpr, 0
	.set _Z16sort_keys_kernelIhLj128ELj4EN10test_utils4lessELj10EEvPKT_PS2_T2_.numbered_sgpr, 18
	.set _Z16sort_keys_kernelIhLj128ELj4EN10test_utils4lessELj10EEvPKT_PS2_T2_.num_named_barrier, 0
	.set _Z16sort_keys_kernelIhLj128ELj4EN10test_utils4lessELj10EEvPKT_PS2_T2_.private_seg_size, 0
	.set _Z16sort_keys_kernelIhLj128ELj4EN10test_utils4lessELj10EEvPKT_PS2_T2_.uses_vcc, 1
	.set _Z16sort_keys_kernelIhLj128ELj4EN10test_utils4lessELj10EEvPKT_PS2_T2_.uses_flat_scratch, 0
	.set _Z16sort_keys_kernelIhLj128ELj4EN10test_utils4lessELj10EEvPKT_PS2_T2_.has_dyn_sized_stack, 0
	.set _Z16sort_keys_kernelIhLj128ELj4EN10test_utils4lessELj10EEvPKT_PS2_T2_.has_recursion, 0
	.set _Z16sort_keys_kernelIhLj128ELj4EN10test_utils4lessELj10EEvPKT_PS2_T2_.has_indirect_call, 0
	.section	.AMDGPU.csdata,"",@progbits
; Kernel info:
; codeLenInByte = 7108
; TotalNumSgprs: 20
; NumVgprs: 56
; ScratchSize: 0
; MemoryBound: 0
; FloatMode: 240
; IeeeMode: 1
; LDSByteSize: 513 bytes/workgroup (compile time only)
; SGPRBlocks: 0
; VGPRBlocks: 6
; NumSGPRsForWavesPerEU: 20
; NumVGPRsForWavesPerEU: 56
; Occupancy: 16
; WaveLimiterHint : 1
; COMPUTE_PGM_RSRC2:SCRATCH_EN: 0
; COMPUTE_PGM_RSRC2:USER_SGPR: 2
; COMPUTE_PGM_RSRC2:TRAP_HANDLER: 0
; COMPUTE_PGM_RSRC2:TGID_X_EN: 1
; COMPUTE_PGM_RSRC2:TGID_Y_EN: 0
; COMPUTE_PGM_RSRC2:TGID_Z_EN: 0
; COMPUTE_PGM_RSRC2:TIDIG_COMP_CNT: 0
	.section	.text._Z17sort_pairs_kernelIhLj128ELj4EN10test_utils4lessELj10EEvPKT_PS2_T2_,"axG",@progbits,_Z17sort_pairs_kernelIhLj128ELj4EN10test_utils4lessELj10EEvPKT_PS2_T2_,comdat
	.protected	_Z17sort_pairs_kernelIhLj128ELj4EN10test_utils4lessELj10EEvPKT_PS2_T2_ ; -- Begin function _Z17sort_pairs_kernelIhLj128ELj4EN10test_utils4lessELj10EEvPKT_PS2_T2_
	.globl	_Z17sort_pairs_kernelIhLj128ELj4EN10test_utils4lessELj10EEvPKT_PS2_T2_
	.p2align	8
	.type	_Z17sort_pairs_kernelIhLj128ELj4EN10test_utils4lessELj10EEvPKT_PS2_T2_,@function
_Z17sort_pairs_kernelIhLj128ELj4EN10test_utils4lessELj10EEvPKT_PS2_T2_: ; @_Z17sort_pairs_kernelIhLj128ELj4EN10test_utils4lessELj10EEvPKT_PS2_T2_
; %bb.0:
	s_load_b128 s[16:19], s[0:1], 0x0
	s_lshl_b32 s20, ttmp9, 9
	s_mov_b32 s21, 0
	v_lshlrev_b32_e32 v1, 2, v0
	s_delay_alu instid0(VALU_DEP_1)
	v_and_b32_e32 v2, 0x1f8, v1
	v_and_b32_e32 v3, 0x1f0, v1
	;; [unrolled: 1-line block ×5, first 2 shown]
	v_or_b32_e32 v10, 4, v2
	v_add_nc_u32_e32 v11, 8, v2
	v_or_b32_e32 v12, 8, v3
	v_add_nc_u32_e32 v13, 16, v3
	v_and_b32_e32 v5, 0x1c0, v1
	v_or_b32_e32 v14, 16, v4
	v_sub_nc_u32_e32 v40, v11, v10
	s_wait_kmcnt 0x0
	s_add_nc_u64 s[0:1], s[16:17], s[20:21]
	v_add_nc_u32_e32 v15, 32, v4
	s_clause 0x3
	global_load_u8 v47, v0, s[0:1]
	global_load_u8 v46, v0, s[0:1] offset:128
	global_load_u8 v48, v0, s[0:1] offset:256
	;; [unrolled: 1-line block ×3, first 2 shown]
	v_sub_nc_u32_e32 v28, v10, v2
	v_sub_nc_u32_e32 v41, v13, v12
	;; [unrolled: 1-line block ×3, first 2 shown]
	v_cmp_ge_i32_e64 s0, v34, v40
	v_and_b32_e32 v36, 28, v1
	v_and_b32_e32 v6, 0x180, v1
	v_or_b32_e32 v16, 32, v5
	v_add_nc_u32_e32 v17, 64, v5
	v_add_nc_u32_e32 v22, v10, v34
	v_sub_nc_u32_e32 v29, v12, v3
	v_sub_nc_u32_e32 v42, v15, v14
	v_min_i32_e32 v28, v34, v28
	v_sub_nc_u32_e32 v51, v35, v41
	v_cndmask_b32_e64 v34, 0, v50, s0
	v_cmp_ge_i32_e64 s0, v35, v41
	v_and_b32_e32 v37, 60, v1
	v_and_b32_e32 v7, 0x100, v1
	v_or_b32_e32 v18, 64, v6
	v_add_nc_u32_e32 v19, 0x80, v6
	v_add_nc_u32_e32 v23, v12, v35
	v_sub_nc_u32_e32 v30, v14, v4
	v_sub_nc_u32_e32 v43, v17, v16
	v_min_i32_e32 v29, v35, v29
	v_sub_nc_u32_e32 v52, v36, v42
	s_wait_alu 0xf1ff
	v_cndmask_b32_e64 v35, 0, v51, s0
	v_cmp_ge_i32_e64 s0, v36, v42
	v_and_b32_e32 v38, 0x7c, v1
	v_or_b32_e32 v20, 0x80, v7
	v_add_nc_u32_e32 v21, 0x100, v7
	v_add_nc_u32_e32 v24, v14, v36
	v_sub_nc_u32_e32 v31, v16, v5
	v_sub_nc_u32_e32 v44, v19, v18
	v_min_i32_e32 v30, v36, v30
	v_sub_nc_u32_e32 v53, v37, v43
	s_wait_alu 0xf1ff
	v_cndmask_b32_e64 v36, 0, v52, s0
	v_cmp_ge_i32_e64 s0, v37, v43
	v_and_b32_e32 v39, 0xfc, v1
	v_add_nc_u32_e32 v25, v16, v37
	v_sub_nc_u32_e32 v32, v18, v6
	v_sub_nc_u32_e32 v49, v21, v20
	v_min_i32_e32 v31, v37, v31
	v_sub_nc_u32_e32 v54, v38, v44
	s_wait_alu 0xf1ff
	v_cndmask_b32_e64 v37, 0, v53, s0
	v_cmp_ge_i32_e64 s0, v38, v44
	v_add_nc_u32_e32 v26, v18, v38
	v_sub_nc_u32_e32 v33, v20, v7
	v_min_i32_e32 v32, v38, v32
	v_sub_nc_u32_e32 v55, v39, v49
	s_wait_alu 0xf1ff
	v_cndmask_b32_e64 v38, 0, v54, s0
	v_cmp_ge_i32_e64 s0, v39, v49
	v_add_nc_u32_e32 v27, v20, v39
	v_min_i32_e32 v33, v39, v33
	v_subrev_nc_u32_e64 v8, 0x100, v1 clamp
	v_min_i32_e32 v9, 0x100, v1
	s_wait_alu 0xf1ff
	v_cndmask_b32_e64 v39, 0, v55, s0
	v_cmp_lt_i32_e64 s0, v34, v28
	v_cmp_lt_i32_e64 s1, v35, v29
	;; [unrolled: 1-line block ×6, first 2 shown]
	v_add_nc_u32_e32 v40, 0x100, v1
	s_mov_b32 s17, s21
	v_cmp_lt_i32_e32 vcc_lo, v8, v9
	s_wait_loadcnt 0x3
	v_add_nc_u16 v44, v47, 1
	s_wait_loadcnt 0x2
	v_add_nc_u16 v43, v46, 1
	;; [unrolled: 2-line block ×4, first 2 shown]
	s_branch .LBB97_2
.LBB97_1:                               ;   in Loop: Header=BB97_2 Depth=1
	s_or_b32 exec_lo, exec_lo, s9
	s_wait_dscnt 0x0
	s_delay_alu instid0(VALU_DEP_1)
	v_and_b32_e32 v60, 0xff, v57
	v_and_b32_e32 v61, 0xff, v59
	v_cmp_le_i32_e64 s9, 0x100, v56
	v_cmp_gt_i32_e64 s11, 0x200, v55
	v_cndmask_b32_e64 v50, v45, v50, s6
	v_cndmask_b32_e64 v53, v53, v54, s7
	v_cmp_lt_u16_e64 s10, v61, v60
	s_wait_loadcnt 0x0
	s_barrier_signal -1
	s_barrier_wait -1
	global_inv scope:SCOPE_SE
	s_or_b32 s9, s9, s10
	ds_store_b8 v1, v41
	ds_store_b8 v1, v43 offset:1
	ds_store_b8 v1, v44 offset:2
	;; [unrolled: 1-line block ×3, first 2 shown]
	s_wait_alu 0xfffe
	s_and_b32 s9, s11, s9
	s_wait_loadcnt_dscnt 0x0
	s_wait_alu 0xfffe
	v_cndmask_b32_e64 v54, v56, v55, s9
	s_barrier_signal -1
	s_barrier_wait -1
	global_inv scope:SCOPE_SE
	ds_load_u8 v44, v50
	ds_load_u8 v41, v58
	;; [unrolled: 1-line block ×4, first 2 shown]
	v_cndmask_b32_e64 v45, v57, v59, s9
	v_cndmask_b32_e64 v47, v46, v47, s6
	;; [unrolled: 1-line block ×4, first 2 shown]
	s_add_co_i32 s17, s17, 1
	s_delay_alu instid0(SALU_CYCLE_1)
	s_cmp_eq_u32 s17, 10
	s_cbranch_scc1 .LBB97_114
.LBB97_2:                               ; =>This Loop Header: Depth=1
                                        ;     Child Loop BB97_4 Depth 2
                                        ;     Child Loop BB97_20 Depth 2
	;; [unrolled: 1-line block ×7, first 2 shown]
	s_delay_alu instid0(VALU_DEP_1)
	v_perm_b32 v45, v48, v45, 0xc0c0004
	v_perm_b32 v48, v46, v47, 0xc0c0004
	;; [unrolled: 1-line block ×3, first 2 shown]
	v_and_b32_e32 v47, 0xff, v47
	v_and_b32_e32 v46, 0xff, v46
	v_lshlrev_b32_e32 v45, 16, v45
	s_barrier_signal -1
	s_barrier_wait -1
	s_delay_alu instid0(VALU_DEP_2) | instskip(NEXT) | instid1(VALU_DEP_2)
	v_cmp_lt_u16_e64 s6, v46, v47
	v_or_b32_e32 v48, v48, v45
	v_or_b32_e32 v45, v49, v45
	global_inv scope:SCOPE_SE
	s_wait_alu 0xf1ff
	v_cndmask_b32_e64 v45, v45, v48, s6
	s_delay_alu instid0(VALU_DEP_1) | instskip(SKIP_1) | instid1(VALU_DEP_2)
	v_lshrrev_b32_e32 v46, 16, v45
	v_lshrrev_b32_e32 v48, 24, v45
	v_perm_b32 v47, 0, v46, 0xc0c0001
	v_and_b32_e32 v46, 0xff, v46
	s_delay_alu instid0(VALU_DEP_2) | instskip(NEXT) | instid1(VALU_DEP_2)
	v_lshlrev_b32_e32 v47, 16, v47
	v_cmp_lt_u16_e64 s7, v48, v46
	v_min_u16 v46, v48, v46
	s_delay_alu instid0(VALU_DEP_3) | instskip(NEXT) | instid1(VALU_DEP_2)
	v_and_or_b32 v47, 0xffff, v45, v47
	v_lshlrev_b16 v48, 8, v46
	s_wait_alu 0xf1ff
	s_delay_alu instid0(VALU_DEP_2) | instskip(NEXT) | instid1(VALU_DEP_1)
	v_cndmask_b32_e64 v45, v45, v47, s7
	v_lshrrev_b32_e32 v47, 16, v45
	v_lshrrev_b16 v49, 8, v45
	v_and_b32_e32 v50, 0xff, v45
	s_delay_alu instid0(VALU_DEP_3) | instskip(NEXT) | instid1(VALU_DEP_2)
	v_and_b32_e32 v47, 0xffffff00, v47
	v_or_b32_e32 v48, v50, v48
	s_delay_alu instid0(VALU_DEP_2) | instskip(SKIP_1) | instid1(VALU_DEP_3)
	v_or_b32_e32 v47, v49, v47
	v_lshrrev_b32_e32 v49, 8, v45
	v_and_b32_e32 v48, 0xffff, v48
	s_delay_alu instid0(VALU_DEP_3) | instskip(NEXT) | instid1(VALU_DEP_3)
	v_lshlrev_b32_e32 v47, 16, v47
	v_and_b32_e32 v49, 0xff, v49
	s_delay_alu instid0(VALU_DEP_2) | instskip(NEXT) | instid1(VALU_DEP_2)
	v_or_b32_e32 v47, v48, v47
	v_cmp_lt_u16_e64 s8, v46, v49
	v_min_u16 v46, v46, v49
	s_wait_alu 0xf1ff
	s_delay_alu instid0(VALU_DEP_2) | instskip(NEXT) | instid1(VALU_DEP_1)
	v_cndmask_b32_e64 v45, v45, v47, s8
	v_lshlrev_b16 v47, 8, v45
	v_and_b32_e32 v48, 0xff, v45
	s_delay_alu instid0(VALU_DEP_2) | instskip(NEXT) | instid1(VALU_DEP_2)
	v_or_b32_e32 v47, v46, v47
	v_cmp_lt_u16_e64 s10, v46, v48
	s_delay_alu instid0(VALU_DEP_2) | instskip(NEXT) | instid1(VALU_DEP_1)
	v_and_b32_e32 v47, 0xffff, v47
	v_and_or_b32 v47, 0xffff0000, v45, v47
	s_wait_alu 0xf1ff
	s_delay_alu instid0(VALU_DEP_1) | instskip(NEXT) | instid1(VALU_DEP_1)
	v_cndmask_b32_e64 v45, v45, v47, s10
	v_lshrrev_b32_e32 v46, 16, v45
	v_lshrrev_b32_e32 v48, 24, v45
	s_delay_alu instid0(VALU_DEP_2) | instskip(SKIP_1) | instid1(VALU_DEP_2)
	v_perm_b32 v47, 0, v46, 0xc0c0001
	v_and_b32_e32 v46, 0xff, v46
	v_lshlrev_b32_e32 v47, 16, v47
	s_delay_alu instid0(VALU_DEP_2) | instskip(SKIP_1) | instid1(VALU_DEP_3)
	v_cmp_lt_u16_e64 s9, v48, v46
	v_min_u16 v46, v48, v46
	v_and_or_b32 v47, 0xffff, v45, v47
	s_delay_alu instid0(VALU_DEP_2) | instskip(SKIP_1) | instid1(VALU_DEP_2)
	v_lshlrev_b16 v48, 8, v46
	s_wait_alu 0xf1ff
	v_cndmask_b32_e64 v45, v45, v47, s9
	s_delay_alu instid0(VALU_DEP_1) | instskip(SKIP_2) | instid1(VALU_DEP_3)
	v_lshrrev_b32_e32 v47, 16, v45
	v_lshrrev_b16 v49, 8, v45
	v_and_b32_e32 v50, 0xff, v45
	v_and_b32_e32 v47, 0xffffff00, v47
	s_delay_alu instid0(VALU_DEP_2) | instskip(NEXT) | instid1(VALU_DEP_2)
	v_or_b32_e32 v48, v50, v48
	v_or_b32_e32 v47, v49, v47
	v_lshrrev_b32_e32 v49, 8, v45
	s_delay_alu instid0(VALU_DEP_3) | instskip(NEXT) | instid1(VALU_DEP_3)
	v_and_b32_e32 v48, 0xffff, v48
	v_lshlrev_b32_e32 v47, 16, v47
	s_delay_alu instid0(VALU_DEP_3) | instskip(NEXT) | instid1(VALU_DEP_2)
	v_and_b32_e32 v49, 0xff, v49
	v_or_b32_e32 v47, v48, v47
	s_delay_alu instid0(VALU_DEP_2) | instskip(SKIP_1) | instid1(VALU_DEP_1)
	v_cmp_lt_u16_e64 s11, v46, v49
	s_wait_alu 0xf1ff
	v_cndmask_b32_e64 v46, v45, v47, s11
	v_mov_b32_e32 v45, v34
	ds_store_b32 v1, v46
	s_wait_loadcnt_dscnt 0x0
	s_barrier_signal -1
	s_barrier_wait -1
	global_inv scope:SCOPE_SE
	s_and_saveexec_b32 s13, s0
	s_cbranch_execz .LBB97_6
; %bb.3:                                ;   in Loop: Header=BB97_2 Depth=1
	v_dual_mov_b32 v45, v34 :: v_dual_mov_b32 v46, v28
	s_mov_b32 s14, 0
.LBB97_4:                               ;   Parent Loop BB97_2 Depth=1
                                        ; =>  This Inner Loop Header: Depth=2
	s_delay_alu instid0(VALU_DEP_1) | instskip(NEXT) | instid1(VALU_DEP_1)
	v_sub_nc_u32_e32 v47, v46, v45
	v_lshrrev_b32_e32 v47, 1, v47
	s_delay_alu instid0(VALU_DEP_1) | instskip(NEXT) | instid1(VALU_DEP_1)
	v_add_nc_u32_e32 v47, v47, v45
	v_add_nc_u32_e32 v48, v2, v47
	v_xad_u32 v49, v47, -1, v22
	v_add_nc_u32_e32 v50, 1, v47
	ds_load_u8 v48, v48
	ds_load_u8 v49, v49
	s_wait_dscnt 0x0
	v_cmp_lt_u16_e64 s12, v49, v48
	s_wait_alu 0xf1ff
	s_delay_alu instid0(VALU_DEP_1) | instskip(SKIP_1) | instid1(VALU_DEP_1)
	v_cndmask_b32_e64 v46, v46, v47, s12
	v_cndmask_b32_e64 v45, v50, v45, s12
	v_cmp_ge_i32_e64 s12, v45, v46
	s_wait_alu 0xfffe
	s_or_b32 s14, s12, s14
	s_wait_alu 0xfffe
	s_and_not1_b32 exec_lo, exec_lo, s14
	s_cbranch_execnz .LBB97_4
; %bb.5:                                ;   in Loop: Header=BB97_2 Depth=1
	s_or_b32 exec_lo, exec_lo, s14
.LBB97_6:                               ;   in Loop: Header=BB97_2 Depth=1
	s_wait_alu 0xfffe
	s_or_b32 exec_lo, exec_lo, s13
	v_add_nc_u32_e32 v49, v45, v2
	v_sub_nc_u32_e32 v50, v22, v45
	ds_load_u8 v45, v49
	ds_load_u8 v46, v50
	v_cmp_le_i32_e64 s12, v10, v49
	v_cmp_gt_i32_e64 s14, v11, v50
	s_wait_dscnt 0x1
	v_and_b32_e32 v47, 0xff, v45
	s_wait_dscnt 0x0
	v_and_b32_e32 v48, 0xff, v46
	s_delay_alu instid0(VALU_DEP_1)
	v_cmp_lt_u16_e64 s13, v48, v47
                                        ; implicit-def: $vgpr47
	s_or_b32 s12, s12, s13
	s_wait_alu 0xfffe
	s_and_b32 s12, s14, s12
	s_wait_alu 0xfffe
	s_xor_b32 s13, s12, -1
	s_wait_alu 0xfffe
	s_and_saveexec_b32 s14, s13
	s_wait_alu 0xfffe
	s_xor_b32 s13, exec_lo, s14
; %bb.7:                                ;   in Loop: Header=BB97_2 Depth=1
	ds_load_u8 v47, v49 offset:1
; %bb.8:                                ;   in Loop: Header=BB97_2 Depth=1
	s_wait_alu 0xfffe
	s_or_saveexec_b32 s13, s13
	v_mov_b32_e32 v48, v46
	s_wait_alu 0xfffe
	s_xor_b32 exec_lo, exec_lo, s13
	s_cbranch_execz .LBB97_10
; %bb.9:                                ;   in Loop: Header=BB97_2 Depth=1
	ds_load_u8 v48, v50 offset:1
	s_wait_dscnt 0x1
	v_mov_b32_e32 v47, v45
.LBB97_10:                              ;   in Loop: Header=BB97_2 Depth=1
	s_or_b32 exec_lo, exec_lo, s13
	v_add_nc_u32_e32 v51, 1, v49
	v_add_nc_u32_e32 v52, 1, v50
	s_wait_dscnt 0x0
	v_and_b32_e32 v55, 0xff, v47
	s_delay_alu instid0(VALU_DEP_3) | instskip(SKIP_2) | instid1(VALU_DEP_3)
	v_cndmask_b32_e64 v53, v51, v49, s12
	v_and_b32_e32 v51, 0xff, v48
	v_cndmask_b32_e64 v54, v50, v52, s12
	v_cmp_ge_i32_e64 s13, v53, v10
	s_delay_alu instid0(VALU_DEP_3) | instskip(NEXT) | instid1(VALU_DEP_3)
	v_cmp_lt_u16_e64 s14, v51, v55
	v_cmp_lt_i32_e64 s15, v54, v11
                                        ; implicit-def: $vgpr51
	s_or_b32 s13, s13, s14
	s_wait_alu 0xfffe
	s_and_b32 s13, s15, s13
	s_wait_alu 0xfffe
	s_xor_b32 s14, s13, -1
	s_wait_alu 0xfffe
	s_and_saveexec_b32 s15, s14
	s_wait_alu 0xfffe
	s_xor_b32 s14, exec_lo, s15
; %bb.11:                               ;   in Loop: Header=BB97_2 Depth=1
	ds_load_u8 v51, v53 offset:1
; %bb.12:                               ;   in Loop: Header=BB97_2 Depth=1
	s_wait_alu 0xfffe
	s_or_saveexec_b32 s14, s14
	v_mov_b32_e32 v52, v48
	s_wait_alu 0xfffe
	s_xor_b32 exec_lo, exec_lo, s14
	s_cbranch_execz .LBB97_14
; %bb.13:                               ;   in Loop: Header=BB97_2 Depth=1
	ds_load_u8 v52, v54 offset:1
	s_wait_dscnt 0x1
	v_mov_b32_e32 v51, v47
.LBB97_14:                              ;   in Loop: Header=BB97_2 Depth=1
	s_or_b32 exec_lo, exec_lo, s14
	v_add_nc_u32_e32 v55, 1, v53
	v_add_nc_u32_e32 v56, 1, v54
	s_wait_dscnt 0x0
	v_and_b32_e32 v58, 0xff, v51
	s_delay_alu instid0(VALU_DEP_3) | instskip(SKIP_2) | instid1(VALU_DEP_3)
	v_cndmask_b32_e64 v57, v55, v53, s13
	v_and_b32_e32 v55, 0xff, v52
	v_cndmask_b32_e64 v56, v54, v56, s13
	v_cmp_ge_i32_e64 s14, v57, v10
	s_delay_alu instid0(VALU_DEP_3) | instskip(NEXT) | instid1(VALU_DEP_3)
	v_cmp_lt_u16_e64 s15, v55, v58
	v_cmp_lt_i32_e64 s16, v56, v11
                                        ; implicit-def: $vgpr55
	s_or_b32 s14, s14, s15
	s_wait_alu 0xfffe
	s_and_b32 s14, s16, s14
	s_wait_alu 0xfffe
	s_xor_b32 s15, s14, -1
	s_wait_alu 0xfffe
	s_and_saveexec_b32 s16, s15
	s_delay_alu instid0(SALU_CYCLE_1)
	s_xor_b32 s15, exec_lo, s16
; %bb.15:                               ;   in Loop: Header=BB97_2 Depth=1
	ds_load_u8 v55, v57 offset:1
; %bb.16:                               ;   in Loop: Header=BB97_2 Depth=1
	s_wait_alu 0xfffe
	s_or_saveexec_b32 s15, s15
	v_mov_b32_e32 v58, v52
	s_wait_alu 0xfffe
	s_xor_b32 exec_lo, exec_lo, s15
	s_cbranch_execz .LBB97_18
; %bb.17:                               ;   in Loop: Header=BB97_2 Depth=1
	ds_load_u8 v58, v56 offset:1
	s_wait_dscnt 0x1
	v_mov_b32_e32 v55, v51
.LBB97_18:                              ;   in Loop: Header=BB97_2 Depth=1
	s_or_b32 exec_lo, exec_lo, s15
	v_perm_b32 v59, v43, v44, 0xc0c0004
	v_perm_b32 v43, v44, v43, 0xc0c0004
	;; [unrolled: 1-line block ×3, first 2 shown]
	v_add_nc_u32_e32 v44, 1, v57
	v_cndmask_b32_e64 v53, v53, v54, s13
	v_cndmask_b32_e64 v49, v49, v50, s12
	;; [unrolled: 1-line block ×3, first 2 shown]
	v_perm_b32 v43, 0, v41, 0xc0c0001
	s_wait_dscnt 0x0
	v_and_b32_e32 v50, 0xff, v55
	v_and_b32_e32 v54, 0xff, v58
	v_cndmask_b32_e64 v44, v44, v57, s14
	v_lshl_or_b32 v41, v41, 16, v42
	v_lshlrev_b32_e32 v42, 16, v43
	v_add_nc_u32_e32 v43, 1, v56
	v_cmp_lt_u16_e64 s6, v54, v50
	v_cndmask_b32_e64 v59, v57, v56, s14
	s_wait_loadcnt 0x0
	v_and_or_b32 v42, 0xffff, v41, v42
	s_barrier_signal -1
	s_barrier_wait -1
	global_inv scope:SCOPE_SE
	v_cndmask_b32_e64 v45, v45, v46, s12
	v_cndmask_b32_e64 v41, v41, v42, s7
	v_cmp_ge_i32_e64 s7, v44, v10
	v_cndmask_b32_e64 v47, v47, v48, s13
	s_delay_alu instid0(VALU_DEP_3) | instskip(SKIP_1) | instid1(VALU_DEP_1)
	v_perm_b32 v42, v41, v41, 0x7050604
	s_or_b32 s6, s7, s6
	v_cndmask_b32_e64 v41, v41, v42, s8
	s_delay_alu instid0(VALU_DEP_1) | instskip(NEXT) | instid1(VALU_DEP_1)
	v_perm_b32 v42, 0, v41, 0xc0c0001
	v_and_or_b32 v42, 0xffff0000, v41, v42
	s_delay_alu instid0(VALU_DEP_1) | instskip(NEXT) | instid1(VALU_DEP_1)
	v_cndmask_b32_e64 v41, v41, v42, s10
	v_lshrrev_b32_e32 v42, 16, v41
	s_delay_alu instid0(VALU_DEP_1) | instskip(NEXT) | instid1(VALU_DEP_1)
	v_perm_b32 v42, 0, v42, 0xc0c0001
	v_lshlrev_b32_e32 v42, 16, v42
	s_delay_alu instid0(VALU_DEP_1) | instskip(NEXT) | instid1(VALU_DEP_1)
	v_and_or_b32 v42, 0xffff, v41, v42
	v_cndmask_b32_e64 v41, v41, v42, s9
	v_cndmask_b32_e64 v42, v56, v43, s14
	s_delay_alu instid0(VALU_DEP_2) | instskip(NEXT) | instid1(VALU_DEP_2)
	v_perm_b32 v43, v41, v41, 0x7050604
	v_cmp_lt_i32_e64 s8, v42, v11
	s_delay_alu instid0(VALU_DEP_2)
	v_cndmask_b32_e64 v41, v41, v43, s11
	s_wait_alu 0xfffe
	s_and_b32 s6, s8, s6
	s_wait_alu 0xfffe
	v_cndmask_b32_e64 v42, v44, v42, s6
	v_cndmask_b32_e64 v50, v55, v58, s6
	ds_store_b32 v1, v41
	s_wait_loadcnt_dscnt 0x0
	s_barrier_signal -1
	s_barrier_wait -1
	global_inv scope:SCOPE_SE
	ds_load_u8 v41, v49
	ds_load_u8 v42, v42
	;; [unrolled: 1-line block ×4, first 2 shown]
	v_cndmask_b32_e64 v49, v51, v52, s14
	s_wait_loadcnt_dscnt 0x0
	s_barrier_signal -1
	s_barrier_wait -1
	global_inv scope:SCOPE_SE
	ds_store_b8 v1, v45
	ds_store_b8 v1, v47 offset:1
	ds_store_b8 v1, v49 offset:2
	;; [unrolled: 1-line block ×3, first 2 shown]
	v_mov_b32_e32 v45, v35
	s_wait_loadcnt_dscnt 0x0
	s_barrier_signal -1
	s_barrier_wait -1
	global_inv scope:SCOPE_SE
	s_and_saveexec_b32 s7, s1
	s_cbranch_execz .LBB97_22
; %bb.19:                               ;   in Loop: Header=BB97_2 Depth=1
	v_dual_mov_b32 v45, v35 :: v_dual_mov_b32 v46, v29
	s_mov_b32 s8, 0
.LBB97_20:                              ;   Parent Loop BB97_2 Depth=1
                                        ; =>  This Inner Loop Header: Depth=2
	s_delay_alu instid0(VALU_DEP_1) | instskip(NEXT) | instid1(VALU_DEP_1)
	v_sub_nc_u32_e32 v47, v46, v45
	v_lshrrev_b32_e32 v47, 1, v47
	s_delay_alu instid0(VALU_DEP_1) | instskip(NEXT) | instid1(VALU_DEP_1)
	v_add_nc_u32_e32 v47, v47, v45
	v_add_nc_u32_e32 v48, v3, v47
	v_xad_u32 v49, v47, -1, v23
	v_add_nc_u32_e32 v50, 1, v47
	ds_load_u8 v48, v48
	ds_load_u8 v49, v49
	s_wait_dscnt 0x0
	v_cmp_lt_u16_e64 s6, v49, v48
	s_wait_alu 0xf1ff
	s_delay_alu instid0(VALU_DEP_1) | instskip(SKIP_1) | instid1(VALU_DEP_1)
	v_cndmask_b32_e64 v46, v46, v47, s6
	v_cndmask_b32_e64 v45, v50, v45, s6
	v_cmp_ge_i32_e64 s6, v45, v46
	s_wait_alu 0xfffe
	s_or_b32 s8, s6, s8
	s_wait_alu 0xfffe
	s_and_not1_b32 exec_lo, exec_lo, s8
	s_cbranch_execnz .LBB97_20
; %bb.21:                               ;   in Loop: Header=BB97_2 Depth=1
	s_or_b32 exec_lo, exec_lo, s8
.LBB97_22:                              ;   in Loop: Header=BB97_2 Depth=1
	s_wait_alu 0xfffe
	s_or_b32 exec_lo, exec_lo, s7
	v_add_nc_u32_e32 v48, v45, v3
	v_sub_nc_u32_e32 v50, v23, v45
	ds_load_u8 v45, v48
	ds_load_u8 v46, v50
	v_cmp_le_i32_e64 s6, v12, v48
	v_cmp_gt_i32_e64 s8, v13, v50
	s_wait_dscnt 0x1
	v_and_b32_e32 v47, 0xff, v45
	s_wait_dscnt 0x0
	v_and_b32_e32 v49, 0xff, v46
	s_delay_alu instid0(VALU_DEP_1)
	v_cmp_lt_u16_e64 s7, v49, v47
                                        ; implicit-def: $vgpr47
	s_or_b32 s6, s6, s7
	s_wait_alu 0xfffe
	s_and_b32 s6, s8, s6
	s_wait_alu 0xfffe
	s_xor_b32 s7, s6, -1
	s_wait_alu 0xfffe
	s_and_saveexec_b32 s8, s7
	s_wait_alu 0xfffe
	s_xor_b32 s7, exec_lo, s8
; %bb.23:                               ;   in Loop: Header=BB97_2 Depth=1
	ds_load_u8 v47, v48 offset:1
; %bb.24:                               ;   in Loop: Header=BB97_2 Depth=1
	s_wait_alu 0xfffe
	s_or_saveexec_b32 s7, s7
	v_mov_b32_e32 v49, v46
	s_wait_alu 0xfffe
	s_xor_b32 exec_lo, exec_lo, s7
	s_cbranch_execz .LBB97_26
; %bb.25:                               ;   in Loop: Header=BB97_2 Depth=1
	ds_load_u8 v49, v50 offset:1
	s_wait_dscnt 0x1
	v_mov_b32_e32 v47, v45
.LBB97_26:                              ;   in Loop: Header=BB97_2 Depth=1
	s_or_b32 exec_lo, exec_lo, s7
	v_add_nc_u32_e32 v51, 1, v48
	v_add_nc_u32_e32 v52, 1, v50
	s_wait_dscnt 0x0
	v_and_b32_e32 v55, 0xff, v47
	s_delay_alu instid0(VALU_DEP_3) | instskip(SKIP_2) | instid1(VALU_DEP_3)
	v_cndmask_b32_e64 v53, v51, v48, s6
	v_and_b32_e32 v51, 0xff, v49
	v_cndmask_b32_e64 v54, v50, v52, s6
	v_cmp_ge_i32_e64 s7, v53, v12
	s_delay_alu instid0(VALU_DEP_3) | instskip(NEXT) | instid1(VALU_DEP_3)
	v_cmp_lt_u16_e64 s8, v51, v55
	v_cmp_lt_i32_e64 s9, v54, v13
                                        ; implicit-def: $vgpr51
	s_or_b32 s7, s7, s8
	s_wait_alu 0xfffe
	s_and_b32 s7, s9, s7
	s_wait_alu 0xfffe
	s_xor_b32 s8, s7, -1
	s_wait_alu 0xfffe
	s_and_saveexec_b32 s9, s8
	s_wait_alu 0xfffe
	s_xor_b32 s8, exec_lo, s9
; %bb.27:                               ;   in Loop: Header=BB97_2 Depth=1
	ds_load_u8 v51, v53 offset:1
; %bb.28:                               ;   in Loop: Header=BB97_2 Depth=1
	s_wait_alu 0xfffe
	s_or_saveexec_b32 s8, s8
	v_mov_b32_e32 v52, v49
	s_wait_alu 0xfffe
	s_xor_b32 exec_lo, exec_lo, s8
	s_cbranch_execz .LBB97_30
; %bb.29:                               ;   in Loop: Header=BB97_2 Depth=1
	ds_load_u8 v52, v54 offset:1
	s_wait_dscnt 0x1
	v_mov_b32_e32 v51, v47
.LBB97_30:                              ;   in Loop: Header=BB97_2 Depth=1
	s_or_b32 exec_lo, exec_lo, s8
	v_add_nc_u32_e32 v55, 1, v53
	v_add_nc_u32_e32 v56, 1, v54
	s_wait_dscnt 0x0
	v_and_b32_e32 v58, 0xff, v51
	s_delay_alu instid0(VALU_DEP_3) | instskip(SKIP_2) | instid1(VALU_DEP_3)
	v_cndmask_b32_e64 v57, v55, v53, s7
	v_and_b32_e32 v55, 0xff, v52
	v_cndmask_b32_e64 v56, v54, v56, s7
	v_cmp_ge_i32_e64 s8, v57, v12
	s_delay_alu instid0(VALU_DEP_3) | instskip(NEXT) | instid1(VALU_DEP_3)
	v_cmp_lt_u16_e64 s9, v55, v58
	v_cmp_lt_i32_e64 s10, v56, v13
                                        ; implicit-def: $vgpr55
	s_or_b32 s8, s8, s9
	s_wait_alu 0xfffe
	s_and_b32 s8, s10, s8
	s_wait_alu 0xfffe
	s_xor_b32 s9, s8, -1
	s_wait_alu 0xfffe
	s_and_saveexec_b32 s10, s9
	s_wait_alu 0xfffe
	s_xor_b32 s9, exec_lo, s10
; %bb.31:                               ;   in Loop: Header=BB97_2 Depth=1
	ds_load_u8 v55, v57 offset:1
; %bb.32:                               ;   in Loop: Header=BB97_2 Depth=1
	s_wait_alu 0xfffe
	s_or_saveexec_b32 s9, s9
	v_mov_b32_e32 v58, v52
	s_wait_alu 0xfffe
	s_xor_b32 exec_lo, exec_lo, s9
	s_cbranch_execz .LBB97_34
; %bb.33:                               ;   in Loop: Header=BB97_2 Depth=1
	ds_load_u8 v58, v56 offset:1
	s_wait_dscnt 0x1
	v_mov_b32_e32 v55, v51
.LBB97_34:                              ;   in Loop: Header=BB97_2 Depth=1
	s_or_b32 exec_lo, exec_lo, s9
	v_add_nc_u32_e32 v59, 1, v57
	v_add_nc_u32_e32 v60, 1, v56
	v_cndmask_b32_e64 v61, v57, v56, s8
	s_wait_dscnt 0x0
	v_and_b32_e32 v62, 0xff, v55
	v_and_b32_e32 v63, 0xff, v58
	v_cndmask_b32_e64 v57, v59, v57, s8
	v_cndmask_b32_e64 v53, v53, v54, s7
	;; [unrolled: 1-line block ×4, first 2 shown]
	v_cmp_lt_u16_e64 s9, v63, v62
	v_cmp_ge_i32_e64 s10, v57, v12
	s_wait_loadcnt 0x0
	v_cmp_lt_i32_e64 s11, v54, v13
	s_barrier_signal -1
	s_barrier_wait -1
	s_or_b32 s9, s10, s9
	global_inv scope:SCOPE_SE
	s_wait_alu 0xfffe
	s_and_b32 s9, s11, s9
	ds_store_b8 v1, v41
	ds_store_b8 v1, v43 offset:1
	ds_store_b8 v1, v44 offset:2
	ds_store_b8 v1, v42 offset:3
	s_wait_alu 0xfffe
	v_cndmask_b32_e64 v54, v57, v54, s9
	s_wait_loadcnt_dscnt 0x0
	s_barrier_signal -1
	s_barrier_wait -1
	global_inv scope:SCOPE_SE
	ds_load_u8 v41, v48
	ds_load_u8 v42, v54
	;; [unrolled: 1-line block ×4, first 2 shown]
	v_cndmask_b32_e64 v45, v45, v46, s6
	v_cndmask_b32_e64 v47, v47, v49, s7
	;; [unrolled: 1-line block ×4, first 2 shown]
	s_wait_loadcnt_dscnt 0x0
	s_barrier_signal -1
	s_barrier_wait -1
	global_inv scope:SCOPE_SE
	ds_store_b8 v1, v45
	ds_store_b8 v1, v47 offset:1
	ds_store_b8 v1, v48 offset:2
	;; [unrolled: 1-line block ×3, first 2 shown]
	v_mov_b32_e32 v45, v36
	s_wait_loadcnt_dscnt 0x0
	s_barrier_signal -1
	s_barrier_wait -1
	global_inv scope:SCOPE_SE
	s_and_saveexec_b32 s7, s2
	s_cbranch_execz .LBB97_38
; %bb.35:                               ;   in Loop: Header=BB97_2 Depth=1
	v_dual_mov_b32 v45, v36 :: v_dual_mov_b32 v46, v30
	s_mov_b32 s8, 0
.LBB97_36:                              ;   Parent Loop BB97_2 Depth=1
                                        ; =>  This Inner Loop Header: Depth=2
	s_delay_alu instid0(VALU_DEP_1) | instskip(NEXT) | instid1(VALU_DEP_1)
	v_sub_nc_u32_e32 v47, v46, v45
	v_lshrrev_b32_e32 v47, 1, v47
	s_delay_alu instid0(VALU_DEP_1) | instskip(NEXT) | instid1(VALU_DEP_1)
	v_add_nc_u32_e32 v47, v47, v45
	v_add_nc_u32_e32 v48, v4, v47
	v_xad_u32 v49, v47, -1, v24
	v_add_nc_u32_e32 v50, 1, v47
	ds_load_u8 v48, v48
	ds_load_u8 v49, v49
	s_wait_dscnt 0x0
	v_cmp_lt_u16_e64 s6, v49, v48
	s_wait_alu 0xf1ff
	s_delay_alu instid0(VALU_DEP_1) | instskip(SKIP_1) | instid1(VALU_DEP_1)
	v_cndmask_b32_e64 v46, v46, v47, s6
	v_cndmask_b32_e64 v45, v50, v45, s6
	v_cmp_ge_i32_e64 s6, v45, v46
	s_wait_alu 0xfffe
	s_or_b32 s8, s6, s8
	s_wait_alu 0xfffe
	s_and_not1_b32 exec_lo, exec_lo, s8
	s_cbranch_execnz .LBB97_36
; %bb.37:                               ;   in Loop: Header=BB97_2 Depth=1
	s_or_b32 exec_lo, exec_lo, s8
.LBB97_38:                              ;   in Loop: Header=BB97_2 Depth=1
	s_wait_alu 0xfffe
	s_or_b32 exec_lo, exec_lo, s7
	v_add_nc_u32_e32 v48, v45, v4
	v_sub_nc_u32_e32 v50, v24, v45
	ds_load_u8 v45, v48
	ds_load_u8 v46, v50
	v_cmp_le_i32_e64 s6, v14, v48
	v_cmp_gt_i32_e64 s8, v15, v50
	s_wait_dscnt 0x1
	v_and_b32_e32 v47, 0xff, v45
	s_wait_dscnt 0x0
	v_and_b32_e32 v49, 0xff, v46
	s_delay_alu instid0(VALU_DEP_1)
	v_cmp_lt_u16_e64 s7, v49, v47
                                        ; implicit-def: $vgpr47
	s_or_b32 s6, s6, s7
	s_wait_alu 0xfffe
	s_and_b32 s6, s8, s6
	s_wait_alu 0xfffe
	s_xor_b32 s7, s6, -1
	s_wait_alu 0xfffe
	s_and_saveexec_b32 s8, s7
	s_wait_alu 0xfffe
	s_xor_b32 s7, exec_lo, s8
; %bb.39:                               ;   in Loop: Header=BB97_2 Depth=1
	ds_load_u8 v47, v48 offset:1
; %bb.40:                               ;   in Loop: Header=BB97_2 Depth=1
	s_wait_alu 0xfffe
	s_or_saveexec_b32 s7, s7
	v_mov_b32_e32 v49, v46
	s_wait_alu 0xfffe
	s_xor_b32 exec_lo, exec_lo, s7
	s_cbranch_execz .LBB97_42
; %bb.41:                               ;   in Loop: Header=BB97_2 Depth=1
	ds_load_u8 v49, v50 offset:1
	s_wait_dscnt 0x1
	v_mov_b32_e32 v47, v45
.LBB97_42:                              ;   in Loop: Header=BB97_2 Depth=1
	s_or_b32 exec_lo, exec_lo, s7
	v_add_nc_u32_e32 v51, 1, v48
	v_add_nc_u32_e32 v52, 1, v50
	s_wait_dscnt 0x0
	v_and_b32_e32 v55, 0xff, v47
	s_delay_alu instid0(VALU_DEP_3) | instskip(SKIP_2) | instid1(VALU_DEP_3)
	v_cndmask_b32_e64 v53, v51, v48, s6
	v_and_b32_e32 v51, 0xff, v49
	v_cndmask_b32_e64 v54, v50, v52, s6
	v_cmp_ge_i32_e64 s7, v53, v14
	s_delay_alu instid0(VALU_DEP_3) | instskip(NEXT) | instid1(VALU_DEP_3)
	v_cmp_lt_u16_e64 s8, v51, v55
	v_cmp_lt_i32_e64 s9, v54, v15
                                        ; implicit-def: $vgpr51
	s_or_b32 s7, s7, s8
	s_wait_alu 0xfffe
	s_and_b32 s7, s9, s7
	s_wait_alu 0xfffe
	s_xor_b32 s8, s7, -1
	s_wait_alu 0xfffe
	s_and_saveexec_b32 s9, s8
	s_wait_alu 0xfffe
	s_xor_b32 s8, exec_lo, s9
; %bb.43:                               ;   in Loop: Header=BB97_2 Depth=1
	ds_load_u8 v51, v53 offset:1
; %bb.44:                               ;   in Loop: Header=BB97_2 Depth=1
	s_wait_alu 0xfffe
	s_or_saveexec_b32 s8, s8
	v_mov_b32_e32 v52, v49
	s_wait_alu 0xfffe
	s_xor_b32 exec_lo, exec_lo, s8
	s_cbranch_execz .LBB97_46
; %bb.45:                               ;   in Loop: Header=BB97_2 Depth=1
	ds_load_u8 v52, v54 offset:1
	s_wait_dscnt 0x1
	v_mov_b32_e32 v51, v47
.LBB97_46:                              ;   in Loop: Header=BB97_2 Depth=1
	s_or_b32 exec_lo, exec_lo, s8
	v_add_nc_u32_e32 v55, 1, v53
	v_add_nc_u32_e32 v56, 1, v54
	s_wait_dscnt 0x0
	v_and_b32_e32 v58, 0xff, v51
	s_delay_alu instid0(VALU_DEP_3) | instskip(SKIP_2) | instid1(VALU_DEP_3)
	v_cndmask_b32_e64 v57, v55, v53, s7
	v_and_b32_e32 v55, 0xff, v52
	v_cndmask_b32_e64 v56, v54, v56, s7
	v_cmp_ge_i32_e64 s8, v57, v14
	s_delay_alu instid0(VALU_DEP_3) | instskip(NEXT) | instid1(VALU_DEP_3)
	v_cmp_lt_u16_e64 s9, v55, v58
	v_cmp_lt_i32_e64 s10, v56, v15
                                        ; implicit-def: $vgpr55
	s_or_b32 s8, s8, s9
	s_wait_alu 0xfffe
	s_and_b32 s8, s10, s8
	s_wait_alu 0xfffe
	s_xor_b32 s9, s8, -1
	s_wait_alu 0xfffe
	s_and_saveexec_b32 s10, s9
	s_wait_alu 0xfffe
	s_xor_b32 s9, exec_lo, s10
; %bb.47:                               ;   in Loop: Header=BB97_2 Depth=1
	ds_load_u8 v55, v57 offset:1
; %bb.48:                               ;   in Loop: Header=BB97_2 Depth=1
	s_wait_alu 0xfffe
	s_or_saveexec_b32 s9, s9
	v_mov_b32_e32 v58, v52
	s_wait_alu 0xfffe
	s_xor_b32 exec_lo, exec_lo, s9
	s_cbranch_execz .LBB97_50
; %bb.49:                               ;   in Loop: Header=BB97_2 Depth=1
	ds_load_u8 v58, v56 offset:1
	s_wait_dscnt 0x1
	v_mov_b32_e32 v55, v51
.LBB97_50:                              ;   in Loop: Header=BB97_2 Depth=1
	s_or_b32 exec_lo, exec_lo, s9
	v_add_nc_u32_e32 v59, 1, v57
	v_add_nc_u32_e32 v60, 1, v56
	v_cndmask_b32_e64 v61, v57, v56, s8
	s_wait_dscnt 0x0
	v_and_b32_e32 v62, 0xff, v55
	v_and_b32_e32 v63, 0xff, v58
	v_cndmask_b32_e64 v57, v59, v57, s8
	v_cndmask_b32_e64 v53, v53, v54, s7
	;; [unrolled: 1-line block ×4, first 2 shown]
	v_cmp_lt_u16_e64 s9, v63, v62
	v_cmp_ge_i32_e64 s10, v57, v14
	s_wait_loadcnt 0x0
	v_cmp_lt_i32_e64 s11, v54, v15
	s_barrier_signal -1
	s_barrier_wait -1
	s_or_b32 s9, s10, s9
	global_inv scope:SCOPE_SE
	s_wait_alu 0xfffe
	s_and_b32 s9, s11, s9
	ds_store_b8 v1, v41
	ds_store_b8 v1, v43 offset:1
	ds_store_b8 v1, v44 offset:2
	;; [unrolled: 1-line block ×3, first 2 shown]
	s_wait_alu 0xfffe
	v_cndmask_b32_e64 v54, v57, v54, s9
	s_wait_loadcnt_dscnt 0x0
	s_barrier_signal -1
	s_barrier_wait -1
	global_inv scope:SCOPE_SE
	ds_load_u8 v41, v48
	ds_load_u8 v42, v54
	;; [unrolled: 1-line block ×4, first 2 shown]
	v_cndmask_b32_e64 v45, v45, v46, s6
	v_cndmask_b32_e64 v47, v47, v49, s7
	;; [unrolled: 1-line block ×4, first 2 shown]
	s_wait_loadcnt_dscnt 0x0
	s_barrier_signal -1
	s_barrier_wait -1
	global_inv scope:SCOPE_SE
	ds_store_b8 v1, v45
	ds_store_b8 v1, v47 offset:1
	ds_store_b8 v1, v48 offset:2
	;; [unrolled: 1-line block ×3, first 2 shown]
	v_mov_b32_e32 v45, v37
	s_wait_loadcnt_dscnt 0x0
	s_barrier_signal -1
	s_barrier_wait -1
	global_inv scope:SCOPE_SE
	s_and_saveexec_b32 s7, s3
	s_cbranch_execz .LBB97_54
; %bb.51:                               ;   in Loop: Header=BB97_2 Depth=1
	v_dual_mov_b32 v45, v37 :: v_dual_mov_b32 v46, v31
	s_mov_b32 s8, 0
.LBB97_52:                              ;   Parent Loop BB97_2 Depth=1
                                        ; =>  This Inner Loop Header: Depth=2
	s_delay_alu instid0(VALU_DEP_1) | instskip(NEXT) | instid1(VALU_DEP_1)
	v_sub_nc_u32_e32 v47, v46, v45
	v_lshrrev_b32_e32 v47, 1, v47
	s_delay_alu instid0(VALU_DEP_1) | instskip(NEXT) | instid1(VALU_DEP_1)
	v_add_nc_u32_e32 v47, v47, v45
	v_add_nc_u32_e32 v48, v5, v47
	v_xad_u32 v49, v47, -1, v25
	v_add_nc_u32_e32 v50, 1, v47
	ds_load_u8 v48, v48
	ds_load_u8 v49, v49
	s_wait_dscnt 0x0
	v_cmp_lt_u16_e64 s6, v49, v48
	s_wait_alu 0xf1ff
	s_delay_alu instid0(VALU_DEP_1) | instskip(SKIP_1) | instid1(VALU_DEP_1)
	v_cndmask_b32_e64 v46, v46, v47, s6
	v_cndmask_b32_e64 v45, v50, v45, s6
	v_cmp_ge_i32_e64 s6, v45, v46
	s_wait_alu 0xfffe
	s_or_b32 s8, s6, s8
	s_wait_alu 0xfffe
	s_and_not1_b32 exec_lo, exec_lo, s8
	s_cbranch_execnz .LBB97_52
; %bb.53:                               ;   in Loop: Header=BB97_2 Depth=1
	s_or_b32 exec_lo, exec_lo, s8
.LBB97_54:                              ;   in Loop: Header=BB97_2 Depth=1
	s_wait_alu 0xfffe
	s_or_b32 exec_lo, exec_lo, s7
	v_add_nc_u32_e32 v48, v45, v5
	v_sub_nc_u32_e32 v50, v25, v45
	ds_load_u8 v45, v48
	ds_load_u8 v46, v50
	v_cmp_le_i32_e64 s6, v16, v48
	v_cmp_gt_i32_e64 s8, v17, v50
	s_wait_dscnt 0x1
	v_and_b32_e32 v47, 0xff, v45
	s_wait_dscnt 0x0
	v_and_b32_e32 v49, 0xff, v46
	s_delay_alu instid0(VALU_DEP_1)
	v_cmp_lt_u16_e64 s7, v49, v47
                                        ; implicit-def: $vgpr47
	s_or_b32 s6, s6, s7
	s_wait_alu 0xfffe
	s_and_b32 s6, s8, s6
	s_wait_alu 0xfffe
	s_xor_b32 s7, s6, -1
	s_wait_alu 0xfffe
	s_and_saveexec_b32 s8, s7
	s_wait_alu 0xfffe
	s_xor_b32 s7, exec_lo, s8
; %bb.55:                               ;   in Loop: Header=BB97_2 Depth=1
	ds_load_u8 v47, v48 offset:1
; %bb.56:                               ;   in Loop: Header=BB97_2 Depth=1
	s_wait_alu 0xfffe
	s_or_saveexec_b32 s7, s7
	v_mov_b32_e32 v49, v46
	s_wait_alu 0xfffe
	s_xor_b32 exec_lo, exec_lo, s7
	s_cbranch_execz .LBB97_58
; %bb.57:                               ;   in Loop: Header=BB97_2 Depth=1
	ds_load_u8 v49, v50 offset:1
	s_wait_dscnt 0x1
	v_mov_b32_e32 v47, v45
.LBB97_58:                              ;   in Loop: Header=BB97_2 Depth=1
	s_or_b32 exec_lo, exec_lo, s7
	v_add_nc_u32_e32 v51, 1, v48
	v_add_nc_u32_e32 v52, 1, v50
	s_wait_dscnt 0x0
	v_and_b32_e32 v55, 0xff, v47
	s_delay_alu instid0(VALU_DEP_3) | instskip(SKIP_2) | instid1(VALU_DEP_3)
	v_cndmask_b32_e64 v53, v51, v48, s6
	v_and_b32_e32 v51, 0xff, v49
	v_cndmask_b32_e64 v54, v50, v52, s6
	v_cmp_ge_i32_e64 s7, v53, v16
	s_delay_alu instid0(VALU_DEP_3) | instskip(NEXT) | instid1(VALU_DEP_3)
	v_cmp_lt_u16_e64 s8, v51, v55
	v_cmp_lt_i32_e64 s9, v54, v17
                                        ; implicit-def: $vgpr51
	s_or_b32 s7, s7, s8
	s_wait_alu 0xfffe
	s_and_b32 s7, s9, s7
	s_wait_alu 0xfffe
	s_xor_b32 s8, s7, -1
	s_wait_alu 0xfffe
	s_and_saveexec_b32 s9, s8
	s_wait_alu 0xfffe
	s_xor_b32 s8, exec_lo, s9
; %bb.59:                               ;   in Loop: Header=BB97_2 Depth=1
	ds_load_u8 v51, v53 offset:1
; %bb.60:                               ;   in Loop: Header=BB97_2 Depth=1
	s_wait_alu 0xfffe
	s_or_saveexec_b32 s8, s8
	v_mov_b32_e32 v52, v49
	s_wait_alu 0xfffe
	s_xor_b32 exec_lo, exec_lo, s8
	s_cbranch_execz .LBB97_62
; %bb.61:                               ;   in Loop: Header=BB97_2 Depth=1
	ds_load_u8 v52, v54 offset:1
	s_wait_dscnt 0x1
	v_mov_b32_e32 v51, v47
.LBB97_62:                              ;   in Loop: Header=BB97_2 Depth=1
	s_or_b32 exec_lo, exec_lo, s8
	v_add_nc_u32_e32 v55, 1, v53
	v_add_nc_u32_e32 v56, 1, v54
	s_wait_dscnt 0x0
	v_and_b32_e32 v58, 0xff, v51
	s_delay_alu instid0(VALU_DEP_3) | instskip(SKIP_2) | instid1(VALU_DEP_3)
	v_cndmask_b32_e64 v57, v55, v53, s7
	v_and_b32_e32 v55, 0xff, v52
	v_cndmask_b32_e64 v56, v54, v56, s7
	v_cmp_ge_i32_e64 s8, v57, v16
	s_delay_alu instid0(VALU_DEP_3) | instskip(NEXT) | instid1(VALU_DEP_3)
	v_cmp_lt_u16_e64 s9, v55, v58
	v_cmp_lt_i32_e64 s10, v56, v17
                                        ; implicit-def: $vgpr55
	s_or_b32 s8, s8, s9
	s_wait_alu 0xfffe
	s_and_b32 s8, s10, s8
	s_wait_alu 0xfffe
	s_xor_b32 s9, s8, -1
	s_wait_alu 0xfffe
	s_and_saveexec_b32 s10, s9
	s_wait_alu 0xfffe
	s_xor_b32 s9, exec_lo, s10
; %bb.63:                               ;   in Loop: Header=BB97_2 Depth=1
	ds_load_u8 v55, v57 offset:1
; %bb.64:                               ;   in Loop: Header=BB97_2 Depth=1
	s_wait_alu 0xfffe
	s_or_saveexec_b32 s9, s9
	v_mov_b32_e32 v58, v52
	s_wait_alu 0xfffe
	s_xor_b32 exec_lo, exec_lo, s9
	s_cbranch_execz .LBB97_66
; %bb.65:                               ;   in Loop: Header=BB97_2 Depth=1
	ds_load_u8 v58, v56 offset:1
	s_wait_dscnt 0x1
	v_mov_b32_e32 v55, v51
.LBB97_66:                              ;   in Loop: Header=BB97_2 Depth=1
	s_or_b32 exec_lo, exec_lo, s9
	v_add_nc_u32_e32 v59, 1, v57
	v_add_nc_u32_e32 v60, 1, v56
	v_cndmask_b32_e64 v61, v57, v56, s8
	s_wait_dscnt 0x0
	v_and_b32_e32 v62, 0xff, v55
	v_and_b32_e32 v63, 0xff, v58
	v_cndmask_b32_e64 v57, v59, v57, s8
	v_cndmask_b32_e64 v53, v53, v54, s7
	;; [unrolled: 1-line block ×4, first 2 shown]
	v_cmp_lt_u16_e64 s9, v63, v62
	v_cmp_ge_i32_e64 s10, v57, v16
	s_wait_loadcnt 0x0
	v_cmp_lt_i32_e64 s11, v54, v17
	s_barrier_signal -1
	s_barrier_wait -1
	s_or_b32 s9, s10, s9
	global_inv scope:SCOPE_SE
	s_wait_alu 0xfffe
	s_and_b32 s9, s11, s9
	ds_store_b8 v1, v41
	ds_store_b8 v1, v43 offset:1
	ds_store_b8 v1, v44 offset:2
	;; [unrolled: 1-line block ×3, first 2 shown]
	s_wait_alu 0xfffe
	v_cndmask_b32_e64 v54, v57, v54, s9
	s_wait_loadcnt_dscnt 0x0
	s_barrier_signal -1
	s_barrier_wait -1
	global_inv scope:SCOPE_SE
	ds_load_u8 v41, v48
	ds_load_u8 v42, v54
	;; [unrolled: 1-line block ×4, first 2 shown]
	v_cndmask_b32_e64 v45, v45, v46, s6
	v_cndmask_b32_e64 v47, v47, v49, s7
	;; [unrolled: 1-line block ×4, first 2 shown]
	s_wait_loadcnt_dscnt 0x0
	s_barrier_signal -1
	s_barrier_wait -1
	global_inv scope:SCOPE_SE
	ds_store_b8 v1, v45
	ds_store_b8 v1, v47 offset:1
	ds_store_b8 v1, v48 offset:2
	;; [unrolled: 1-line block ×3, first 2 shown]
	v_mov_b32_e32 v45, v38
	s_wait_loadcnt_dscnt 0x0
	s_barrier_signal -1
	s_barrier_wait -1
	global_inv scope:SCOPE_SE
	s_and_saveexec_b32 s7, s4
	s_cbranch_execz .LBB97_70
; %bb.67:                               ;   in Loop: Header=BB97_2 Depth=1
	v_dual_mov_b32 v45, v38 :: v_dual_mov_b32 v46, v32
	s_mov_b32 s8, 0
.LBB97_68:                              ;   Parent Loop BB97_2 Depth=1
                                        ; =>  This Inner Loop Header: Depth=2
	s_delay_alu instid0(VALU_DEP_1) | instskip(NEXT) | instid1(VALU_DEP_1)
	v_sub_nc_u32_e32 v47, v46, v45
	v_lshrrev_b32_e32 v47, 1, v47
	s_delay_alu instid0(VALU_DEP_1) | instskip(NEXT) | instid1(VALU_DEP_1)
	v_add_nc_u32_e32 v47, v47, v45
	v_add_nc_u32_e32 v48, v6, v47
	v_xad_u32 v49, v47, -1, v26
	v_add_nc_u32_e32 v50, 1, v47
	ds_load_u8 v48, v48
	ds_load_u8 v49, v49
	s_wait_dscnt 0x0
	v_cmp_lt_u16_e64 s6, v49, v48
	s_wait_alu 0xf1ff
	s_delay_alu instid0(VALU_DEP_1) | instskip(SKIP_1) | instid1(VALU_DEP_1)
	v_cndmask_b32_e64 v46, v46, v47, s6
	v_cndmask_b32_e64 v45, v50, v45, s6
	v_cmp_ge_i32_e64 s6, v45, v46
	s_wait_alu 0xfffe
	s_or_b32 s8, s6, s8
	s_wait_alu 0xfffe
	s_and_not1_b32 exec_lo, exec_lo, s8
	s_cbranch_execnz .LBB97_68
; %bb.69:                               ;   in Loop: Header=BB97_2 Depth=1
	s_or_b32 exec_lo, exec_lo, s8
.LBB97_70:                              ;   in Loop: Header=BB97_2 Depth=1
	s_wait_alu 0xfffe
	s_or_b32 exec_lo, exec_lo, s7
	v_add_nc_u32_e32 v48, v45, v6
	v_sub_nc_u32_e32 v50, v26, v45
	ds_load_u8 v45, v48
	ds_load_u8 v46, v50
	v_cmp_le_i32_e64 s6, v18, v48
	v_cmp_gt_i32_e64 s8, v19, v50
	s_wait_dscnt 0x1
	v_and_b32_e32 v47, 0xff, v45
	s_wait_dscnt 0x0
	v_and_b32_e32 v49, 0xff, v46
	s_delay_alu instid0(VALU_DEP_1)
	v_cmp_lt_u16_e64 s7, v49, v47
                                        ; implicit-def: $vgpr47
	s_or_b32 s6, s6, s7
	s_wait_alu 0xfffe
	s_and_b32 s6, s8, s6
	s_wait_alu 0xfffe
	s_xor_b32 s7, s6, -1
	s_wait_alu 0xfffe
	s_and_saveexec_b32 s8, s7
	s_wait_alu 0xfffe
	s_xor_b32 s7, exec_lo, s8
; %bb.71:                               ;   in Loop: Header=BB97_2 Depth=1
	ds_load_u8 v47, v48 offset:1
; %bb.72:                               ;   in Loop: Header=BB97_2 Depth=1
	s_wait_alu 0xfffe
	s_or_saveexec_b32 s7, s7
	v_mov_b32_e32 v49, v46
	s_wait_alu 0xfffe
	s_xor_b32 exec_lo, exec_lo, s7
	s_cbranch_execz .LBB97_74
; %bb.73:                               ;   in Loop: Header=BB97_2 Depth=1
	ds_load_u8 v49, v50 offset:1
	s_wait_dscnt 0x1
	v_mov_b32_e32 v47, v45
.LBB97_74:                              ;   in Loop: Header=BB97_2 Depth=1
	s_or_b32 exec_lo, exec_lo, s7
	v_add_nc_u32_e32 v51, 1, v48
	v_add_nc_u32_e32 v52, 1, v50
	s_wait_dscnt 0x0
	v_and_b32_e32 v55, 0xff, v47
	s_delay_alu instid0(VALU_DEP_3) | instskip(SKIP_2) | instid1(VALU_DEP_3)
	v_cndmask_b32_e64 v53, v51, v48, s6
	v_and_b32_e32 v51, 0xff, v49
	v_cndmask_b32_e64 v54, v50, v52, s6
	v_cmp_ge_i32_e64 s7, v53, v18
	s_delay_alu instid0(VALU_DEP_3) | instskip(NEXT) | instid1(VALU_DEP_3)
	v_cmp_lt_u16_e64 s8, v51, v55
	v_cmp_lt_i32_e64 s9, v54, v19
                                        ; implicit-def: $vgpr51
	s_or_b32 s7, s7, s8
	s_wait_alu 0xfffe
	s_and_b32 s7, s9, s7
	s_wait_alu 0xfffe
	s_xor_b32 s8, s7, -1
	s_wait_alu 0xfffe
	s_and_saveexec_b32 s9, s8
	s_wait_alu 0xfffe
	s_xor_b32 s8, exec_lo, s9
; %bb.75:                               ;   in Loop: Header=BB97_2 Depth=1
	ds_load_u8 v51, v53 offset:1
; %bb.76:                               ;   in Loop: Header=BB97_2 Depth=1
	s_wait_alu 0xfffe
	s_or_saveexec_b32 s8, s8
	v_mov_b32_e32 v52, v49
	s_wait_alu 0xfffe
	s_xor_b32 exec_lo, exec_lo, s8
	s_cbranch_execz .LBB97_78
; %bb.77:                               ;   in Loop: Header=BB97_2 Depth=1
	ds_load_u8 v52, v54 offset:1
	s_wait_dscnt 0x1
	v_mov_b32_e32 v51, v47
.LBB97_78:                              ;   in Loop: Header=BB97_2 Depth=1
	s_or_b32 exec_lo, exec_lo, s8
	v_add_nc_u32_e32 v55, 1, v53
	v_add_nc_u32_e32 v56, 1, v54
	s_wait_dscnt 0x0
	v_and_b32_e32 v58, 0xff, v51
	s_delay_alu instid0(VALU_DEP_3) | instskip(SKIP_2) | instid1(VALU_DEP_3)
	v_cndmask_b32_e64 v57, v55, v53, s7
	v_and_b32_e32 v55, 0xff, v52
	v_cndmask_b32_e64 v56, v54, v56, s7
	v_cmp_ge_i32_e64 s8, v57, v18
	s_delay_alu instid0(VALU_DEP_3) | instskip(NEXT) | instid1(VALU_DEP_3)
	v_cmp_lt_u16_e64 s9, v55, v58
	v_cmp_lt_i32_e64 s10, v56, v19
                                        ; implicit-def: $vgpr55
	s_or_b32 s8, s8, s9
	s_wait_alu 0xfffe
	s_and_b32 s8, s10, s8
	s_wait_alu 0xfffe
	s_xor_b32 s9, s8, -1
	s_wait_alu 0xfffe
	s_and_saveexec_b32 s10, s9
	s_wait_alu 0xfffe
	s_xor_b32 s9, exec_lo, s10
; %bb.79:                               ;   in Loop: Header=BB97_2 Depth=1
	ds_load_u8 v55, v57 offset:1
; %bb.80:                               ;   in Loop: Header=BB97_2 Depth=1
	s_wait_alu 0xfffe
	s_or_saveexec_b32 s9, s9
	v_mov_b32_e32 v58, v52
	s_wait_alu 0xfffe
	s_xor_b32 exec_lo, exec_lo, s9
	s_cbranch_execz .LBB97_82
; %bb.81:                               ;   in Loop: Header=BB97_2 Depth=1
	ds_load_u8 v58, v56 offset:1
	s_wait_dscnt 0x1
	v_mov_b32_e32 v55, v51
.LBB97_82:                              ;   in Loop: Header=BB97_2 Depth=1
	s_or_b32 exec_lo, exec_lo, s9
	v_add_nc_u32_e32 v59, 1, v57
	v_add_nc_u32_e32 v60, 1, v56
	v_cndmask_b32_e64 v61, v57, v56, s8
	s_wait_dscnt 0x0
	v_and_b32_e32 v62, 0xff, v55
	v_and_b32_e32 v63, 0xff, v58
	v_cndmask_b32_e64 v57, v59, v57, s8
	v_cndmask_b32_e64 v53, v53, v54, s7
	;; [unrolled: 1-line block ×4, first 2 shown]
	v_cmp_lt_u16_e64 s9, v63, v62
	v_cmp_ge_i32_e64 s10, v57, v18
	s_wait_loadcnt 0x0
	v_cmp_lt_i32_e64 s11, v54, v19
	s_barrier_signal -1
	s_barrier_wait -1
	s_or_b32 s9, s10, s9
	global_inv scope:SCOPE_SE
	s_wait_alu 0xfffe
	s_and_b32 s9, s11, s9
	ds_store_b8 v1, v41
	ds_store_b8 v1, v43 offset:1
	ds_store_b8 v1, v44 offset:2
	;; [unrolled: 1-line block ×3, first 2 shown]
	s_wait_alu 0xfffe
	v_cndmask_b32_e64 v54, v57, v54, s9
	s_wait_loadcnt_dscnt 0x0
	s_barrier_signal -1
	s_barrier_wait -1
	global_inv scope:SCOPE_SE
	ds_load_u8 v41, v48
	ds_load_u8 v42, v54
	;; [unrolled: 1-line block ×4, first 2 shown]
	v_cndmask_b32_e64 v45, v45, v46, s6
	v_cndmask_b32_e64 v47, v47, v49, s7
	;; [unrolled: 1-line block ×4, first 2 shown]
	s_wait_loadcnt_dscnt 0x0
	s_barrier_signal -1
	s_barrier_wait -1
	global_inv scope:SCOPE_SE
	ds_store_b8 v1, v45
	ds_store_b8 v1, v47 offset:1
	ds_store_b8 v1, v48 offset:2
	;; [unrolled: 1-line block ×3, first 2 shown]
	v_mov_b32_e32 v45, v39
	s_wait_loadcnt_dscnt 0x0
	s_barrier_signal -1
	s_barrier_wait -1
	global_inv scope:SCOPE_SE
	s_and_saveexec_b32 s7, s5
	s_cbranch_execz .LBB97_86
; %bb.83:                               ;   in Loop: Header=BB97_2 Depth=1
	v_dual_mov_b32 v45, v39 :: v_dual_mov_b32 v46, v33
	s_mov_b32 s8, 0
.LBB97_84:                              ;   Parent Loop BB97_2 Depth=1
                                        ; =>  This Inner Loop Header: Depth=2
	s_delay_alu instid0(VALU_DEP_1) | instskip(NEXT) | instid1(VALU_DEP_1)
	v_sub_nc_u32_e32 v47, v46, v45
	v_lshrrev_b32_e32 v47, 1, v47
	s_delay_alu instid0(VALU_DEP_1) | instskip(NEXT) | instid1(VALU_DEP_1)
	v_add_nc_u32_e32 v47, v47, v45
	v_add_nc_u32_e32 v48, v7, v47
	v_xad_u32 v49, v47, -1, v27
	v_add_nc_u32_e32 v50, 1, v47
	ds_load_u8 v48, v48
	ds_load_u8 v49, v49
	s_wait_dscnt 0x0
	v_cmp_lt_u16_e64 s6, v49, v48
	s_wait_alu 0xf1ff
	s_delay_alu instid0(VALU_DEP_1) | instskip(SKIP_1) | instid1(VALU_DEP_1)
	v_cndmask_b32_e64 v46, v46, v47, s6
	v_cndmask_b32_e64 v45, v50, v45, s6
	v_cmp_ge_i32_e64 s6, v45, v46
	s_wait_alu 0xfffe
	s_or_b32 s8, s6, s8
	s_wait_alu 0xfffe
	s_and_not1_b32 exec_lo, exec_lo, s8
	s_cbranch_execnz .LBB97_84
; %bb.85:                               ;   in Loop: Header=BB97_2 Depth=1
	s_or_b32 exec_lo, exec_lo, s8
.LBB97_86:                              ;   in Loop: Header=BB97_2 Depth=1
	s_wait_alu 0xfffe
	s_or_b32 exec_lo, exec_lo, s7
	v_add_nc_u32_e32 v48, v45, v7
	v_sub_nc_u32_e32 v50, v27, v45
	ds_load_u8 v45, v48
	ds_load_u8 v46, v50
	v_cmp_le_i32_e64 s6, v20, v48
	v_cmp_gt_i32_e64 s8, v21, v50
	s_wait_dscnt 0x1
	v_and_b32_e32 v47, 0xff, v45
	s_wait_dscnt 0x0
	v_and_b32_e32 v49, 0xff, v46
	s_delay_alu instid0(VALU_DEP_1)
	v_cmp_lt_u16_e64 s7, v49, v47
                                        ; implicit-def: $vgpr47
	s_or_b32 s6, s6, s7
	s_wait_alu 0xfffe
	s_and_b32 s6, s8, s6
	s_wait_alu 0xfffe
	s_xor_b32 s7, s6, -1
	s_wait_alu 0xfffe
	s_and_saveexec_b32 s8, s7
	s_wait_alu 0xfffe
	s_xor_b32 s7, exec_lo, s8
; %bb.87:                               ;   in Loop: Header=BB97_2 Depth=1
	ds_load_u8 v47, v48 offset:1
; %bb.88:                               ;   in Loop: Header=BB97_2 Depth=1
	s_wait_alu 0xfffe
	s_or_saveexec_b32 s7, s7
	v_mov_b32_e32 v49, v46
	s_wait_alu 0xfffe
	s_xor_b32 exec_lo, exec_lo, s7
	s_cbranch_execz .LBB97_90
; %bb.89:                               ;   in Loop: Header=BB97_2 Depth=1
	ds_load_u8 v49, v50 offset:1
	s_wait_dscnt 0x1
	v_mov_b32_e32 v47, v45
.LBB97_90:                              ;   in Loop: Header=BB97_2 Depth=1
	s_or_b32 exec_lo, exec_lo, s7
	v_add_nc_u32_e32 v51, 1, v48
	v_add_nc_u32_e32 v52, 1, v50
	s_wait_dscnt 0x0
	v_and_b32_e32 v55, 0xff, v47
	s_delay_alu instid0(VALU_DEP_3) | instskip(SKIP_2) | instid1(VALU_DEP_3)
	v_cndmask_b32_e64 v53, v51, v48, s6
	v_and_b32_e32 v51, 0xff, v49
	v_cndmask_b32_e64 v54, v50, v52, s6
	v_cmp_ge_i32_e64 s7, v53, v20
	s_delay_alu instid0(VALU_DEP_3) | instskip(NEXT) | instid1(VALU_DEP_3)
	v_cmp_lt_u16_e64 s8, v51, v55
	v_cmp_lt_i32_e64 s9, v54, v21
                                        ; implicit-def: $vgpr51
	s_or_b32 s7, s7, s8
	s_wait_alu 0xfffe
	s_and_b32 s7, s9, s7
	s_wait_alu 0xfffe
	s_xor_b32 s8, s7, -1
	s_wait_alu 0xfffe
	s_and_saveexec_b32 s9, s8
	s_wait_alu 0xfffe
	s_xor_b32 s8, exec_lo, s9
; %bb.91:                               ;   in Loop: Header=BB97_2 Depth=1
	ds_load_u8 v51, v53 offset:1
; %bb.92:                               ;   in Loop: Header=BB97_2 Depth=1
	s_wait_alu 0xfffe
	s_or_saveexec_b32 s8, s8
	v_mov_b32_e32 v52, v49
	s_wait_alu 0xfffe
	s_xor_b32 exec_lo, exec_lo, s8
	s_cbranch_execz .LBB97_94
; %bb.93:                               ;   in Loop: Header=BB97_2 Depth=1
	ds_load_u8 v52, v54 offset:1
	s_wait_dscnt 0x1
	v_mov_b32_e32 v51, v47
.LBB97_94:                              ;   in Loop: Header=BB97_2 Depth=1
	s_or_b32 exec_lo, exec_lo, s8
	v_add_nc_u32_e32 v55, 1, v53
	v_add_nc_u32_e32 v56, 1, v54
	s_wait_dscnt 0x0
	v_and_b32_e32 v58, 0xff, v51
	s_delay_alu instid0(VALU_DEP_3) | instskip(SKIP_2) | instid1(VALU_DEP_3)
	v_cndmask_b32_e64 v57, v55, v53, s7
	v_and_b32_e32 v55, 0xff, v52
	v_cndmask_b32_e64 v56, v54, v56, s7
	v_cmp_ge_i32_e64 s8, v57, v20
	s_delay_alu instid0(VALU_DEP_3) | instskip(NEXT) | instid1(VALU_DEP_3)
	v_cmp_lt_u16_e64 s9, v55, v58
	v_cmp_lt_i32_e64 s10, v56, v21
                                        ; implicit-def: $vgpr55
	s_or_b32 s8, s8, s9
	s_wait_alu 0xfffe
	s_and_b32 s8, s10, s8
	s_wait_alu 0xfffe
	s_xor_b32 s9, s8, -1
	s_wait_alu 0xfffe
	s_and_saveexec_b32 s10, s9
	s_wait_alu 0xfffe
	s_xor_b32 s9, exec_lo, s10
; %bb.95:                               ;   in Loop: Header=BB97_2 Depth=1
	ds_load_u8 v55, v57 offset:1
; %bb.96:                               ;   in Loop: Header=BB97_2 Depth=1
	s_wait_alu 0xfffe
	s_or_saveexec_b32 s9, s9
	v_mov_b32_e32 v58, v52
	s_wait_alu 0xfffe
	s_xor_b32 exec_lo, exec_lo, s9
	s_cbranch_execz .LBB97_98
; %bb.97:                               ;   in Loop: Header=BB97_2 Depth=1
	ds_load_u8 v58, v56 offset:1
	s_wait_dscnt 0x1
	v_mov_b32_e32 v55, v51
.LBB97_98:                              ;   in Loop: Header=BB97_2 Depth=1
	s_or_b32 exec_lo, exec_lo, s9
	v_add_nc_u32_e32 v59, 1, v57
	v_add_nc_u32_e32 v60, 1, v56
	v_cndmask_b32_e64 v61, v57, v56, s8
	s_wait_dscnt 0x0
	v_and_b32_e32 v62, 0xff, v55
	v_and_b32_e32 v63, 0xff, v58
	v_cndmask_b32_e64 v57, v59, v57, s8
	v_cndmask_b32_e64 v53, v53, v54, s7
	;; [unrolled: 1-line block ×4, first 2 shown]
	v_cmp_lt_u16_e64 s9, v63, v62
	v_cmp_ge_i32_e64 s10, v57, v20
	s_wait_loadcnt 0x0
	v_cmp_lt_i32_e64 s11, v54, v21
	s_barrier_signal -1
	s_barrier_wait -1
	s_or_b32 s9, s10, s9
	global_inv scope:SCOPE_SE
	s_wait_alu 0xfffe
	s_and_b32 s9, s11, s9
	ds_store_b8 v1, v41
	ds_store_b8 v1, v43 offset:1
	ds_store_b8 v1, v44 offset:2
	;; [unrolled: 1-line block ×3, first 2 shown]
	s_wait_alu 0xfffe
	v_cndmask_b32_e64 v54, v57, v54, s9
	s_wait_loadcnt_dscnt 0x0
	s_barrier_signal -1
	s_barrier_wait -1
	global_inv scope:SCOPE_SE
	ds_load_u8 v41, v48
	ds_load_u8 v42, v54
	;; [unrolled: 1-line block ×4, first 2 shown]
	v_cndmask_b32_e64 v45, v45, v46, s6
	v_cndmask_b32_e64 v47, v47, v49, s7
	;; [unrolled: 1-line block ×4, first 2 shown]
	s_wait_loadcnt_dscnt 0x0
	s_barrier_signal -1
	s_barrier_wait -1
	global_inv scope:SCOPE_SE
	ds_store_b8 v1, v45
	ds_store_b8 v1, v47 offset:1
	ds_store_b8 v1, v48 offset:2
	;; [unrolled: 1-line block ×3, first 2 shown]
	v_mov_b32_e32 v45, v8
	s_wait_loadcnt_dscnt 0x0
	s_barrier_signal -1
	s_barrier_wait -1
	global_inv scope:SCOPE_SE
	s_and_saveexec_b32 s7, vcc_lo
	s_cbranch_execz .LBB97_102
; %bb.99:                               ;   in Loop: Header=BB97_2 Depth=1
	v_dual_mov_b32 v45, v8 :: v_dual_mov_b32 v46, v9
	s_mov_b32 s8, 0
.LBB97_100:                             ;   Parent Loop BB97_2 Depth=1
                                        ; =>  This Inner Loop Header: Depth=2
	s_delay_alu instid0(VALU_DEP_1) | instskip(NEXT) | instid1(VALU_DEP_1)
	v_sub_nc_u32_e32 v47, v46, v45
	v_lshrrev_b32_e32 v47, 1, v47
	s_delay_alu instid0(VALU_DEP_1) | instskip(NEXT) | instid1(VALU_DEP_1)
	v_add_nc_u32_e32 v47, v47, v45
	v_xad_u32 v48, v47, -1, v40
	v_add_nc_u32_e32 v50, 1, v47
	ds_load_u8 v49, v47
	ds_load_u8 v48, v48
	s_wait_dscnt 0x0
	v_cmp_lt_u16_e64 s6, v48, v49
	s_wait_alu 0xf1ff
	s_delay_alu instid0(VALU_DEP_1) | instskip(SKIP_1) | instid1(VALU_DEP_1)
	v_cndmask_b32_e64 v46, v46, v47, s6
	v_cndmask_b32_e64 v45, v50, v45, s6
	v_cmp_ge_i32_e64 s6, v45, v46
	s_wait_alu 0xfffe
	s_or_b32 s8, s6, s8
	s_wait_alu 0xfffe
	s_and_not1_b32 exec_lo, exec_lo, s8
	s_cbranch_execnz .LBB97_100
; %bb.101:                              ;   in Loop: Header=BB97_2 Depth=1
	s_or_b32 exec_lo, exec_lo, s8
.LBB97_102:                             ;   in Loop: Header=BB97_2 Depth=1
	s_wait_alu 0xfffe
	s_or_b32 exec_lo, exec_lo, s7
	v_sub_nc_u32_e32 v50, v40, v45
	v_cmp_le_i32_e64 s6, 0x100, v45
	ds_load_u8 v46, v45
	ds_load_u8 v47, v50
	v_cmp_gt_i32_e64 s8, 0x200, v50
	s_wait_dscnt 0x1
	v_and_b32_e32 v48, 0xff, v46
	s_wait_dscnt 0x0
	v_and_b32_e32 v49, 0xff, v47
	s_delay_alu instid0(VALU_DEP_1)
	v_cmp_lt_u16_e64 s7, v49, v48
                                        ; implicit-def: $vgpr48
	s_or_b32 s6, s6, s7
	s_wait_alu 0xfffe
	s_and_b32 s6, s8, s6
	s_wait_alu 0xfffe
	s_xor_b32 s7, s6, -1
	s_wait_alu 0xfffe
	s_and_saveexec_b32 s8, s7
	s_wait_alu 0xfffe
	s_xor_b32 s7, exec_lo, s8
; %bb.103:                              ;   in Loop: Header=BB97_2 Depth=1
	ds_load_u8 v48, v45 offset:1
; %bb.104:                              ;   in Loop: Header=BB97_2 Depth=1
	s_wait_alu 0xfffe
	s_or_saveexec_b32 s7, s7
	v_mov_b32_e32 v49, v47
	s_wait_alu 0xfffe
	s_xor_b32 exec_lo, exec_lo, s7
	s_cbranch_execz .LBB97_106
; %bb.105:                              ;   in Loop: Header=BB97_2 Depth=1
	ds_load_u8 v49, v50 offset:1
	s_wait_dscnt 0x1
	v_mov_b32_e32 v48, v46
.LBB97_106:                             ;   in Loop: Header=BB97_2 Depth=1
	s_or_b32 exec_lo, exec_lo, s7
	v_add_nc_u32_e32 v51, 1, v45
	v_add_nc_u32_e32 v52, 1, v50
	s_wait_dscnt 0x0
	v_and_b32_e32 v55, 0xff, v48
	s_delay_alu instid0(VALU_DEP_3) | instskip(SKIP_2) | instid1(VALU_DEP_3)
	v_cndmask_b32_e64 v53, v51, v45, s6
	v_and_b32_e32 v51, 0xff, v49
	v_cndmask_b32_e64 v54, v50, v52, s6
	v_cmp_le_i32_e64 s7, 0x100, v53
	s_delay_alu instid0(VALU_DEP_3) | instskip(NEXT) | instid1(VALU_DEP_3)
	v_cmp_lt_u16_e64 s8, v51, v55
	v_cmp_gt_i32_e64 s9, 0x200, v54
                                        ; implicit-def: $vgpr51
	s_or_b32 s7, s7, s8
	s_wait_alu 0xfffe
	s_and_b32 s7, s9, s7
	s_wait_alu 0xfffe
	s_xor_b32 s8, s7, -1
	s_wait_alu 0xfffe
	s_and_saveexec_b32 s9, s8
	s_wait_alu 0xfffe
	s_xor_b32 s8, exec_lo, s9
; %bb.107:                              ;   in Loop: Header=BB97_2 Depth=1
	ds_load_u8 v51, v53 offset:1
; %bb.108:                              ;   in Loop: Header=BB97_2 Depth=1
	s_wait_alu 0xfffe
	s_or_saveexec_b32 s8, s8
	v_mov_b32_e32 v52, v49
	s_wait_alu 0xfffe
	s_xor_b32 exec_lo, exec_lo, s8
	s_cbranch_execz .LBB97_110
; %bb.109:                              ;   in Loop: Header=BB97_2 Depth=1
	ds_load_u8 v52, v54 offset:1
	s_wait_dscnt 0x1
	v_mov_b32_e32 v51, v48
.LBB97_110:                             ;   in Loop: Header=BB97_2 Depth=1
	s_or_b32 exec_lo, exec_lo, s8
	v_add_nc_u32_e32 v55, 1, v53
	v_add_nc_u32_e32 v56, 1, v54
	s_wait_dscnt 0x0
	v_and_b32_e32 v57, 0xff, v51
	v_and_b32_e32 v58, 0xff, v52
	v_cndmask_b32_e64 v60, v55, v53, s7
	v_cndmask_b32_e64 v55, v54, v56, s7
                                        ; implicit-def: $vgpr56
	s_delay_alu instid0(VALU_DEP_3) | instskip(NEXT) | instid1(VALU_DEP_3)
	v_cmp_lt_u16_e64 s9, v58, v57
                                        ; implicit-def: $vgpr57
	v_cmp_le_i32_e64 s8, 0x100, v60
	s_delay_alu instid0(VALU_DEP_3)
	v_cmp_gt_i32_e64 s10, 0x200, v55
	s_or_b32 s8, s8, s9
	s_wait_alu 0xfffe
	s_and_b32 s8, s10, s8
	s_wait_alu 0xfffe
	s_xor_b32 s9, s8, -1
	s_wait_alu 0xfffe
	s_and_saveexec_b32 s10, s9
	s_wait_alu 0xfffe
	s_xor_b32 s9, exec_lo, s10
; %bb.111:                              ;   in Loop: Header=BB97_2 Depth=1
	ds_load_u8 v57, v60 offset:1
	v_add_nc_u32_e32 v56, 1, v60
; %bb.112:                              ;   in Loop: Header=BB97_2 Depth=1
	s_wait_alu 0xfffe
	s_or_saveexec_b32 s9, s9
	v_dual_mov_b32 v58, v60 :: v_dual_mov_b32 v59, v52
	s_wait_alu 0xfffe
	s_xor_b32 exec_lo, exec_lo, s9
	s_cbranch_execz .LBB97_1
; %bb.113:                              ;   in Loop: Header=BB97_2 Depth=1
	ds_load_u8 v59, v55 offset:1
	s_wait_dscnt 0x1
	v_dual_mov_b32 v58, v55 :: v_dual_add_nc_u32 v57, 1, v55
	s_delay_alu instid0(VALU_DEP_1)
	v_dual_mov_b32 v56, v60 :: v_dual_mov_b32 v55, v57
	v_mov_b32_e32 v57, v51
	s_branch .LBB97_1
.LBB97_114:
	s_add_nc_u64 s[0:1], s[18:19], s[20:21]
	s_wait_dscnt 0x3
	v_add_nc_u16 v2, v47, v44
	s_wait_alu 0xfffe
	v_add_co_u32 v0, s0, s0, v0
	s_wait_alu 0xf1ff
	v_add_co_ci_u32_e64 v1, null, s1, 0, s0
	s_wait_dscnt 0x0
	v_add_nc_u16 v3, v46, v43
	v_add_nc_u16 v4, v48, v41
	;; [unrolled: 1-line block ×3, first 2 shown]
	s_clause 0x3
	global_store_b8 v[0:1], v2, off
	global_store_b8 v[0:1], v3, off offset:128
	global_store_b8 v[0:1], v4, off offset:256
	;; [unrolled: 1-line block ×3, first 2 shown]
	s_endpgm
	.section	.rodata,"a",@progbits
	.p2align	6, 0x0
	.amdhsa_kernel _Z17sort_pairs_kernelIhLj128ELj4EN10test_utils4lessELj10EEvPKT_PS2_T2_
		.amdhsa_group_segment_fixed_size 513
		.amdhsa_private_segment_fixed_size 0
		.amdhsa_kernarg_size 20
		.amdhsa_user_sgpr_count 2
		.amdhsa_user_sgpr_dispatch_ptr 0
		.amdhsa_user_sgpr_queue_ptr 0
		.amdhsa_user_sgpr_kernarg_segment_ptr 1
		.amdhsa_user_sgpr_dispatch_id 0
		.amdhsa_user_sgpr_private_segment_size 0
		.amdhsa_wavefront_size32 1
		.amdhsa_uses_dynamic_stack 0
		.amdhsa_enable_private_segment 0
		.amdhsa_system_sgpr_workgroup_id_x 1
		.amdhsa_system_sgpr_workgroup_id_y 0
		.amdhsa_system_sgpr_workgroup_id_z 0
		.amdhsa_system_sgpr_workgroup_info 0
		.amdhsa_system_vgpr_workitem_id 0
		.amdhsa_next_free_vgpr 64
		.amdhsa_next_free_sgpr 22
		.amdhsa_reserve_vcc 1
		.amdhsa_float_round_mode_32 0
		.amdhsa_float_round_mode_16_64 0
		.amdhsa_float_denorm_mode_32 3
		.amdhsa_float_denorm_mode_16_64 3
		.amdhsa_fp16_overflow 0
		.amdhsa_workgroup_processor_mode 1
		.amdhsa_memory_ordered 1
		.amdhsa_forward_progress 1
		.amdhsa_inst_pref_size 66
		.amdhsa_round_robin_scheduling 0
		.amdhsa_exception_fp_ieee_invalid_op 0
		.amdhsa_exception_fp_denorm_src 0
		.amdhsa_exception_fp_ieee_div_zero 0
		.amdhsa_exception_fp_ieee_overflow 0
		.amdhsa_exception_fp_ieee_underflow 0
		.amdhsa_exception_fp_ieee_inexact 0
		.amdhsa_exception_int_div_zero 0
	.end_amdhsa_kernel
	.section	.text._Z17sort_pairs_kernelIhLj128ELj4EN10test_utils4lessELj10EEvPKT_PS2_T2_,"axG",@progbits,_Z17sort_pairs_kernelIhLj128ELj4EN10test_utils4lessELj10EEvPKT_PS2_T2_,comdat
.Lfunc_end97:
	.size	_Z17sort_pairs_kernelIhLj128ELj4EN10test_utils4lessELj10EEvPKT_PS2_T2_, .Lfunc_end97-_Z17sort_pairs_kernelIhLj128ELj4EN10test_utils4lessELj10EEvPKT_PS2_T2_
                                        ; -- End function
	.set _Z17sort_pairs_kernelIhLj128ELj4EN10test_utils4lessELj10EEvPKT_PS2_T2_.num_vgpr, 64
	.set _Z17sort_pairs_kernelIhLj128ELj4EN10test_utils4lessELj10EEvPKT_PS2_T2_.num_agpr, 0
	.set _Z17sort_pairs_kernelIhLj128ELj4EN10test_utils4lessELj10EEvPKT_PS2_T2_.numbered_sgpr, 22
	.set _Z17sort_pairs_kernelIhLj128ELj4EN10test_utils4lessELj10EEvPKT_PS2_T2_.num_named_barrier, 0
	.set _Z17sort_pairs_kernelIhLj128ELj4EN10test_utils4lessELj10EEvPKT_PS2_T2_.private_seg_size, 0
	.set _Z17sort_pairs_kernelIhLj128ELj4EN10test_utils4lessELj10EEvPKT_PS2_T2_.uses_vcc, 1
	.set _Z17sort_pairs_kernelIhLj128ELj4EN10test_utils4lessELj10EEvPKT_PS2_T2_.uses_flat_scratch, 0
	.set _Z17sort_pairs_kernelIhLj128ELj4EN10test_utils4lessELj10EEvPKT_PS2_T2_.has_dyn_sized_stack, 0
	.set _Z17sort_pairs_kernelIhLj128ELj4EN10test_utils4lessELj10EEvPKT_PS2_T2_.has_recursion, 0
	.set _Z17sort_pairs_kernelIhLj128ELj4EN10test_utils4lessELj10EEvPKT_PS2_T2_.has_indirect_call, 0
	.section	.AMDGPU.csdata,"",@progbits
; Kernel info:
; codeLenInByte = 8396
; TotalNumSgprs: 24
; NumVgprs: 64
; ScratchSize: 0
; MemoryBound: 0
; FloatMode: 240
; IeeeMode: 1
; LDSByteSize: 513 bytes/workgroup (compile time only)
; SGPRBlocks: 0
; VGPRBlocks: 7
; NumSGPRsForWavesPerEU: 24
; NumVGPRsForWavesPerEU: 64
; Occupancy: 16
; WaveLimiterHint : 1
; COMPUTE_PGM_RSRC2:SCRATCH_EN: 0
; COMPUTE_PGM_RSRC2:USER_SGPR: 2
; COMPUTE_PGM_RSRC2:TRAP_HANDLER: 0
; COMPUTE_PGM_RSRC2:TGID_X_EN: 1
; COMPUTE_PGM_RSRC2:TGID_Y_EN: 0
; COMPUTE_PGM_RSRC2:TGID_Z_EN: 0
; COMPUTE_PGM_RSRC2:TIDIG_COMP_CNT: 0
	.section	.text._Z16sort_keys_kernelIhLj128ELj8EN10test_utils4lessELj10EEvPKT_PS2_T2_,"axG",@progbits,_Z16sort_keys_kernelIhLj128ELj8EN10test_utils4lessELj10EEvPKT_PS2_T2_,comdat
	.protected	_Z16sort_keys_kernelIhLj128ELj8EN10test_utils4lessELj10EEvPKT_PS2_T2_ ; -- Begin function _Z16sort_keys_kernelIhLj128ELj8EN10test_utils4lessELj10EEvPKT_PS2_T2_
	.globl	_Z16sort_keys_kernelIhLj128ELj8EN10test_utils4lessELj10EEvPKT_PS2_T2_
	.p2align	8
	.type	_Z16sort_keys_kernelIhLj128ELj8EN10test_utils4lessELj10EEvPKT_PS2_T2_,@function
_Z16sort_keys_kernelIhLj128ELj8EN10test_utils4lessELj10EEvPKT_PS2_T2_: ; @_Z16sort_keys_kernelIhLj128ELj8EN10test_utils4lessELj10EEvPKT_PS2_T2_
; %bb.0:
	s_load_b128 s[16:19], s[0:1], 0x0
	s_lshl_b32 s20, ttmp9, 10
	s_mov_b32 s21, 0
	v_lshlrev_b32_e32 v1, 3, v0
	s_mov_b32 s15, s21
	s_delay_alu instid0(VALU_DEP_1)
	v_and_b32_e32 v2, 0x3f0, v1
	v_and_b32_e32 v3, 0x3e0, v1
	;; [unrolled: 1-line block ×5, first 2 shown]
	v_or_b32_e32 v11, 8, v2
	v_add_nc_u32_e32 v12, 16, v2
	v_or_b32_e32 v13, 16, v3
	v_add_nc_u32_e32 v14, 32, v3
	v_and_b32_e32 v5, 0x380, v1
	v_or_b32_e32 v15, 32, v4
	v_sub_nc_u32_e32 v49, v12, v11
	s_wait_kmcnt 0x0
	s_add_nc_u64 s[0:1], s[16:17], s[20:21]
	v_add_nc_u32_e32 v16, 64, v4
	s_clause 0x7
	global_load_u8 v41, v0, s[0:1] offset:128
	global_load_u8 v42, v0, s[0:1] offset:768
	;; [unrolled: 1-line block ×4, first 2 shown]
	global_load_u8 v45, v0, s[0:1]
	global_load_u8 v46, v0, s[0:1] offset:384
	global_load_u8 v47, v0, s[0:1] offset:640
	;; [unrolled: 1-line block ×3, first 2 shown]
	v_sub_nc_u32_e32 v29, v11, v2
	v_sub_nc_u32_e32 v50, v14, v13
	;; [unrolled: 1-line block ×3, first 2 shown]
	v_cmp_ge_i32_e64 s0, v35, v49
	v_and_b32_e32 v37, 56, v1
	v_and_b32_e32 v6, 0x300, v1
	v_or_b32_e32 v17, 64, v5
	v_add_nc_u32_e32 v18, 0x80, v5
	v_add_nc_u32_e32 v23, v11, v35
	v_sub_nc_u32_e32 v30, v13, v3
	v_sub_nc_u32_e32 v51, v16, v15
	v_min_i32_e32 v29, v35, v29
	v_sub_nc_u32_e32 v56, v36, v50
	v_cndmask_b32_e64 v35, 0, v55, s0
	v_cmp_ge_i32_e64 s0, v36, v50
	v_and_b32_e32 v38, 0x78, v1
	v_and_b32_e32 v7, 0x200, v1
	v_or_b32_e32 v19, 0x80, v6
	v_add_nc_u32_e32 v20, 0x100, v6
	v_add_nc_u32_e32 v24, v13, v36
	v_sub_nc_u32_e32 v31, v15, v4
	v_sub_nc_u32_e32 v52, v18, v17
	v_min_i32_e32 v30, v36, v30
	v_sub_nc_u32_e32 v57, v37, v51
	s_wait_alu 0xf1ff
	v_cndmask_b32_e64 v36, 0, v56, s0
	v_cmp_ge_i32_e64 s0, v37, v51
	v_and_b32_e32 v39, 0xf8, v1
	v_or_b32_e32 v21, 0x100, v7
	v_add_nc_u32_e32 v22, 0x200, v7
	v_add_nc_u32_e32 v25, v15, v37
	v_sub_nc_u32_e32 v32, v17, v5
	v_sub_nc_u32_e32 v53, v20, v19
	v_min_i32_e32 v31, v37, v31
	v_sub_nc_u32_e32 v58, v38, v52
	s_wait_alu 0xf1ff
	v_cndmask_b32_e64 v37, 0, v57, s0
	v_cmp_ge_i32_e64 s0, v38, v52
	v_and_b32_e32 v40, 0x1f8, v1
	v_add_nc_u32_e32 v26, v17, v38
	v_sub_nc_u32_e32 v33, v19, v6
	v_sub_nc_u32_e32 v54, v22, v21
	v_min_i32_e32 v32, v38, v32
	v_sub_nc_u32_e32 v59, v39, v53
	s_wait_alu 0xf1ff
	v_cndmask_b32_e64 v38, 0, v58, s0
	v_cmp_ge_i32_e64 s0, v39, v53
	v_add_nc_u32_e32 v27, v19, v39
	v_sub_nc_u32_e32 v34, v21, v7
	v_min_i32_e32 v33, v39, v33
	v_sub_nc_u32_e32 v60, v40, v54
	s_wait_alu 0xf1ff
	v_cndmask_b32_e64 v39, 0, v59, s0
	v_cmp_ge_i32_e64 s0, v40, v54
	v_add_nc_u32_e32 v28, v21, v40
	v_min_i32_e32 v34, v40, v34
	v_subrev_nc_u32_e64 v8, 0x200, v1 clamp
	v_min_i32_e32 v9, 0x200, v1
	s_wait_alu 0xf1ff
	v_cndmask_b32_e64 v40, 0, v60, s0
	v_add_nc_u32_e32 v10, 0x200, v1
	v_cmp_lt_i32_e64 s0, v35, v29
	v_cmp_lt_i32_e64 s1, v36, v30
	v_cmp_lt_i32_e64 s2, v37, v31
	v_cmp_lt_i32_e64 s3, v38, v32
	v_cmp_lt_i32_e64 s4, v39, v33
	v_cmp_lt_i32_e64 s5, v40, v34
	v_cmp_lt_i32_e32 vcc_lo, v8, v9
	s_wait_loadcnt 0x3
	v_perm_b32 v41, v45, v41, 0xc0c0004
	s_wait_loadcnt 0x2
	v_perm_b32 v44, v44, v46, 0xc0c0004
	;; [unrolled: 2-line block ×4, first 2 shown]
	v_lshl_or_b32 v50, v44, 16, v41
	s_delay_alu instid0(VALU_DEP_2)
	v_lshl_or_b32 v41, v42, 16, v43
	s_branch .LBB98_2
.LBB98_1:                               ;   in Loop: Header=BB98_2 Depth=1
	s_or_b32 exec_lo, exec_lo, s13
	s_wait_dscnt 0x0
	v_and_b32_e32 v59, 0xff, v56
	v_and_b32_e32 v60, 0xff, v58
	v_cndmask_b32_e64 v42, v41, v42, s6
	v_cndmask_b32_e64 v43, v43, v44, s7
	v_cmp_le_i32_e64 s6, 0x200, v57
	v_cndmask_b32_e64 v44, v45, v46, s8
	v_cmp_lt_u16_e64 s7, v60, v59
	v_cmp_gt_i32_e64 s8, 0x400, v55
	v_cndmask_b32_e64 v45, v47, v48, s9
	v_cndmask_b32_e64 v46, v49, v50, s10
	;; [unrolled: 1-line block ×3, first 2 shown]
	s_or_b32 s6, s6, s7
	v_cndmask_b32_e64 v48, v53, v54, s12
	s_wait_alu 0xfffe
	s_and_b32 s6, s8, s6
	v_lshlrev_b16 v41, 8, v43
	s_wait_alu 0xfffe
	v_cndmask_b32_e64 v49, v56, v58, s6
	v_and_b32_e32 v50, 0xff, v42
	v_lshlrev_b16 v51, 8, v45
	v_and_b32_e32 v52, 0xff, v44
	v_lshlrev_b16 v53, 8, v47
	v_and_b32_e32 v54, 0xff, v46
	v_and_b32_e32 v55, 0xff, v48
	v_lshlrev_b16 v56, 8, v49
	v_or_b32_e32 v41, v50, v41
	v_or_b32_e32 v50, v52, v51
	;; [unrolled: 1-line block ×3, first 2 shown]
	s_add_co_i32 s15, s15, 1
	v_or_b32_e32 v52, v55, v56
	v_and_b32_e32 v41, 0xffff, v41
	v_lshlrev_b32_e32 v50, 16, v50
	v_and_b32_e32 v51, 0xffff, v51
	s_cmp_eq_u32 s15, 10
	v_lshlrev_b32_e32 v52, 16, v52
	s_delay_alu instid0(VALU_DEP_3) | instskip(NEXT) | instid1(VALU_DEP_2)
	v_or_b32_e32 v50, v41, v50
	v_or_b32_e32 v41, v51, v52
	s_cbranch_scc1 .LBB98_226
.LBB98_2:                               ; =>This Loop Header: Depth=1
                                        ;     Child Loop BB98_4 Depth 2
                                        ;     Child Loop BB98_36 Depth 2
	;; [unrolled: 1-line block ×7, first 2 shown]
	s_delay_alu instid0(VALU_DEP_2) | instskip(SKIP_3) | instid1(VALU_DEP_4)
	v_lshrrev_b32_e32 v42, 8, v50
	v_and_b32_e32 v43, 0xff, v50
	v_perm_b32 v44, v50, v50, 0x7060405
	v_and_b32_e32 v52, 0xff, v41
	v_and_b32_e32 v42, 0xff, v42
	s_barrier_signal -1
	s_barrier_wait -1
	global_inv scope:SCOPE_SE
	v_cmp_lt_u16_e64 s6, v42, v43
	v_max_u16 v49, v42, v43
	v_min_u16 v42, v42, v43
	s_wait_alu 0xf1ff
	s_delay_alu instid0(VALU_DEP_3) | instskip(NEXT) | instid1(VALU_DEP_1)
	v_cndmask_b32_e64 v44, v50, v44, s6
	v_lshrrev_b32_e32 v45, 16, v44
	v_lshrrev_b32_e32 v47, 24, v44
	s_delay_alu instid0(VALU_DEP_2) | instskip(SKIP_1) | instid1(VALU_DEP_2)
	v_perm_b32 v46, 0, v45, 0xc0c0001
	v_and_b32_e32 v45, 0xff, v45
	v_lshlrev_b32_e32 v46, 16, v46
	s_delay_alu instid0(VALU_DEP_2) | instskip(NEXT) | instid1(VALU_DEP_2)
	v_cmp_lt_u16_e64 s6, v47, v45
	v_and_or_b32 v46, 0xffff, v44, v46
	s_wait_alu 0xf1ff
	s_delay_alu instid0(VALU_DEP_1) | instskip(SKIP_2) | instid1(VALU_DEP_3)
	v_cndmask_b32_e64 v44, v44, v46, s6
	v_min_u16 v46, v47, v45
	v_max_u16 v45, v47, v45
	v_lshrrev_b32_e32 v48, 16, v44
	s_delay_alu instid0(VALU_DEP_3) | instskip(SKIP_4) | instid1(VALU_DEP_4)
	v_lshlrev_b16 v50, 8, v46
	v_and_b32_e32 v51, 0xff, v44
	v_cmp_lt_u16_e64 s6, v46, v49
	v_cmp_lt_u16_e64 s7, v46, v42
	v_and_b32_e32 v48, 0xffffff00, v48
	v_or_b32_e32 v50, v51, v50
	v_lshrrev_b32_e32 v51, 8, v41
	s_delay_alu instid0(VALU_DEP_3) | instskip(NEXT) | instid1(VALU_DEP_3)
	v_or_b32_e32 v48, v49, v48
	v_and_b32_e32 v50, 0xffff, v50
	s_delay_alu instid0(VALU_DEP_2) | instskip(NEXT) | instid1(VALU_DEP_1)
	v_lshlrev_b32_e32 v48, 16, v48
	v_or_b32_e32 v48, v50, v48
	v_and_b32_e32 v50, 0xff, v51
	v_perm_b32 v51, v41, v41, 0x7060405
	s_wait_alu 0xf1ff
	s_delay_alu instid0(VALU_DEP_3) | instskip(NEXT) | instid1(VALU_DEP_3)
	v_cndmask_b32_e64 v44, v44, v48, s6
	v_cmp_lt_u16_e64 s6, v50, v52
	v_min_u16 v48, v50, v52
	s_wait_alu 0xf1ff
	s_delay_alu instid0(VALU_DEP_2) | instskip(SKIP_1) | instid1(VALU_DEP_3)
	v_cndmask_b32_e64 v41, v41, v51, s6
	v_lshrrev_b32_e32 v51, 16, v44
	v_lshlrev_b16 v55, 8, v48
	s_delay_alu instid0(VALU_DEP_3) | instskip(SKIP_1) | instid1(VALU_DEP_4)
	v_lshrrev_b32_e32 v53, 16, v41
	v_lshrrev_b32_e32 v54, 24, v41
	v_and_b32_e32 v51, 0xff, v51
	v_perm_b32 v56, v41, v41, 0x6070504
	s_delay_alu instid0(VALU_DEP_4) | instskip(NEXT) | instid1(VALU_DEP_3)
	v_and_b32_e32 v53, 0xff, v53
	v_or_b32_e32 v43, v51, v55
	v_lshlrev_b16 v51, 8, v42
	v_min_u16 v55, v46, v49
	s_delay_alu instid0(VALU_DEP_4) | instskip(SKIP_2) | instid1(VALU_DEP_4)
	v_cmp_lt_u16_e64 s6, v54, v53
	v_max_u16 v49, v46, v49
	v_lshlrev_b32_e32 v43, 16, v43
	v_or_b32_e32 v51, v55, v51
	s_wait_alu 0xf1ff
	v_cndmask_b32_e64 v41, v41, v56, s6
	v_cmp_lt_u16_e64 s6, v48, v45
	v_and_or_b32 v43, 0xffff, v44, v43
	v_min_u16 v56, v48, v45
	v_lshlrev_b16 v57, 8, v49
	v_and_b32_e32 v47, 0xffffff00, v41
	v_and_b32_e32 v51, 0xffff, v51
	s_wait_alu 0xf1ff
	v_cndmask_b32_e64 v43, v44, v43, s6
	v_max_u16 v44, v50, v52
	v_or_b32_e32 v50, v56, v57
	v_or_b32_e32 v47, v45, v47
	v_max_u16 v45, v48, v45
	v_and_or_b32 v51, 0xffff0000, v43, v51
	v_max_u16 v52, v54, v53
	v_lshlrev_b32_e32 v50, 16, v50
	v_and_b32_e32 v47, 0xffff, v47
	v_min_u16 v53, v54, v53
	v_cndmask_b32_e64 v43, v43, v51, s7
	v_min_u16 v54, v56, v49
	v_lshlrev_b16 v57, 8, v45
	v_and_or_b32 v47, 0xffff0000, v41, v47
	v_lshlrev_b16 v46, 8, v53
	v_and_or_b32 v48, 0xffff, v43, v50
	v_min_u16 v50, v53, v44
	v_lshlrev_b16 v58, 8, v54
	v_cndmask_b32_e64 v41, v41, v47, s6
	v_cmp_lt_u16_e64 s6, v56, v49
	v_max_u16 v47, v53, v44
	v_or_b32_e32 v57, v50, v57
	v_max_u16 v49, v56, v49
	v_lshrrev_b32_e32 v51, 16, v41
	s_wait_alu 0xf1ff
	v_cndmask_b32_e64 v43, v43, v48, s6
	v_and_b32_e32 v48, 0xff, v41
	v_cmp_lt_u16_e64 s6, v53, v44
	v_and_b32_e32 v51, 0xffffff00, v51
	s_delay_alu instid0(VALU_DEP_4) | instskip(NEXT) | instid1(VALU_DEP_4)
	v_lshrrev_b32_e32 v59, 16, v43
	v_or_b32_e32 v46, v48, v46
	v_and_b32_e32 v60, 0xff, v43
	s_delay_alu instid0(VALU_DEP_4)
	v_or_b32_e32 v48, v44, v51
	v_cndmask_b32_e64 v51, v55, v42, s7
	v_and_b32_e32 v59, 0xffffff00, v59
	v_and_b32_e32 v46, 0xffff, v46
	v_or_b32_e32 v58, v60, v58
	v_lshlrev_b32_e32 v48, 16, v48
	v_lshlrev_b16 v60, 8, v47
	v_or_b32_e32 v59, v51, v59
	v_cndmask_b32_e64 v42, v42, v55, s7
	s_delay_alu instid0(VALU_DEP_4)
	v_or_b32_e32 v46, v46, v48
	v_and_b32_e32 v48, 0xffff, v57
	v_and_b32_e32 v57, 0xffff, v58
	v_lshlrev_b32_e32 v58, 16, v59
	s_wait_alu 0xf1ff
	v_cndmask_b32_e64 v41, v41, v46, s6
	v_cmp_lt_u16_e64 s6, v54, v51
	v_or_b32_e32 v46, v52, v60
	v_or_b32_e32 v53, v57, v58
	s_delay_alu instid0(VALU_DEP_4) | instskip(NEXT) | instid1(VALU_DEP_3)
	v_and_or_b32 v48, 0xffff0000, v41, v48
	v_lshlrev_b32_e32 v46, 16, v46
	s_wait_alu 0xf1ff
	s_delay_alu instid0(VALU_DEP_3) | instskip(SKIP_1) | instid1(VALU_DEP_2)
	v_cndmask_b32_e64 v43, v43, v53, s6
	v_cmp_lt_u16_e64 s6, v50, v45
	v_lshrrev_b32_e32 v53, 16, v43
	s_wait_alu 0xf1ff
	s_delay_alu instid0(VALU_DEP_2)
	v_cndmask_b32_e64 v41, v41, v48, s6
	v_min_u16 v48, v50, v45
	v_cmp_gt_u16_e64 s6, v44, v52
	v_max_u16 v44, v50, v45
	v_and_b32_e32 v53, 0xff, v53
	v_and_or_b32 v46, 0xffff, v41, v46
	v_lshlrev_b16 v56, 8, v48
	v_cmp_lt_u16_e64 s7, v48, v49
	v_max_u16 v55, v48, v49
	s_wait_alu 0xf1ff
	v_cndmask_b32_e64 v41, v41, v46, s6
	v_or_b32_e32 v45, v53, v56
	v_min_u16 v46, v54, v51
	v_lshlrev_b16 v53, 8, v42
	v_max_u16 v51, v54, v51
	v_and_b32_e32 v50, 0xffffff00, v41
	v_lshlrev_b32_e32 v45, 16, v45
	v_min_u16 v54, v48, v49
	v_or_b32_e32 v53, v46, v53
	v_lshlrev_b16 v56, 8, v51
	v_or_b32_e32 v50, v49, v50
	v_and_or_b32 v45, 0xffff, v43, v45
	v_lshlrev_b16 v49, 8, v55
	v_and_b32_e32 v53, 0xffff, v53
	s_delay_alu instid0(VALU_DEP_4) | instskip(NEXT) | instid1(VALU_DEP_4)
	v_and_b32_e32 v50, 0xffff, v50
	v_cndmask_b32_e64 v43, v43, v45, s7
	v_or_b32_e32 v45, v54, v56
	s_delay_alu instid0(VALU_DEP_3) | instskip(NEXT) | instid1(VALU_DEP_3)
	v_and_or_b32 v48, 0xffff0000, v41, v50
	v_and_or_b32 v53, 0xffff0000, v43, v53
	s_delay_alu instid0(VALU_DEP_3) | instskip(SKIP_1) | instid1(VALU_DEP_4)
	v_lshlrev_b32_e32 v45, 16, v45
	v_min_u16 v50, v54, v51
	v_cndmask_b32_e64 v41, v41, v48, s7
	v_cmp_lt_u16_e64 s7, v46, v42
	v_cndmask_b32_e64 v48, v47, v52, s6
	v_cndmask_b32_e64 v47, v52, v47, s6
	v_cmp_lt_u16_e64 s6, v54, v51
	v_lshrrev_b32_e32 v56, 16, v41
	s_wait_alu 0xf1ff
	v_cndmask_b32_e64 v43, v43, v53, s7
	v_lshlrev_b16 v58, 8, v48
	v_and_b32_e32 v59, 0xff, v41
	v_max_u16 v53, v46, v42
	v_and_b32_e32 v56, 0xffffff00, v56
	v_and_or_b32 v45, 0xffff, v43, v45
	v_lshlrev_b16 v57, 8, v50
	v_min_u16 v42, v46, v42
	s_delay_alu instid0(VALU_DEP_4) | instskip(NEXT) | instid1(VALU_DEP_4)
	v_or_b32_e32 v52, v44, v56
	v_cndmask_b32_e64 v43, v43, v45, s6
	v_or_b32_e32 v45, v59, v58
	v_min_u16 v56, v48, v44
	v_cmp_lt_u16_e64 s6, v48, v44
	v_lshlrev_b32_e32 v52, 16, v52
	v_lshrrev_b32_e32 v59, 16, v43
	v_and_b32_e32 v45, 0xffff, v45
	v_or_b32_e32 v49, v56, v49
	v_and_b32_e32 v60, 0xff, v43
	v_max_u16 v58, v48, v44
	v_and_b32_e32 v59, 0xffffff00, v59
	v_or_b32_e32 v45, v45, v52
	v_and_b32_e32 v49, 0xffff, v49
	v_or_b32_e32 v52, v60, v57
	v_lshlrev_b16 v61, 8, v58
	v_or_b32_e32 v57, v53, v59
	s_wait_alu 0xf1ff
	v_cndmask_b32_e64 v41, v41, v45, s6
	v_cmp_lt_u16_e64 s6, v56, v55
	v_and_b32_e32 v45, 0xffff, v52
	v_or_b32_e32 v44, v47, v61
	v_lshlrev_b32_e32 v48, 16, v57
	v_and_or_b32 v49, 0xffff0000, v41, v49
	v_min_u16 v46, v56, v55
	s_delay_alu instid0(VALU_DEP_4) | instskip(NEXT) | instid1(VALU_DEP_4)
	v_lshlrev_b32_e32 v44, 16, v44
	v_or_b32_e32 v45, v45, v48
	s_wait_alu 0xf1ff
	v_cndmask_b32_e64 v41, v41, v49, s6
	v_cmp_lt_u16_e64 s6, v50, v53
	v_lshlrev_b16 v49, 8, v46
	s_delay_alu instid0(VALU_DEP_3) | instskip(SKIP_1) | instid1(VALU_DEP_3)
	v_and_or_b32 v44, 0xffff, v41, v44
	s_wait_alu 0xf1ff
	v_cndmask_b32_e64 v43, v43, v45, s6
	v_cmp_lt_u16_e64 s6, v47, v58
	v_max_u16 v45, v54, v51
	v_lshlrev_b16 v51, 8, v42
	v_max_u16 v54, v56, v55
	v_lshrrev_b32_e32 v48, 16, v43
	s_wait_alu 0xf1ff
	v_cndmask_b32_e64 v41, v41, v44, s6
	v_min_u16 v44, v50, v53
	v_max_u16 v53, v50, v53
	v_cmp_lt_u16_e64 s6, v46, v45
	v_and_b32_e32 v48, 0xff, v48
	v_and_b32_e32 v52, 0xffffff00, v41
	v_min_u16 v56, v46, v45
	v_max_u16 v55, v47, v58
	v_min_u16 v47, v47, v58
	v_or_b32_e32 v48, v48, v49
	v_or_b32_e32 v49, v44, v51
	;; [unrolled: 1-line block ×3, first 2 shown]
	v_lshlrev_b16 v52, 8, v53
	v_max_u16 v45, v46, v45
	v_lshlrev_b32_e32 v48, 16, v48
	v_and_b32_e32 v49, 0xffff, v49
	v_and_b32_e32 v51, 0xffff, v51
	v_or_b32_e32 v46, v56, v52
	v_cmp_lt_u16_e64 s7, v56, v53
	v_and_or_b32 v48, 0xffff, v43, v48
	v_lshlrev_b16 v57, 8, v45
	v_and_or_b32 v51, 0xffff0000, v41, v51
	v_lshlrev_b32_e32 v46, 16, v46
	v_min_u16 v58, v56, v53
	s_wait_alu 0xf1ff
	v_cndmask_b32_e64 v43, v43, v48, s6
	v_lshlrev_b16 v48, 8, v47
	v_cndmask_b32_e64 v41, v41, v51, s6
	v_cmp_lt_u16_e64 s6, v50, v42
	v_max_u16 v51, v47, v54
	v_and_or_b32 v49, 0xffff0000, v43, v49
	v_lshlrev_b16 v59, 8, v58
	v_lshrrev_b32_e32 v52, 16, v41
	v_and_b32_e32 v50, 0xff, v41
	s_wait_alu 0xf1ff
	v_cndmask_b32_e64 v42, v44, v42, s6
	v_cndmask_b32_e64 v43, v43, v49, s6
	v_min_u16 v49, v47, v54
	v_and_b32_e32 v52, 0xffffff00, v52
	v_or_b32_e32 v48, v50, v48
	v_cmp_lt_u16_e64 s6, v47, v54
	v_and_or_b32 v46, 0xffff, v43, v46
	s_delay_alu instid0(VALU_DEP_4) | instskip(NEXT) | instid1(VALU_DEP_4)
	v_or_b32_e32 v50, v54, v52
	v_and_b32_e32 v48, 0xffff, v48
	v_or_b32_e32 v52, v49, v57
	s_delay_alu instid0(VALU_DEP_4) | instskip(SKIP_2) | instid1(VALU_DEP_4)
	v_cndmask_b32_e64 v43, v43, v46, s7
	v_lshlrev_b16 v46, 8, v51
	v_lshlrev_b32_e32 v50, 16, v50
	v_and_b32_e32 v52, 0xffff, v52
	s_delay_alu instid0(VALU_DEP_4) | instskip(NEXT) | instid1(VALU_DEP_4)
	v_lshrrev_b32_e32 v57, 16, v43
	v_or_b32_e32 v46, v55, v46
	s_delay_alu instid0(VALU_DEP_4) | instskip(SKIP_1) | instid1(VALU_DEP_4)
	v_or_b32_e32 v44, v48, v50
	v_and_b32_e32 v48, 0xff, v43
	v_and_b32_e32 v50, 0xffffff00, v57
	s_delay_alu instid0(VALU_DEP_4)
	v_lshlrev_b32_e32 v46, 16, v46
	s_wait_alu 0xf1ff
	v_cndmask_b32_e64 v41, v41, v44, s6
	v_or_b32_e32 v44, v48, v59
	v_cmp_lt_u16_e64 s6, v49, v45
	v_or_b32_e32 v47, v42, v50
	s_delay_alu instid0(VALU_DEP_4) | instskip(NEXT) | instid1(VALU_DEP_4)
	v_and_or_b32 v48, 0xffff0000, v41, v52
	v_and_b32_e32 v44, 0xffff, v44
	s_delay_alu instid0(VALU_DEP_3) | instskip(SKIP_1) | instid1(VALU_DEP_3)
	v_lshlrev_b32_e32 v47, 16, v47
	s_wait_alu 0xf1ff
	v_cndmask_b32_e64 v41, v41, v48, s6
	v_cmp_lt_u16_e64 s6, v58, v42
	s_delay_alu instid0(VALU_DEP_3) | instskip(NEXT) | instid1(VALU_DEP_3)
	v_or_b32_e32 v44, v44, v47
	v_and_or_b32 v46, 0xffff, v41, v46
	s_wait_alu 0xf1ff
	s_delay_alu instid0(VALU_DEP_2) | instskip(SKIP_3) | instid1(VALU_DEP_4)
	v_cndmask_b32_e64 v42, v43, v44, s6
	v_cmp_gt_u16_e64 s6, v54, v55
	v_min_u16 v43, v49, v45
	v_max_u16 v45, v49, v45
	v_lshrrev_b32_e32 v44, 16, v42
	s_wait_alu 0xf1ff
	v_cndmask_b32_e64 v41, v41, v46, s6
	v_max_u16 v46, v56, v53
	v_lshlrev_b16 v47, 8, v43
	v_and_b32_e32 v44, 0xff, v44
	s_delay_alu instid0(VALU_DEP_4) | instskip(NEXT) | instid1(VALU_DEP_4)
	v_and_b32_e32 v48, 0xffffff00, v41
	v_cmp_lt_u16_e64 s7, v43, v46
	v_cndmask_b32_e64 v43, v51, v55, s6
	s_delay_alu instid0(VALU_DEP_4) | instskip(NEXT) | instid1(VALU_DEP_4)
	v_or_b32_e32 v44, v44, v47
	v_or_b32_e32 v48, v46, v48
	s_delay_alu instid0(VALU_DEP_3) | instskip(SKIP_1) | instid1(VALU_DEP_4)
	v_lshlrev_b16 v46, 8, v43
	v_cmp_lt_u16_e64 s6, v43, v45
	v_lshlrev_b32_e32 v44, 16, v44
	s_delay_alu instid0(VALU_DEP_4) | instskip(NEXT) | instid1(VALU_DEP_2)
	v_and_b32_e32 v47, 0xffff, v48
	v_and_or_b32 v44, 0xffff, v42, v44
	s_delay_alu instid0(VALU_DEP_2) | instskip(SKIP_1) | instid1(VALU_DEP_2)
	v_and_or_b32 v47, 0xffff0000, v41, v47
	s_wait_alu 0xf1ff
	v_cndmask_b32_e64 v42, v42, v44, s7
	s_delay_alu instid0(VALU_DEP_2) | instskip(NEXT) | instid1(VALU_DEP_1)
	v_cndmask_b32_e64 v41, v41, v47, s7
	v_lshrrev_b32_e32 v44, 16, v41
	v_and_b32_e32 v47, 0xff, v41
	s_delay_alu instid0(VALU_DEP_2) | instskip(NEXT) | instid1(VALU_DEP_2)
	v_and_b32_e32 v44, 0xffffff00, v44
	v_or_b32_e32 v46, v47, v46
	s_delay_alu instid0(VALU_DEP_2) | instskip(NEXT) | instid1(VALU_DEP_2)
	v_or_b32_e32 v44, v45, v44
	v_and_b32_e32 v46, 0xffff, v46
	s_delay_alu instid0(VALU_DEP_2) | instskip(NEXT) | instid1(VALU_DEP_1)
	v_lshlrev_b32_e32 v44, 16, v44
	v_or_b32_e32 v44, v46, v44
	s_delay_alu instid0(VALU_DEP_1)
	v_cndmask_b32_e64 v43, v41, v44, s6
	v_mov_b32_e32 v41, v35
	ds_store_b64 v1, v[42:43]
	s_wait_loadcnt_dscnt 0x0
	s_barrier_signal -1
	s_barrier_wait -1
	global_inv scope:SCOPE_SE
	s_and_saveexec_b32 s7, s0
	s_cbranch_execz .LBB98_6
; %bb.3:                                ;   in Loop: Header=BB98_2 Depth=1
	v_dual_mov_b32 v41, v35 :: v_dual_mov_b32 v42, v29
	s_mov_b32 s8, 0
.LBB98_4:                               ;   Parent Loop BB98_2 Depth=1
                                        ; =>  This Inner Loop Header: Depth=2
	s_delay_alu instid0(VALU_DEP_1) | instskip(NEXT) | instid1(VALU_DEP_1)
	v_sub_nc_u32_e32 v43, v42, v41
	v_lshrrev_b32_e32 v43, 1, v43
	s_delay_alu instid0(VALU_DEP_1) | instskip(NEXT) | instid1(VALU_DEP_1)
	v_add_nc_u32_e32 v43, v43, v41
	v_add_nc_u32_e32 v44, v2, v43
	v_xad_u32 v45, v43, -1, v23
	v_add_nc_u32_e32 v46, 1, v43
	ds_load_u8 v44, v44
	ds_load_u8 v45, v45
	s_wait_dscnt 0x0
	v_cmp_lt_u16_e64 s6, v45, v44
	s_wait_alu 0xf1ff
	s_delay_alu instid0(VALU_DEP_1) | instskip(SKIP_1) | instid1(VALU_DEP_1)
	v_cndmask_b32_e64 v42, v42, v43, s6
	v_cndmask_b32_e64 v41, v46, v41, s6
	v_cmp_ge_i32_e64 s6, v41, v42
	s_wait_alu 0xfffe
	s_or_b32 s8, s6, s8
	s_wait_alu 0xfffe
	s_and_not1_b32 exec_lo, exec_lo, s8
	s_cbranch_execnz .LBB98_4
; %bb.5:                                ;   in Loop: Header=BB98_2 Depth=1
	s_or_b32 exec_lo, exec_lo, s8
.LBB98_6:                               ;   in Loop: Header=BB98_2 Depth=1
	s_wait_alu 0xfffe
	s_or_b32 exec_lo, exec_lo, s7
	v_add_nc_u32_e32 v46, v41, v2
	v_sub_nc_u32_e32 v45, v23, v41
	ds_load_u8 v41, v46
	ds_load_u8 v42, v45
	v_cmp_le_i32_e64 s6, v11, v46
	v_cmp_gt_i32_e64 s8, v12, v45
	s_wait_dscnt 0x1
	v_and_b32_e32 v43, 0xff, v41
	s_wait_dscnt 0x0
	v_and_b32_e32 v44, 0xff, v42
	s_delay_alu instid0(VALU_DEP_1)
	v_cmp_lt_u16_e64 s7, v44, v43
                                        ; implicit-def: $vgpr43
	s_or_b32 s6, s6, s7
	s_wait_alu 0xfffe
	s_and_b32 s6, s8, s6
	s_wait_alu 0xfffe
	s_xor_b32 s7, s6, -1
	s_wait_alu 0xfffe
	s_and_saveexec_b32 s8, s7
	s_wait_alu 0xfffe
	s_xor_b32 s7, exec_lo, s8
; %bb.7:                                ;   in Loop: Header=BB98_2 Depth=1
	ds_load_u8 v43, v46 offset:1
; %bb.8:                                ;   in Loop: Header=BB98_2 Depth=1
	s_wait_alu 0xfffe
	s_or_saveexec_b32 s7, s7
	v_mov_b32_e32 v44, v42
	s_wait_alu 0xfffe
	s_xor_b32 exec_lo, exec_lo, s7
	s_cbranch_execz .LBB98_10
; %bb.9:                                ;   in Loop: Header=BB98_2 Depth=1
	ds_load_u8 v44, v45 offset:1
	s_wait_dscnt 0x1
	v_mov_b32_e32 v43, v41
.LBB98_10:                              ;   in Loop: Header=BB98_2 Depth=1
	s_or_b32 exec_lo, exec_lo, s7
	v_add_nc_u32_e32 v47, 1, v46
	v_add_nc_u32_e32 v49, 1, v45
	s_wait_dscnt 0x0
	v_and_b32_e32 v50, 0xff, v43
	s_delay_alu instid0(VALU_DEP_3) | instskip(SKIP_2) | instid1(VALU_DEP_3)
	v_cndmask_b32_e64 v48, v47, v46, s6
	v_and_b32_e32 v46, 0xff, v44
	v_cndmask_b32_e64 v47, v45, v49, s6
                                        ; implicit-def: $vgpr45
	v_cmp_ge_i32_e64 s7, v48, v11
	s_delay_alu instid0(VALU_DEP_3) | instskip(NEXT) | instid1(VALU_DEP_3)
	v_cmp_lt_u16_e64 s8, v46, v50
	v_cmp_lt_i32_e64 s9, v47, v12
	s_or_b32 s7, s7, s8
	s_wait_alu 0xfffe
	s_and_b32 s7, s9, s7
	s_wait_alu 0xfffe
	s_xor_b32 s8, s7, -1
	s_wait_alu 0xfffe
	s_and_saveexec_b32 s9, s8
	s_wait_alu 0xfffe
	s_xor_b32 s8, exec_lo, s9
; %bb.11:                               ;   in Loop: Header=BB98_2 Depth=1
	ds_load_u8 v45, v48 offset:1
; %bb.12:                               ;   in Loop: Header=BB98_2 Depth=1
	s_wait_alu 0xfffe
	s_or_saveexec_b32 s8, s8
	v_mov_b32_e32 v46, v44
	s_wait_alu 0xfffe
	s_xor_b32 exec_lo, exec_lo, s8
	s_cbranch_execz .LBB98_14
; %bb.13:                               ;   in Loop: Header=BB98_2 Depth=1
	ds_load_u8 v46, v47 offset:1
	s_wait_dscnt 0x1
	v_mov_b32_e32 v45, v43
.LBB98_14:                              ;   in Loop: Header=BB98_2 Depth=1
	s_or_b32 exec_lo, exec_lo, s8
	v_add_nc_u32_e32 v49, 1, v48
	v_add_nc_u32_e32 v51, 1, v47
	s_wait_dscnt 0x0
	v_and_b32_e32 v52, 0xff, v45
	s_delay_alu instid0(VALU_DEP_3) | instskip(SKIP_2) | instid1(VALU_DEP_3)
	v_cndmask_b32_e64 v50, v49, v48, s7
	v_and_b32_e32 v48, 0xff, v46
	v_cndmask_b32_e64 v49, v47, v51, s7
                                        ; implicit-def: $vgpr47
	v_cmp_ge_i32_e64 s8, v50, v11
	s_delay_alu instid0(VALU_DEP_3) | instskip(NEXT) | instid1(VALU_DEP_3)
	v_cmp_lt_u16_e64 s9, v48, v52
	v_cmp_lt_i32_e64 s10, v49, v12
	s_or_b32 s8, s8, s9
	s_wait_alu 0xfffe
	s_and_b32 s8, s10, s8
	s_wait_alu 0xfffe
	s_xor_b32 s9, s8, -1
	s_wait_alu 0xfffe
	s_and_saveexec_b32 s10, s9
	s_wait_alu 0xfffe
	s_xor_b32 s9, exec_lo, s10
; %bb.15:                               ;   in Loop: Header=BB98_2 Depth=1
	ds_load_u8 v47, v50 offset:1
; %bb.16:                               ;   in Loop: Header=BB98_2 Depth=1
	s_wait_alu 0xfffe
	s_or_saveexec_b32 s9, s9
	v_mov_b32_e32 v48, v46
	s_wait_alu 0xfffe
	s_xor_b32 exec_lo, exec_lo, s9
	s_cbranch_execz .LBB98_18
; %bb.17:                               ;   in Loop: Header=BB98_2 Depth=1
	ds_load_u8 v48, v49 offset:1
	s_wait_dscnt 0x1
	v_mov_b32_e32 v47, v45
.LBB98_18:                              ;   in Loop: Header=BB98_2 Depth=1
	s_or_b32 exec_lo, exec_lo, s9
	v_add_nc_u32_e32 v51, 1, v50
	v_add_nc_u32_e32 v53, 1, v49
	s_wait_dscnt 0x0
	v_and_b32_e32 v54, 0xff, v47
	s_delay_alu instid0(VALU_DEP_3) | instskip(SKIP_2) | instid1(VALU_DEP_3)
	v_cndmask_b32_e64 v52, v51, v50, s8
	v_and_b32_e32 v50, 0xff, v48
	v_cndmask_b32_e64 v51, v49, v53, s8
                                        ; implicit-def: $vgpr49
	v_cmp_ge_i32_e64 s9, v52, v11
	s_delay_alu instid0(VALU_DEP_3) | instskip(NEXT) | instid1(VALU_DEP_3)
	v_cmp_lt_u16_e64 s10, v50, v54
	v_cmp_lt_i32_e64 s11, v51, v12
	s_or_b32 s9, s9, s10
	s_wait_alu 0xfffe
	s_and_b32 s9, s11, s9
	s_wait_alu 0xfffe
	s_xor_b32 s10, s9, -1
	s_wait_alu 0xfffe
	s_and_saveexec_b32 s11, s10
	s_wait_alu 0xfffe
	s_xor_b32 s10, exec_lo, s11
; %bb.19:                               ;   in Loop: Header=BB98_2 Depth=1
	ds_load_u8 v49, v52 offset:1
; %bb.20:                               ;   in Loop: Header=BB98_2 Depth=1
	s_wait_alu 0xfffe
	s_or_saveexec_b32 s10, s10
	v_mov_b32_e32 v50, v48
	s_wait_alu 0xfffe
	s_xor_b32 exec_lo, exec_lo, s10
	s_cbranch_execz .LBB98_22
; %bb.21:                               ;   in Loop: Header=BB98_2 Depth=1
	ds_load_u8 v50, v51 offset:1
	s_wait_dscnt 0x1
	v_mov_b32_e32 v49, v47
.LBB98_22:                              ;   in Loop: Header=BB98_2 Depth=1
	s_or_b32 exec_lo, exec_lo, s10
	v_add_nc_u32_e32 v53, 1, v52
	v_add_nc_u32_e32 v55, 1, v51
	s_wait_dscnt 0x0
	v_and_b32_e32 v56, 0xff, v49
	s_delay_alu instid0(VALU_DEP_3) | instskip(SKIP_2) | instid1(VALU_DEP_3)
	v_cndmask_b32_e64 v54, v53, v52, s9
	v_and_b32_e32 v52, 0xff, v50
	v_cndmask_b32_e64 v53, v51, v55, s9
                                        ; implicit-def: $vgpr51
	v_cmp_ge_i32_e64 s10, v54, v11
	s_delay_alu instid0(VALU_DEP_3) | instskip(NEXT) | instid1(VALU_DEP_3)
	v_cmp_lt_u16_e64 s11, v52, v56
	v_cmp_lt_i32_e64 s12, v53, v12
	s_or_b32 s10, s10, s11
	s_wait_alu 0xfffe
	s_and_b32 s10, s12, s10
	s_wait_alu 0xfffe
	s_xor_b32 s11, s10, -1
	s_wait_alu 0xfffe
	s_and_saveexec_b32 s12, s11
	s_wait_alu 0xfffe
	s_xor_b32 s11, exec_lo, s12
; %bb.23:                               ;   in Loop: Header=BB98_2 Depth=1
	ds_load_u8 v51, v54 offset:1
; %bb.24:                               ;   in Loop: Header=BB98_2 Depth=1
	s_wait_alu 0xfffe
	s_or_saveexec_b32 s11, s11
	v_mov_b32_e32 v52, v50
	s_wait_alu 0xfffe
	s_xor_b32 exec_lo, exec_lo, s11
	s_cbranch_execz .LBB98_26
; %bb.25:                               ;   in Loop: Header=BB98_2 Depth=1
	ds_load_u8 v52, v53 offset:1
	s_wait_dscnt 0x1
	v_mov_b32_e32 v51, v49
.LBB98_26:                              ;   in Loop: Header=BB98_2 Depth=1
	s_or_b32 exec_lo, exec_lo, s11
	v_add_nc_u32_e32 v55, 1, v54
	v_add_nc_u32_e32 v57, 1, v53
	s_wait_dscnt 0x0
	v_and_b32_e32 v58, 0xff, v51
	s_delay_alu instid0(VALU_DEP_3) | instskip(SKIP_2) | instid1(VALU_DEP_3)
	v_cndmask_b32_e64 v56, v55, v54, s10
	v_and_b32_e32 v54, 0xff, v52
	v_cndmask_b32_e64 v55, v53, v57, s10
                                        ; implicit-def: $vgpr53
	v_cmp_ge_i32_e64 s11, v56, v11
	s_delay_alu instid0(VALU_DEP_3) | instskip(NEXT) | instid1(VALU_DEP_3)
	v_cmp_lt_u16_e64 s12, v54, v58
	v_cmp_lt_i32_e64 s13, v55, v12
	s_or_b32 s11, s11, s12
	s_wait_alu 0xfffe
	s_and_b32 s11, s13, s11
	s_wait_alu 0xfffe
	s_xor_b32 s12, s11, -1
	s_wait_alu 0xfffe
	s_and_saveexec_b32 s13, s12
	s_wait_alu 0xfffe
	s_xor_b32 s12, exec_lo, s13
; %bb.27:                               ;   in Loop: Header=BB98_2 Depth=1
	ds_load_u8 v53, v56 offset:1
; %bb.28:                               ;   in Loop: Header=BB98_2 Depth=1
	s_wait_alu 0xfffe
	s_or_saveexec_b32 s12, s12
	v_mov_b32_e32 v54, v52
	s_wait_alu 0xfffe
	s_xor_b32 exec_lo, exec_lo, s12
	s_cbranch_execz .LBB98_30
; %bb.29:                               ;   in Loop: Header=BB98_2 Depth=1
	ds_load_u8 v54, v55 offset:1
	s_wait_dscnt 0x1
	v_mov_b32_e32 v53, v51
.LBB98_30:                              ;   in Loop: Header=BB98_2 Depth=1
	s_or_b32 exec_lo, exec_lo, s12
	v_add_nc_u32_e32 v57, 1, v56
	v_add_nc_u32_e32 v58, 1, v55
	s_wait_dscnt 0x0
	v_and_b32_e32 v59, 0xff, v53
	v_and_b32_e32 v60, 0xff, v54
	v_cndmask_b32_e64 v57, v57, v56, s11
	v_cndmask_b32_e64 v56, v55, v58, s11
                                        ; implicit-def: $vgpr55
	s_delay_alu instid0(VALU_DEP_3) | instskip(NEXT) | instid1(VALU_DEP_3)
	v_cmp_lt_u16_e64 s13, v60, v59
	v_cmp_ge_i32_e64 s12, v57, v11
	s_delay_alu instid0(VALU_DEP_3)
	v_cmp_lt_i32_e64 s14, v56, v12
	s_or_b32 s12, s12, s13
	s_wait_alu 0xfffe
	s_and_b32 s12, s14, s12
	s_wait_alu 0xfffe
	s_xor_b32 s13, s12, -1
	s_wait_alu 0xfffe
	s_and_saveexec_b32 s14, s13
	s_delay_alu instid0(SALU_CYCLE_1)
	s_xor_b32 s13, exec_lo, s14
; %bb.31:                               ;   in Loop: Header=BB98_2 Depth=1
	ds_load_u8 v55, v57 offset:1
; %bb.32:                               ;   in Loop: Header=BB98_2 Depth=1
	s_wait_alu 0xfffe
	s_or_saveexec_b32 s13, s13
	v_mov_b32_e32 v58, v54
	s_wait_alu 0xfffe
	s_xor_b32 exec_lo, exec_lo, s13
	s_cbranch_execz .LBB98_34
; %bb.33:                               ;   in Loop: Header=BB98_2 Depth=1
	ds_load_u8 v58, v56 offset:1
	s_wait_dscnt 0x1
	v_mov_b32_e32 v55, v53
.LBB98_34:                              ;   in Loop: Header=BB98_2 Depth=1
	s_or_b32 exec_lo, exec_lo, s13
	v_cndmask_b32_e64 v47, v47, v48, s9
	v_cndmask_b32_e64 v43, v43, v44, s7
	;; [unrolled: 1-line block ×4, first 2 shown]
	v_add_nc_u32_e32 v59, 1, v57
	v_lshlrev_b16 v45, 8, v47
	v_lshlrev_b16 v43, 8, v43
	v_and_b32_e32 v41, 0xff, v41
	v_and_b32_e32 v42, 0xff, v42
	v_cndmask_b32_e64 v53, v53, v54, s12
	v_add_nc_u32_e32 v54, 1, v56
	s_wait_dscnt 0x0
	v_and_b32_e32 v60, 0xff, v55
	v_or_b32_e32 v41, v41, v43
	v_or_b32_e32 v42, v42, v45
	v_and_b32_e32 v61, 0xff, v58
	v_cndmask_b32_e64 v57, v59, v57, s12
	v_cndmask_b32_e64 v51, v51, v52, s11
	v_and_b32_e32 v41, 0xffff, v41
	v_lshlrev_b32_e32 v42, 16, v42
	v_cndmask_b32_e64 v49, v49, v50, s10
	v_cmp_lt_u16_e64 s10, v61, v60
	v_cmp_ge_i32_e64 s11, v57, v11
	v_lshlrev_b16 v46, 8, v51
	v_or_b32_e32 v42, v41, v42
	v_mov_b32_e32 v41, v36
	v_cndmask_b32_e64 v52, v56, v54, s12
	s_or_b32 s6, s11, s10
	v_and_b32_e32 v47, 0xff, v49
	v_and_b32_e32 v48, 0xff, v53
	s_wait_loadcnt 0x0
	v_cmp_lt_i32_e64 s9, v52, v12
	s_barrier_signal -1
	v_or_b32_e32 v43, v47, v46
	s_barrier_wait -1
	global_inv scope:SCOPE_SE
	s_wait_alu 0xfffe
	s_and_b32 s6, s9, s6
	s_wait_alu 0xfffe
	v_cndmask_b32_e64 v44, v55, v58, s6
	v_and_b32_e32 v43, 0xffff, v43
	s_delay_alu instid0(VALU_DEP_2) | instskip(NEXT) | instid1(VALU_DEP_1)
	v_lshlrev_b16 v44, 8, v44
	v_or_b32_e32 v44, v48, v44
	s_delay_alu instid0(VALU_DEP_1) | instskip(NEXT) | instid1(VALU_DEP_1)
	v_lshlrev_b32_e32 v44, 16, v44
	v_or_b32_e32 v43, v43, v44
	ds_store_b64 v1, v[42:43]
	s_wait_loadcnt_dscnt 0x0
	s_barrier_signal -1
	s_barrier_wait -1
	global_inv scope:SCOPE_SE
	s_and_saveexec_b32 s7, s1
	s_cbranch_execz .LBB98_38
; %bb.35:                               ;   in Loop: Header=BB98_2 Depth=1
	v_dual_mov_b32 v41, v36 :: v_dual_mov_b32 v42, v30
	s_mov_b32 s8, 0
.LBB98_36:                              ;   Parent Loop BB98_2 Depth=1
                                        ; =>  This Inner Loop Header: Depth=2
	s_delay_alu instid0(VALU_DEP_1) | instskip(NEXT) | instid1(VALU_DEP_1)
	v_sub_nc_u32_e32 v43, v42, v41
	v_lshrrev_b32_e32 v43, 1, v43
	s_delay_alu instid0(VALU_DEP_1) | instskip(NEXT) | instid1(VALU_DEP_1)
	v_add_nc_u32_e32 v43, v43, v41
	v_add_nc_u32_e32 v44, v3, v43
	v_xad_u32 v45, v43, -1, v24
	v_add_nc_u32_e32 v46, 1, v43
	ds_load_u8 v44, v44
	ds_load_u8 v45, v45
	s_wait_dscnt 0x0
	v_cmp_lt_u16_e64 s6, v45, v44
	s_wait_alu 0xf1ff
	s_delay_alu instid0(VALU_DEP_1) | instskip(SKIP_1) | instid1(VALU_DEP_1)
	v_cndmask_b32_e64 v42, v42, v43, s6
	v_cndmask_b32_e64 v41, v46, v41, s6
	v_cmp_ge_i32_e64 s6, v41, v42
	s_wait_alu 0xfffe
	s_or_b32 s8, s6, s8
	s_wait_alu 0xfffe
	s_and_not1_b32 exec_lo, exec_lo, s8
	s_cbranch_execnz .LBB98_36
; %bb.37:                               ;   in Loop: Header=BB98_2 Depth=1
	s_or_b32 exec_lo, exec_lo, s8
.LBB98_38:                              ;   in Loop: Header=BB98_2 Depth=1
	s_wait_alu 0xfffe
	s_or_b32 exec_lo, exec_lo, s7
	v_add_nc_u32_e32 v46, v41, v3
	v_sub_nc_u32_e32 v45, v24, v41
	ds_load_u8 v41, v46
	ds_load_u8 v42, v45
	v_cmp_le_i32_e64 s6, v13, v46
	v_cmp_gt_i32_e64 s8, v14, v45
	s_wait_dscnt 0x1
	v_and_b32_e32 v43, 0xff, v41
	s_wait_dscnt 0x0
	v_and_b32_e32 v44, 0xff, v42
	s_delay_alu instid0(VALU_DEP_1)
	v_cmp_lt_u16_e64 s7, v44, v43
                                        ; implicit-def: $vgpr43
	s_or_b32 s6, s6, s7
	s_wait_alu 0xfffe
	s_and_b32 s6, s8, s6
	s_wait_alu 0xfffe
	s_xor_b32 s7, s6, -1
	s_wait_alu 0xfffe
	s_and_saveexec_b32 s8, s7
	s_wait_alu 0xfffe
	s_xor_b32 s7, exec_lo, s8
; %bb.39:                               ;   in Loop: Header=BB98_2 Depth=1
	ds_load_u8 v43, v46 offset:1
; %bb.40:                               ;   in Loop: Header=BB98_2 Depth=1
	s_wait_alu 0xfffe
	s_or_saveexec_b32 s7, s7
	v_mov_b32_e32 v44, v42
	s_wait_alu 0xfffe
	s_xor_b32 exec_lo, exec_lo, s7
	s_cbranch_execz .LBB98_42
; %bb.41:                               ;   in Loop: Header=BB98_2 Depth=1
	ds_load_u8 v44, v45 offset:1
	s_wait_dscnt 0x1
	v_mov_b32_e32 v43, v41
.LBB98_42:                              ;   in Loop: Header=BB98_2 Depth=1
	s_or_b32 exec_lo, exec_lo, s7
	v_add_nc_u32_e32 v47, 1, v46
	v_add_nc_u32_e32 v49, 1, v45
	s_wait_dscnt 0x0
	v_and_b32_e32 v50, 0xff, v43
	s_delay_alu instid0(VALU_DEP_3) | instskip(SKIP_2) | instid1(VALU_DEP_3)
	v_cndmask_b32_e64 v48, v47, v46, s6
	v_and_b32_e32 v46, 0xff, v44
	v_cndmask_b32_e64 v47, v45, v49, s6
                                        ; implicit-def: $vgpr45
	v_cmp_ge_i32_e64 s7, v48, v13
	s_delay_alu instid0(VALU_DEP_3) | instskip(NEXT) | instid1(VALU_DEP_3)
	v_cmp_lt_u16_e64 s8, v46, v50
	v_cmp_lt_i32_e64 s9, v47, v14
	s_or_b32 s7, s7, s8
	s_wait_alu 0xfffe
	s_and_b32 s7, s9, s7
	s_wait_alu 0xfffe
	s_xor_b32 s8, s7, -1
	s_wait_alu 0xfffe
	s_and_saveexec_b32 s9, s8
	s_wait_alu 0xfffe
	s_xor_b32 s8, exec_lo, s9
; %bb.43:                               ;   in Loop: Header=BB98_2 Depth=1
	ds_load_u8 v45, v48 offset:1
; %bb.44:                               ;   in Loop: Header=BB98_2 Depth=1
	s_wait_alu 0xfffe
	s_or_saveexec_b32 s8, s8
	v_mov_b32_e32 v46, v44
	s_wait_alu 0xfffe
	s_xor_b32 exec_lo, exec_lo, s8
	s_cbranch_execz .LBB98_46
; %bb.45:                               ;   in Loop: Header=BB98_2 Depth=1
	ds_load_u8 v46, v47 offset:1
	s_wait_dscnt 0x1
	v_mov_b32_e32 v45, v43
.LBB98_46:                              ;   in Loop: Header=BB98_2 Depth=1
	s_or_b32 exec_lo, exec_lo, s8
	v_add_nc_u32_e32 v49, 1, v48
	v_add_nc_u32_e32 v51, 1, v47
	s_wait_dscnt 0x0
	v_and_b32_e32 v52, 0xff, v45
	s_delay_alu instid0(VALU_DEP_3) | instskip(SKIP_2) | instid1(VALU_DEP_3)
	v_cndmask_b32_e64 v50, v49, v48, s7
	v_and_b32_e32 v48, 0xff, v46
	v_cndmask_b32_e64 v49, v47, v51, s7
                                        ; implicit-def: $vgpr47
	v_cmp_ge_i32_e64 s8, v50, v13
	s_delay_alu instid0(VALU_DEP_3) | instskip(NEXT) | instid1(VALU_DEP_3)
	v_cmp_lt_u16_e64 s9, v48, v52
	v_cmp_lt_i32_e64 s10, v49, v14
	s_or_b32 s8, s8, s9
	s_wait_alu 0xfffe
	s_and_b32 s8, s10, s8
	s_wait_alu 0xfffe
	s_xor_b32 s9, s8, -1
	s_wait_alu 0xfffe
	s_and_saveexec_b32 s10, s9
	s_wait_alu 0xfffe
	s_xor_b32 s9, exec_lo, s10
; %bb.47:                               ;   in Loop: Header=BB98_2 Depth=1
	ds_load_u8 v47, v50 offset:1
; %bb.48:                               ;   in Loop: Header=BB98_2 Depth=1
	s_wait_alu 0xfffe
	s_or_saveexec_b32 s9, s9
	v_mov_b32_e32 v48, v46
	s_wait_alu 0xfffe
	s_xor_b32 exec_lo, exec_lo, s9
	s_cbranch_execz .LBB98_50
; %bb.49:                               ;   in Loop: Header=BB98_2 Depth=1
	ds_load_u8 v48, v49 offset:1
	s_wait_dscnt 0x1
	v_mov_b32_e32 v47, v45
.LBB98_50:                              ;   in Loop: Header=BB98_2 Depth=1
	s_or_b32 exec_lo, exec_lo, s9
	v_add_nc_u32_e32 v51, 1, v50
	v_add_nc_u32_e32 v53, 1, v49
	s_wait_dscnt 0x0
	v_and_b32_e32 v54, 0xff, v47
	s_delay_alu instid0(VALU_DEP_3) | instskip(SKIP_2) | instid1(VALU_DEP_3)
	v_cndmask_b32_e64 v52, v51, v50, s8
	v_and_b32_e32 v50, 0xff, v48
	v_cndmask_b32_e64 v51, v49, v53, s8
                                        ; implicit-def: $vgpr49
	v_cmp_ge_i32_e64 s9, v52, v13
	s_delay_alu instid0(VALU_DEP_3) | instskip(NEXT) | instid1(VALU_DEP_3)
	v_cmp_lt_u16_e64 s10, v50, v54
	v_cmp_lt_i32_e64 s11, v51, v14
	s_or_b32 s9, s9, s10
	s_wait_alu 0xfffe
	s_and_b32 s9, s11, s9
	s_wait_alu 0xfffe
	s_xor_b32 s10, s9, -1
	s_wait_alu 0xfffe
	s_and_saveexec_b32 s11, s10
	s_wait_alu 0xfffe
	s_xor_b32 s10, exec_lo, s11
; %bb.51:                               ;   in Loop: Header=BB98_2 Depth=1
	ds_load_u8 v49, v52 offset:1
; %bb.52:                               ;   in Loop: Header=BB98_2 Depth=1
	s_wait_alu 0xfffe
	s_or_saveexec_b32 s10, s10
	v_mov_b32_e32 v50, v48
	s_wait_alu 0xfffe
	s_xor_b32 exec_lo, exec_lo, s10
	s_cbranch_execz .LBB98_54
; %bb.53:                               ;   in Loop: Header=BB98_2 Depth=1
	ds_load_u8 v50, v51 offset:1
	s_wait_dscnt 0x1
	v_mov_b32_e32 v49, v47
.LBB98_54:                              ;   in Loop: Header=BB98_2 Depth=1
	s_or_b32 exec_lo, exec_lo, s10
	v_add_nc_u32_e32 v53, 1, v52
	v_add_nc_u32_e32 v55, 1, v51
	s_wait_dscnt 0x0
	v_and_b32_e32 v56, 0xff, v49
	s_delay_alu instid0(VALU_DEP_3) | instskip(SKIP_2) | instid1(VALU_DEP_3)
	v_cndmask_b32_e64 v54, v53, v52, s9
	v_and_b32_e32 v52, 0xff, v50
	v_cndmask_b32_e64 v53, v51, v55, s9
                                        ; implicit-def: $vgpr51
	v_cmp_ge_i32_e64 s10, v54, v13
	s_delay_alu instid0(VALU_DEP_3) | instskip(NEXT) | instid1(VALU_DEP_3)
	v_cmp_lt_u16_e64 s11, v52, v56
	v_cmp_lt_i32_e64 s12, v53, v14
	s_or_b32 s10, s10, s11
	s_wait_alu 0xfffe
	s_and_b32 s10, s12, s10
	s_wait_alu 0xfffe
	s_xor_b32 s11, s10, -1
	s_wait_alu 0xfffe
	s_and_saveexec_b32 s12, s11
	s_wait_alu 0xfffe
	s_xor_b32 s11, exec_lo, s12
; %bb.55:                               ;   in Loop: Header=BB98_2 Depth=1
	ds_load_u8 v51, v54 offset:1
; %bb.56:                               ;   in Loop: Header=BB98_2 Depth=1
	s_wait_alu 0xfffe
	s_or_saveexec_b32 s11, s11
	v_mov_b32_e32 v52, v50
	s_wait_alu 0xfffe
	s_xor_b32 exec_lo, exec_lo, s11
	s_cbranch_execz .LBB98_58
; %bb.57:                               ;   in Loop: Header=BB98_2 Depth=1
	ds_load_u8 v52, v53 offset:1
	s_wait_dscnt 0x1
	v_mov_b32_e32 v51, v49
.LBB98_58:                              ;   in Loop: Header=BB98_2 Depth=1
	s_or_b32 exec_lo, exec_lo, s11
	v_add_nc_u32_e32 v55, 1, v54
	v_add_nc_u32_e32 v57, 1, v53
	s_wait_dscnt 0x0
	v_and_b32_e32 v58, 0xff, v51
	s_delay_alu instid0(VALU_DEP_3) | instskip(SKIP_2) | instid1(VALU_DEP_3)
	v_cndmask_b32_e64 v56, v55, v54, s10
	v_and_b32_e32 v54, 0xff, v52
	v_cndmask_b32_e64 v55, v53, v57, s10
                                        ; implicit-def: $vgpr53
	v_cmp_ge_i32_e64 s11, v56, v13
	s_delay_alu instid0(VALU_DEP_3) | instskip(NEXT) | instid1(VALU_DEP_3)
	v_cmp_lt_u16_e64 s12, v54, v58
	v_cmp_lt_i32_e64 s13, v55, v14
	s_or_b32 s11, s11, s12
	s_wait_alu 0xfffe
	s_and_b32 s11, s13, s11
	s_wait_alu 0xfffe
	s_xor_b32 s12, s11, -1
	s_wait_alu 0xfffe
	s_and_saveexec_b32 s13, s12
	s_wait_alu 0xfffe
	s_xor_b32 s12, exec_lo, s13
; %bb.59:                               ;   in Loop: Header=BB98_2 Depth=1
	ds_load_u8 v53, v56 offset:1
; %bb.60:                               ;   in Loop: Header=BB98_2 Depth=1
	s_wait_alu 0xfffe
	s_or_saveexec_b32 s12, s12
	v_mov_b32_e32 v54, v52
	s_wait_alu 0xfffe
	s_xor_b32 exec_lo, exec_lo, s12
	s_cbranch_execz .LBB98_62
; %bb.61:                               ;   in Loop: Header=BB98_2 Depth=1
	ds_load_u8 v54, v55 offset:1
	s_wait_dscnt 0x1
	v_mov_b32_e32 v53, v51
.LBB98_62:                              ;   in Loop: Header=BB98_2 Depth=1
	s_or_b32 exec_lo, exec_lo, s12
	v_add_nc_u32_e32 v57, 1, v56
	v_add_nc_u32_e32 v58, 1, v55
	s_wait_dscnt 0x0
	v_and_b32_e32 v59, 0xff, v53
	v_and_b32_e32 v60, 0xff, v54
	v_cndmask_b32_e64 v57, v57, v56, s11
	v_cndmask_b32_e64 v56, v55, v58, s11
                                        ; implicit-def: $vgpr55
	s_delay_alu instid0(VALU_DEP_3) | instskip(NEXT) | instid1(VALU_DEP_3)
	v_cmp_lt_u16_e64 s13, v60, v59
	v_cmp_ge_i32_e64 s12, v57, v13
	s_delay_alu instid0(VALU_DEP_3)
	v_cmp_lt_i32_e64 s14, v56, v14
	s_or_b32 s12, s12, s13
	s_wait_alu 0xfffe
	s_and_b32 s12, s14, s12
	s_wait_alu 0xfffe
	s_xor_b32 s13, s12, -1
	s_wait_alu 0xfffe
	s_and_saveexec_b32 s14, s13
	s_delay_alu instid0(SALU_CYCLE_1)
	s_xor_b32 s13, exec_lo, s14
; %bb.63:                               ;   in Loop: Header=BB98_2 Depth=1
	ds_load_u8 v55, v57 offset:1
; %bb.64:                               ;   in Loop: Header=BB98_2 Depth=1
	s_wait_alu 0xfffe
	s_or_saveexec_b32 s13, s13
	v_mov_b32_e32 v58, v54
	s_wait_alu 0xfffe
	s_xor_b32 exec_lo, exec_lo, s13
	s_cbranch_execz .LBB98_66
; %bb.65:                               ;   in Loop: Header=BB98_2 Depth=1
	ds_load_u8 v58, v56 offset:1
	s_wait_dscnt 0x1
	v_mov_b32_e32 v55, v53
.LBB98_66:                              ;   in Loop: Header=BB98_2 Depth=1
	s_or_b32 exec_lo, exec_lo, s13
	v_cndmask_b32_e64 v47, v47, v48, s9
	v_cndmask_b32_e64 v43, v43, v44, s7
	;; [unrolled: 1-line block ×4, first 2 shown]
	v_add_nc_u32_e32 v59, 1, v57
	v_lshlrev_b16 v45, 8, v47
	v_lshlrev_b16 v43, 8, v43
	v_and_b32_e32 v41, 0xff, v41
	v_and_b32_e32 v42, 0xff, v42
	v_cndmask_b32_e64 v53, v53, v54, s12
	v_add_nc_u32_e32 v54, 1, v56
	s_wait_dscnt 0x0
	v_and_b32_e32 v60, 0xff, v55
	v_or_b32_e32 v41, v41, v43
	v_or_b32_e32 v42, v42, v45
	v_and_b32_e32 v61, 0xff, v58
	v_cndmask_b32_e64 v57, v59, v57, s12
	v_cndmask_b32_e64 v51, v51, v52, s11
	v_and_b32_e32 v41, 0xffff, v41
	v_lshlrev_b32_e32 v42, 16, v42
	v_cndmask_b32_e64 v49, v49, v50, s10
	v_cmp_lt_u16_e64 s10, v61, v60
	v_cmp_ge_i32_e64 s11, v57, v13
	v_lshlrev_b16 v46, 8, v51
	v_or_b32_e32 v42, v41, v42
	v_mov_b32_e32 v41, v37
	v_cndmask_b32_e64 v52, v56, v54, s12
	s_or_b32 s6, s11, s10
	v_and_b32_e32 v47, 0xff, v49
	v_and_b32_e32 v48, 0xff, v53
	s_wait_loadcnt 0x0
	v_cmp_lt_i32_e64 s9, v52, v14
	s_barrier_signal -1
	v_or_b32_e32 v43, v47, v46
	s_barrier_wait -1
	global_inv scope:SCOPE_SE
	s_wait_alu 0xfffe
	s_and_b32 s6, s9, s6
	s_wait_alu 0xfffe
	v_cndmask_b32_e64 v44, v55, v58, s6
	v_and_b32_e32 v43, 0xffff, v43
	s_delay_alu instid0(VALU_DEP_2) | instskip(NEXT) | instid1(VALU_DEP_1)
	v_lshlrev_b16 v44, 8, v44
	v_or_b32_e32 v44, v48, v44
	s_delay_alu instid0(VALU_DEP_1) | instskip(NEXT) | instid1(VALU_DEP_1)
	v_lshlrev_b32_e32 v44, 16, v44
	v_or_b32_e32 v43, v43, v44
	ds_store_b64 v1, v[42:43]
	s_wait_loadcnt_dscnt 0x0
	s_barrier_signal -1
	s_barrier_wait -1
	global_inv scope:SCOPE_SE
	s_and_saveexec_b32 s7, s2
	s_cbranch_execz .LBB98_70
; %bb.67:                               ;   in Loop: Header=BB98_2 Depth=1
	v_dual_mov_b32 v41, v37 :: v_dual_mov_b32 v42, v31
	s_mov_b32 s8, 0
.LBB98_68:                              ;   Parent Loop BB98_2 Depth=1
                                        ; =>  This Inner Loop Header: Depth=2
	s_delay_alu instid0(VALU_DEP_1) | instskip(NEXT) | instid1(VALU_DEP_1)
	v_sub_nc_u32_e32 v43, v42, v41
	v_lshrrev_b32_e32 v43, 1, v43
	s_delay_alu instid0(VALU_DEP_1) | instskip(NEXT) | instid1(VALU_DEP_1)
	v_add_nc_u32_e32 v43, v43, v41
	v_add_nc_u32_e32 v44, v4, v43
	v_xad_u32 v45, v43, -1, v25
	v_add_nc_u32_e32 v46, 1, v43
	ds_load_u8 v44, v44
	ds_load_u8 v45, v45
	s_wait_dscnt 0x0
	v_cmp_lt_u16_e64 s6, v45, v44
	s_wait_alu 0xf1ff
	s_delay_alu instid0(VALU_DEP_1) | instskip(SKIP_1) | instid1(VALU_DEP_1)
	v_cndmask_b32_e64 v42, v42, v43, s6
	v_cndmask_b32_e64 v41, v46, v41, s6
	v_cmp_ge_i32_e64 s6, v41, v42
	s_wait_alu 0xfffe
	s_or_b32 s8, s6, s8
	s_wait_alu 0xfffe
	s_and_not1_b32 exec_lo, exec_lo, s8
	s_cbranch_execnz .LBB98_68
; %bb.69:                               ;   in Loop: Header=BB98_2 Depth=1
	s_or_b32 exec_lo, exec_lo, s8
.LBB98_70:                              ;   in Loop: Header=BB98_2 Depth=1
	s_wait_alu 0xfffe
	s_or_b32 exec_lo, exec_lo, s7
	v_add_nc_u32_e32 v46, v41, v4
	v_sub_nc_u32_e32 v45, v25, v41
	ds_load_u8 v41, v46
	ds_load_u8 v42, v45
	v_cmp_le_i32_e64 s6, v15, v46
	v_cmp_gt_i32_e64 s8, v16, v45
	s_wait_dscnt 0x1
	v_and_b32_e32 v43, 0xff, v41
	s_wait_dscnt 0x0
	v_and_b32_e32 v44, 0xff, v42
	s_delay_alu instid0(VALU_DEP_1)
	v_cmp_lt_u16_e64 s7, v44, v43
                                        ; implicit-def: $vgpr43
	s_or_b32 s6, s6, s7
	s_wait_alu 0xfffe
	s_and_b32 s6, s8, s6
	s_wait_alu 0xfffe
	s_xor_b32 s7, s6, -1
	s_wait_alu 0xfffe
	s_and_saveexec_b32 s8, s7
	s_wait_alu 0xfffe
	s_xor_b32 s7, exec_lo, s8
; %bb.71:                               ;   in Loop: Header=BB98_2 Depth=1
	ds_load_u8 v43, v46 offset:1
; %bb.72:                               ;   in Loop: Header=BB98_2 Depth=1
	s_wait_alu 0xfffe
	s_or_saveexec_b32 s7, s7
	v_mov_b32_e32 v44, v42
	s_wait_alu 0xfffe
	s_xor_b32 exec_lo, exec_lo, s7
	s_cbranch_execz .LBB98_74
; %bb.73:                               ;   in Loop: Header=BB98_2 Depth=1
	ds_load_u8 v44, v45 offset:1
	s_wait_dscnt 0x1
	v_mov_b32_e32 v43, v41
.LBB98_74:                              ;   in Loop: Header=BB98_2 Depth=1
	s_or_b32 exec_lo, exec_lo, s7
	v_add_nc_u32_e32 v47, 1, v46
	v_add_nc_u32_e32 v49, 1, v45
	s_wait_dscnt 0x0
	v_and_b32_e32 v50, 0xff, v43
	s_delay_alu instid0(VALU_DEP_3) | instskip(SKIP_2) | instid1(VALU_DEP_3)
	v_cndmask_b32_e64 v48, v47, v46, s6
	v_and_b32_e32 v46, 0xff, v44
	v_cndmask_b32_e64 v47, v45, v49, s6
                                        ; implicit-def: $vgpr45
	v_cmp_ge_i32_e64 s7, v48, v15
	s_delay_alu instid0(VALU_DEP_3) | instskip(NEXT) | instid1(VALU_DEP_3)
	v_cmp_lt_u16_e64 s8, v46, v50
	v_cmp_lt_i32_e64 s9, v47, v16
	s_or_b32 s7, s7, s8
	s_wait_alu 0xfffe
	s_and_b32 s7, s9, s7
	s_wait_alu 0xfffe
	s_xor_b32 s8, s7, -1
	s_wait_alu 0xfffe
	s_and_saveexec_b32 s9, s8
	s_wait_alu 0xfffe
	s_xor_b32 s8, exec_lo, s9
; %bb.75:                               ;   in Loop: Header=BB98_2 Depth=1
	ds_load_u8 v45, v48 offset:1
; %bb.76:                               ;   in Loop: Header=BB98_2 Depth=1
	s_wait_alu 0xfffe
	s_or_saveexec_b32 s8, s8
	v_mov_b32_e32 v46, v44
	s_wait_alu 0xfffe
	s_xor_b32 exec_lo, exec_lo, s8
	s_cbranch_execz .LBB98_78
; %bb.77:                               ;   in Loop: Header=BB98_2 Depth=1
	ds_load_u8 v46, v47 offset:1
	s_wait_dscnt 0x1
	v_mov_b32_e32 v45, v43
.LBB98_78:                              ;   in Loop: Header=BB98_2 Depth=1
	s_or_b32 exec_lo, exec_lo, s8
	v_add_nc_u32_e32 v49, 1, v48
	v_add_nc_u32_e32 v51, 1, v47
	s_wait_dscnt 0x0
	v_and_b32_e32 v52, 0xff, v45
	s_delay_alu instid0(VALU_DEP_3) | instskip(SKIP_2) | instid1(VALU_DEP_3)
	v_cndmask_b32_e64 v50, v49, v48, s7
	v_and_b32_e32 v48, 0xff, v46
	v_cndmask_b32_e64 v49, v47, v51, s7
                                        ; implicit-def: $vgpr47
	v_cmp_ge_i32_e64 s8, v50, v15
	s_delay_alu instid0(VALU_DEP_3) | instskip(NEXT) | instid1(VALU_DEP_3)
	v_cmp_lt_u16_e64 s9, v48, v52
	v_cmp_lt_i32_e64 s10, v49, v16
	s_or_b32 s8, s8, s9
	s_wait_alu 0xfffe
	s_and_b32 s8, s10, s8
	s_wait_alu 0xfffe
	s_xor_b32 s9, s8, -1
	s_wait_alu 0xfffe
	s_and_saveexec_b32 s10, s9
	s_wait_alu 0xfffe
	s_xor_b32 s9, exec_lo, s10
; %bb.79:                               ;   in Loop: Header=BB98_2 Depth=1
	ds_load_u8 v47, v50 offset:1
; %bb.80:                               ;   in Loop: Header=BB98_2 Depth=1
	s_wait_alu 0xfffe
	s_or_saveexec_b32 s9, s9
	v_mov_b32_e32 v48, v46
	s_wait_alu 0xfffe
	s_xor_b32 exec_lo, exec_lo, s9
	s_cbranch_execz .LBB98_82
; %bb.81:                               ;   in Loop: Header=BB98_2 Depth=1
	ds_load_u8 v48, v49 offset:1
	s_wait_dscnt 0x1
	v_mov_b32_e32 v47, v45
.LBB98_82:                              ;   in Loop: Header=BB98_2 Depth=1
	s_or_b32 exec_lo, exec_lo, s9
	v_add_nc_u32_e32 v51, 1, v50
	v_add_nc_u32_e32 v53, 1, v49
	s_wait_dscnt 0x0
	v_and_b32_e32 v54, 0xff, v47
	s_delay_alu instid0(VALU_DEP_3) | instskip(SKIP_2) | instid1(VALU_DEP_3)
	v_cndmask_b32_e64 v52, v51, v50, s8
	v_and_b32_e32 v50, 0xff, v48
	v_cndmask_b32_e64 v51, v49, v53, s8
                                        ; implicit-def: $vgpr49
	v_cmp_ge_i32_e64 s9, v52, v15
	s_delay_alu instid0(VALU_DEP_3) | instskip(NEXT) | instid1(VALU_DEP_3)
	v_cmp_lt_u16_e64 s10, v50, v54
	v_cmp_lt_i32_e64 s11, v51, v16
	s_or_b32 s9, s9, s10
	s_wait_alu 0xfffe
	s_and_b32 s9, s11, s9
	s_wait_alu 0xfffe
	s_xor_b32 s10, s9, -1
	s_wait_alu 0xfffe
	s_and_saveexec_b32 s11, s10
	s_wait_alu 0xfffe
	s_xor_b32 s10, exec_lo, s11
; %bb.83:                               ;   in Loop: Header=BB98_2 Depth=1
	ds_load_u8 v49, v52 offset:1
; %bb.84:                               ;   in Loop: Header=BB98_2 Depth=1
	s_wait_alu 0xfffe
	s_or_saveexec_b32 s10, s10
	v_mov_b32_e32 v50, v48
	s_wait_alu 0xfffe
	s_xor_b32 exec_lo, exec_lo, s10
	s_cbranch_execz .LBB98_86
; %bb.85:                               ;   in Loop: Header=BB98_2 Depth=1
	ds_load_u8 v50, v51 offset:1
	s_wait_dscnt 0x1
	v_mov_b32_e32 v49, v47
.LBB98_86:                              ;   in Loop: Header=BB98_2 Depth=1
	s_or_b32 exec_lo, exec_lo, s10
	v_add_nc_u32_e32 v53, 1, v52
	v_add_nc_u32_e32 v55, 1, v51
	s_wait_dscnt 0x0
	v_and_b32_e32 v56, 0xff, v49
	s_delay_alu instid0(VALU_DEP_3) | instskip(SKIP_2) | instid1(VALU_DEP_3)
	v_cndmask_b32_e64 v54, v53, v52, s9
	v_and_b32_e32 v52, 0xff, v50
	v_cndmask_b32_e64 v53, v51, v55, s9
                                        ; implicit-def: $vgpr51
	v_cmp_ge_i32_e64 s10, v54, v15
	s_delay_alu instid0(VALU_DEP_3) | instskip(NEXT) | instid1(VALU_DEP_3)
	v_cmp_lt_u16_e64 s11, v52, v56
	v_cmp_lt_i32_e64 s12, v53, v16
	s_or_b32 s10, s10, s11
	s_wait_alu 0xfffe
	s_and_b32 s10, s12, s10
	s_wait_alu 0xfffe
	s_xor_b32 s11, s10, -1
	s_wait_alu 0xfffe
	s_and_saveexec_b32 s12, s11
	s_wait_alu 0xfffe
	s_xor_b32 s11, exec_lo, s12
; %bb.87:                               ;   in Loop: Header=BB98_2 Depth=1
	ds_load_u8 v51, v54 offset:1
; %bb.88:                               ;   in Loop: Header=BB98_2 Depth=1
	s_wait_alu 0xfffe
	s_or_saveexec_b32 s11, s11
	v_mov_b32_e32 v52, v50
	s_wait_alu 0xfffe
	s_xor_b32 exec_lo, exec_lo, s11
	s_cbranch_execz .LBB98_90
; %bb.89:                               ;   in Loop: Header=BB98_2 Depth=1
	ds_load_u8 v52, v53 offset:1
	s_wait_dscnt 0x1
	v_mov_b32_e32 v51, v49
.LBB98_90:                              ;   in Loop: Header=BB98_2 Depth=1
	s_or_b32 exec_lo, exec_lo, s11
	v_add_nc_u32_e32 v55, 1, v54
	v_add_nc_u32_e32 v57, 1, v53
	s_wait_dscnt 0x0
	v_and_b32_e32 v58, 0xff, v51
	s_delay_alu instid0(VALU_DEP_3) | instskip(SKIP_2) | instid1(VALU_DEP_3)
	v_cndmask_b32_e64 v56, v55, v54, s10
	v_and_b32_e32 v54, 0xff, v52
	v_cndmask_b32_e64 v55, v53, v57, s10
                                        ; implicit-def: $vgpr53
	v_cmp_ge_i32_e64 s11, v56, v15
	s_delay_alu instid0(VALU_DEP_3) | instskip(NEXT) | instid1(VALU_DEP_3)
	v_cmp_lt_u16_e64 s12, v54, v58
	v_cmp_lt_i32_e64 s13, v55, v16
	s_or_b32 s11, s11, s12
	s_wait_alu 0xfffe
	s_and_b32 s11, s13, s11
	s_wait_alu 0xfffe
	s_xor_b32 s12, s11, -1
	s_wait_alu 0xfffe
	s_and_saveexec_b32 s13, s12
	s_wait_alu 0xfffe
	s_xor_b32 s12, exec_lo, s13
; %bb.91:                               ;   in Loop: Header=BB98_2 Depth=1
	ds_load_u8 v53, v56 offset:1
; %bb.92:                               ;   in Loop: Header=BB98_2 Depth=1
	s_wait_alu 0xfffe
	s_or_saveexec_b32 s12, s12
	v_mov_b32_e32 v54, v52
	s_wait_alu 0xfffe
	s_xor_b32 exec_lo, exec_lo, s12
	s_cbranch_execz .LBB98_94
; %bb.93:                               ;   in Loop: Header=BB98_2 Depth=1
	ds_load_u8 v54, v55 offset:1
	s_wait_dscnt 0x1
	v_mov_b32_e32 v53, v51
.LBB98_94:                              ;   in Loop: Header=BB98_2 Depth=1
	s_or_b32 exec_lo, exec_lo, s12
	v_add_nc_u32_e32 v57, 1, v56
	v_add_nc_u32_e32 v58, 1, v55
	s_wait_dscnt 0x0
	v_and_b32_e32 v59, 0xff, v53
	v_and_b32_e32 v60, 0xff, v54
	v_cndmask_b32_e64 v57, v57, v56, s11
	v_cndmask_b32_e64 v56, v55, v58, s11
                                        ; implicit-def: $vgpr55
	s_delay_alu instid0(VALU_DEP_3) | instskip(NEXT) | instid1(VALU_DEP_3)
	v_cmp_lt_u16_e64 s13, v60, v59
	v_cmp_ge_i32_e64 s12, v57, v15
	s_delay_alu instid0(VALU_DEP_3)
	v_cmp_lt_i32_e64 s14, v56, v16
	s_or_b32 s12, s12, s13
	s_wait_alu 0xfffe
	s_and_b32 s12, s14, s12
	s_wait_alu 0xfffe
	s_xor_b32 s13, s12, -1
	s_wait_alu 0xfffe
	s_and_saveexec_b32 s14, s13
	s_delay_alu instid0(SALU_CYCLE_1)
	s_xor_b32 s13, exec_lo, s14
; %bb.95:                               ;   in Loop: Header=BB98_2 Depth=1
	ds_load_u8 v55, v57 offset:1
; %bb.96:                               ;   in Loop: Header=BB98_2 Depth=1
	s_wait_alu 0xfffe
	s_or_saveexec_b32 s13, s13
	v_mov_b32_e32 v58, v54
	s_wait_alu 0xfffe
	s_xor_b32 exec_lo, exec_lo, s13
	s_cbranch_execz .LBB98_98
; %bb.97:                               ;   in Loop: Header=BB98_2 Depth=1
	ds_load_u8 v58, v56 offset:1
	s_wait_dscnt 0x1
	v_mov_b32_e32 v55, v53
.LBB98_98:                              ;   in Loop: Header=BB98_2 Depth=1
	s_or_b32 exec_lo, exec_lo, s13
	v_cndmask_b32_e64 v47, v47, v48, s9
	v_cndmask_b32_e64 v43, v43, v44, s7
	;; [unrolled: 1-line block ×4, first 2 shown]
	v_add_nc_u32_e32 v59, 1, v57
	v_lshlrev_b16 v45, 8, v47
	v_lshlrev_b16 v43, 8, v43
	v_and_b32_e32 v41, 0xff, v41
	v_and_b32_e32 v42, 0xff, v42
	v_cndmask_b32_e64 v53, v53, v54, s12
	v_add_nc_u32_e32 v54, 1, v56
	s_wait_dscnt 0x0
	v_and_b32_e32 v60, 0xff, v55
	v_or_b32_e32 v41, v41, v43
	v_or_b32_e32 v42, v42, v45
	v_and_b32_e32 v61, 0xff, v58
	v_cndmask_b32_e64 v57, v59, v57, s12
	v_cndmask_b32_e64 v51, v51, v52, s11
	v_and_b32_e32 v41, 0xffff, v41
	v_lshlrev_b32_e32 v42, 16, v42
	v_cndmask_b32_e64 v49, v49, v50, s10
	v_cmp_lt_u16_e64 s10, v61, v60
	v_cmp_ge_i32_e64 s11, v57, v15
	v_lshlrev_b16 v46, 8, v51
	v_or_b32_e32 v42, v41, v42
	v_mov_b32_e32 v41, v38
	v_cndmask_b32_e64 v52, v56, v54, s12
	s_or_b32 s6, s11, s10
	v_and_b32_e32 v47, 0xff, v49
	v_and_b32_e32 v48, 0xff, v53
	s_wait_loadcnt 0x0
	v_cmp_lt_i32_e64 s9, v52, v16
	s_barrier_signal -1
	v_or_b32_e32 v43, v47, v46
	s_barrier_wait -1
	global_inv scope:SCOPE_SE
	s_wait_alu 0xfffe
	s_and_b32 s6, s9, s6
	s_wait_alu 0xfffe
	v_cndmask_b32_e64 v44, v55, v58, s6
	v_and_b32_e32 v43, 0xffff, v43
	s_delay_alu instid0(VALU_DEP_2) | instskip(NEXT) | instid1(VALU_DEP_1)
	v_lshlrev_b16 v44, 8, v44
	v_or_b32_e32 v44, v48, v44
	s_delay_alu instid0(VALU_DEP_1) | instskip(NEXT) | instid1(VALU_DEP_1)
	v_lshlrev_b32_e32 v44, 16, v44
	v_or_b32_e32 v43, v43, v44
	ds_store_b64 v1, v[42:43]
	s_wait_loadcnt_dscnt 0x0
	s_barrier_signal -1
	s_barrier_wait -1
	global_inv scope:SCOPE_SE
	s_and_saveexec_b32 s7, s3
	s_cbranch_execz .LBB98_102
; %bb.99:                               ;   in Loop: Header=BB98_2 Depth=1
	v_dual_mov_b32 v41, v38 :: v_dual_mov_b32 v42, v32
	s_mov_b32 s8, 0
.LBB98_100:                             ;   Parent Loop BB98_2 Depth=1
                                        ; =>  This Inner Loop Header: Depth=2
	s_delay_alu instid0(VALU_DEP_1) | instskip(NEXT) | instid1(VALU_DEP_1)
	v_sub_nc_u32_e32 v43, v42, v41
	v_lshrrev_b32_e32 v43, 1, v43
	s_delay_alu instid0(VALU_DEP_1) | instskip(NEXT) | instid1(VALU_DEP_1)
	v_add_nc_u32_e32 v43, v43, v41
	v_add_nc_u32_e32 v44, v5, v43
	v_xad_u32 v45, v43, -1, v26
	v_add_nc_u32_e32 v46, 1, v43
	ds_load_u8 v44, v44
	ds_load_u8 v45, v45
	s_wait_dscnt 0x0
	v_cmp_lt_u16_e64 s6, v45, v44
	s_wait_alu 0xf1ff
	s_delay_alu instid0(VALU_DEP_1) | instskip(SKIP_1) | instid1(VALU_DEP_1)
	v_cndmask_b32_e64 v42, v42, v43, s6
	v_cndmask_b32_e64 v41, v46, v41, s6
	v_cmp_ge_i32_e64 s6, v41, v42
	s_wait_alu 0xfffe
	s_or_b32 s8, s6, s8
	s_wait_alu 0xfffe
	s_and_not1_b32 exec_lo, exec_lo, s8
	s_cbranch_execnz .LBB98_100
; %bb.101:                              ;   in Loop: Header=BB98_2 Depth=1
	s_or_b32 exec_lo, exec_lo, s8
.LBB98_102:                             ;   in Loop: Header=BB98_2 Depth=1
	s_wait_alu 0xfffe
	s_or_b32 exec_lo, exec_lo, s7
	v_add_nc_u32_e32 v46, v41, v5
	v_sub_nc_u32_e32 v45, v26, v41
	ds_load_u8 v41, v46
	ds_load_u8 v42, v45
	v_cmp_le_i32_e64 s6, v17, v46
	v_cmp_gt_i32_e64 s8, v18, v45
	s_wait_dscnt 0x1
	v_and_b32_e32 v43, 0xff, v41
	s_wait_dscnt 0x0
	v_and_b32_e32 v44, 0xff, v42
	s_delay_alu instid0(VALU_DEP_1)
	v_cmp_lt_u16_e64 s7, v44, v43
                                        ; implicit-def: $vgpr43
	s_or_b32 s6, s6, s7
	s_wait_alu 0xfffe
	s_and_b32 s6, s8, s6
	s_wait_alu 0xfffe
	s_xor_b32 s7, s6, -1
	s_wait_alu 0xfffe
	s_and_saveexec_b32 s8, s7
	s_wait_alu 0xfffe
	s_xor_b32 s7, exec_lo, s8
; %bb.103:                              ;   in Loop: Header=BB98_2 Depth=1
	ds_load_u8 v43, v46 offset:1
; %bb.104:                              ;   in Loop: Header=BB98_2 Depth=1
	s_wait_alu 0xfffe
	s_or_saveexec_b32 s7, s7
	v_mov_b32_e32 v44, v42
	s_wait_alu 0xfffe
	s_xor_b32 exec_lo, exec_lo, s7
	s_cbranch_execz .LBB98_106
; %bb.105:                              ;   in Loop: Header=BB98_2 Depth=1
	ds_load_u8 v44, v45 offset:1
	s_wait_dscnt 0x1
	v_mov_b32_e32 v43, v41
.LBB98_106:                             ;   in Loop: Header=BB98_2 Depth=1
	s_or_b32 exec_lo, exec_lo, s7
	v_add_nc_u32_e32 v47, 1, v46
	v_add_nc_u32_e32 v49, 1, v45
	s_wait_dscnt 0x0
	v_and_b32_e32 v50, 0xff, v43
	s_delay_alu instid0(VALU_DEP_3) | instskip(SKIP_2) | instid1(VALU_DEP_3)
	v_cndmask_b32_e64 v48, v47, v46, s6
	v_and_b32_e32 v46, 0xff, v44
	v_cndmask_b32_e64 v47, v45, v49, s6
                                        ; implicit-def: $vgpr45
	v_cmp_ge_i32_e64 s7, v48, v17
	s_delay_alu instid0(VALU_DEP_3) | instskip(NEXT) | instid1(VALU_DEP_3)
	v_cmp_lt_u16_e64 s8, v46, v50
	v_cmp_lt_i32_e64 s9, v47, v18
	s_or_b32 s7, s7, s8
	s_wait_alu 0xfffe
	s_and_b32 s7, s9, s7
	s_wait_alu 0xfffe
	s_xor_b32 s8, s7, -1
	s_wait_alu 0xfffe
	s_and_saveexec_b32 s9, s8
	s_wait_alu 0xfffe
	s_xor_b32 s8, exec_lo, s9
; %bb.107:                              ;   in Loop: Header=BB98_2 Depth=1
	ds_load_u8 v45, v48 offset:1
; %bb.108:                              ;   in Loop: Header=BB98_2 Depth=1
	s_wait_alu 0xfffe
	s_or_saveexec_b32 s8, s8
	v_mov_b32_e32 v46, v44
	s_wait_alu 0xfffe
	s_xor_b32 exec_lo, exec_lo, s8
	s_cbranch_execz .LBB98_110
; %bb.109:                              ;   in Loop: Header=BB98_2 Depth=1
	ds_load_u8 v46, v47 offset:1
	s_wait_dscnt 0x1
	v_mov_b32_e32 v45, v43
.LBB98_110:                             ;   in Loop: Header=BB98_2 Depth=1
	s_or_b32 exec_lo, exec_lo, s8
	v_add_nc_u32_e32 v49, 1, v48
	v_add_nc_u32_e32 v51, 1, v47
	s_wait_dscnt 0x0
	v_and_b32_e32 v52, 0xff, v45
	s_delay_alu instid0(VALU_DEP_3) | instskip(SKIP_2) | instid1(VALU_DEP_3)
	v_cndmask_b32_e64 v50, v49, v48, s7
	v_and_b32_e32 v48, 0xff, v46
	v_cndmask_b32_e64 v49, v47, v51, s7
                                        ; implicit-def: $vgpr47
	v_cmp_ge_i32_e64 s8, v50, v17
	s_delay_alu instid0(VALU_DEP_3) | instskip(NEXT) | instid1(VALU_DEP_3)
	v_cmp_lt_u16_e64 s9, v48, v52
	v_cmp_lt_i32_e64 s10, v49, v18
	s_or_b32 s8, s8, s9
	s_wait_alu 0xfffe
	s_and_b32 s8, s10, s8
	s_wait_alu 0xfffe
	s_xor_b32 s9, s8, -1
	s_wait_alu 0xfffe
	s_and_saveexec_b32 s10, s9
	s_wait_alu 0xfffe
	s_xor_b32 s9, exec_lo, s10
; %bb.111:                              ;   in Loop: Header=BB98_2 Depth=1
	ds_load_u8 v47, v50 offset:1
; %bb.112:                              ;   in Loop: Header=BB98_2 Depth=1
	s_wait_alu 0xfffe
	s_or_saveexec_b32 s9, s9
	v_mov_b32_e32 v48, v46
	s_wait_alu 0xfffe
	s_xor_b32 exec_lo, exec_lo, s9
	s_cbranch_execz .LBB98_114
; %bb.113:                              ;   in Loop: Header=BB98_2 Depth=1
	ds_load_u8 v48, v49 offset:1
	s_wait_dscnt 0x1
	v_mov_b32_e32 v47, v45
.LBB98_114:                             ;   in Loop: Header=BB98_2 Depth=1
	s_or_b32 exec_lo, exec_lo, s9
	v_add_nc_u32_e32 v51, 1, v50
	v_add_nc_u32_e32 v53, 1, v49
	s_wait_dscnt 0x0
	v_and_b32_e32 v54, 0xff, v47
	s_delay_alu instid0(VALU_DEP_3) | instskip(SKIP_2) | instid1(VALU_DEP_3)
	v_cndmask_b32_e64 v52, v51, v50, s8
	v_and_b32_e32 v50, 0xff, v48
	v_cndmask_b32_e64 v51, v49, v53, s8
                                        ; implicit-def: $vgpr49
	v_cmp_ge_i32_e64 s9, v52, v17
	s_delay_alu instid0(VALU_DEP_3) | instskip(NEXT) | instid1(VALU_DEP_3)
	v_cmp_lt_u16_e64 s10, v50, v54
	v_cmp_lt_i32_e64 s11, v51, v18
	s_or_b32 s9, s9, s10
	s_wait_alu 0xfffe
	s_and_b32 s9, s11, s9
	s_wait_alu 0xfffe
	s_xor_b32 s10, s9, -1
	s_wait_alu 0xfffe
	s_and_saveexec_b32 s11, s10
	s_wait_alu 0xfffe
	s_xor_b32 s10, exec_lo, s11
; %bb.115:                              ;   in Loop: Header=BB98_2 Depth=1
	ds_load_u8 v49, v52 offset:1
; %bb.116:                              ;   in Loop: Header=BB98_2 Depth=1
	s_wait_alu 0xfffe
	s_or_saveexec_b32 s10, s10
	v_mov_b32_e32 v50, v48
	s_wait_alu 0xfffe
	s_xor_b32 exec_lo, exec_lo, s10
	s_cbranch_execz .LBB98_118
; %bb.117:                              ;   in Loop: Header=BB98_2 Depth=1
	ds_load_u8 v50, v51 offset:1
	s_wait_dscnt 0x1
	v_mov_b32_e32 v49, v47
.LBB98_118:                             ;   in Loop: Header=BB98_2 Depth=1
	s_or_b32 exec_lo, exec_lo, s10
	v_add_nc_u32_e32 v53, 1, v52
	v_add_nc_u32_e32 v55, 1, v51
	s_wait_dscnt 0x0
	v_and_b32_e32 v56, 0xff, v49
	s_delay_alu instid0(VALU_DEP_3) | instskip(SKIP_2) | instid1(VALU_DEP_3)
	v_cndmask_b32_e64 v54, v53, v52, s9
	v_and_b32_e32 v52, 0xff, v50
	v_cndmask_b32_e64 v53, v51, v55, s9
                                        ; implicit-def: $vgpr51
	v_cmp_ge_i32_e64 s10, v54, v17
	s_delay_alu instid0(VALU_DEP_3) | instskip(NEXT) | instid1(VALU_DEP_3)
	v_cmp_lt_u16_e64 s11, v52, v56
	v_cmp_lt_i32_e64 s12, v53, v18
	s_or_b32 s10, s10, s11
	s_wait_alu 0xfffe
	s_and_b32 s10, s12, s10
	s_wait_alu 0xfffe
	s_xor_b32 s11, s10, -1
	s_wait_alu 0xfffe
	s_and_saveexec_b32 s12, s11
	s_wait_alu 0xfffe
	s_xor_b32 s11, exec_lo, s12
; %bb.119:                              ;   in Loop: Header=BB98_2 Depth=1
	ds_load_u8 v51, v54 offset:1
; %bb.120:                              ;   in Loop: Header=BB98_2 Depth=1
	s_wait_alu 0xfffe
	s_or_saveexec_b32 s11, s11
	v_mov_b32_e32 v52, v50
	s_wait_alu 0xfffe
	s_xor_b32 exec_lo, exec_lo, s11
	s_cbranch_execz .LBB98_122
; %bb.121:                              ;   in Loop: Header=BB98_2 Depth=1
	ds_load_u8 v52, v53 offset:1
	s_wait_dscnt 0x1
	v_mov_b32_e32 v51, v49
.LBB98_122:                             ;   in Loop: Header=BB98_2 Depth=1
	s_or_b32 exec_lo, exec_lo, s11
	v_add_nc_u32_e32 v55, 1, v54
	v_add_nc_u32_e32 v57, 1, v53
	s_wait_dscnt 0x0
	v_and_b32_e32 v58, 0xff, v51
	s_delay_alu instid0(VALU_DEP_3) | instskip(SKIP_2) | instid1(VALU_DEP_3)
	v_cndmask_b32_e64 v56, v55, v54, s10
	v_and_b32_e32 v54, 0xff, v52
	v_cndmask_b32_e64 v55, v53, v57, s10
                                        ; implicit-def: $vgpr53
	v_cmp_ge_i32_e64 s11, v56, v17
	s_delay_alu instid0(VALU_DEP_3) | instskip(NEXT) | instid1(VALU_DEP_3)
	v_cmp_lt_u16_e64 s12, v54, v58
	v_cmp_lt_i32_e64 s13, v55, v18
	s_or_b32 s11, s11, s12
	s_wait_alu 0xfffe
	s_and_b32 s11, s13, s11
	s_wait_alu 0xfffe
	s_xor_b32 s12, s11, -1
	s_wait_alu 0xfffe
	s_and_saveexec_b32 s13, s12
	s_wait_alu 0xfffe
	s_xor_b32 s12, exec_lo, s13
; %bb.123:                              ;   in Loop: Header=BB98_2 Depth=1
	ds_load_u8 v53, v56 offset:1
; %bb.124:                              ;   in Loop: Header=BB98_2 Depth=1
	s_wait_alu 0xfffe
	s_or_saveexec_b32 s12, s12
	v_mov_b32_e32 v54, v52
	s_wait_alu 0xfffe
	s_xor_b32 exec_lo, exec_lo, s12
	s_cbranch_execz .LBB98_126
; %bb.125:                              ;   in Loop: Header=BB98_2 Depth=1
	ds_load_u8 v54, v55 offset:1
	s_wait_dscnt 0x1
	v_mov_b32_e32 v53, v51
.LBB98_126:                             ;   in Loop: Header=BB98_2 Depth=1
	s_or_b32 exec_lo, exec_lo, s12
	v_add_nc_u32_e32 v57, 1, v56
	v_add_nc_u32_e32 v58, 1, v55
	s_wait_dscnt 0x0
	v_and_b32_e32 v59, 0xff, v53
	v_and_b32_e32 v60, 0xff, v54
	v_cndmask_b32_e64 v57, v57, v56, s11
	v_cndmask_b32_e64 v56, v55, v58, s11
                                        ; implicit-def: $vgpr55
	s_delay_alu instid0(VALU_DEP_3) | instskip(NEXT) | instid1(VALU_DEP_3)
	v_cmp_lt_u16_e64 s13, v60, v59
	v_cmp_ge_i32_e64 s12, v57, v17
	s_delay_alu instid0(VALU_DEP_3)
	v_cmp_lt_i32_e64 s14, v56, v18
	s_or_b32 s12, s12, s13
	s_wait_alu 0xfffe
	s_and_b32 s12, s14, s12
	s_wait_alu 0xfffe
	s_xor_b32 s13, s12, -1
	s_wait_alu 0xfffe
	s_and_saveexec_b32 s14, s13
	s_delay_alu instid0(SALU_CYCLE_1)
	s_xor_b32 s13, exec_lo, s14
; %bb.127:                              ;   in Loop: Header=BB98_2 Depth=1
	ds_load_u8 v55, v57 offset:1
; %bb.128:                              ;   in Loop: Header=BB98_2 Depth=1
	s_wait_alu 0xfffe
	s_or_saveexec_b32 s13, s13
	v_mov_b32_e32 v58, v54
	s_wait_alu 0xfffe
	s_xor_b32 exec_lo, exec_lo, s13
	s_cbranch_execz .LBB98_130
; %bb.129:                              ;   in Loop: Header=BB98_2 Depth=1
	ds_load_u8 v58, v56 offset:1
	s_wait_dscnt 0x1
	v_mov_b32_e32 v55, v53
.LBB98_130:                             ;   in Loop: Header=BB98_2 Depth=1
	s_or_b32 exec_lo, exec_lo, s13
	v_cndmask_b32_e64 v47, v47, v48, s9
	v_cndmask_b32_e64 v43, v43, v44, s7
	;; [unrolled: 1-line block ×4, first 2 shown]
	v_add_nc_u32_e32 v59, 1, v57
	v_lshlrev_b16 v45, 8, v47
	v_lshlrev_b16 v43, 8, v43
	v_and_b32_e32 v41, 0xff, v41
	v_and_b32_e32 v42, 0xff, v42
	v_cndmask_b32_e64 v53, v53, v54, s12
	v_add_nc_u32_e32 v54, 1, v56
	s_wait_dscnt 0x0
	v_and_b32_e32 v60, 0xff, v55
	v_or_b32_e32 v41, v41, v43
	v_or_b32_e32 v42, v42, v45
	v_and_b32_e32 v61, 0xff, v58
	v_cndmask_b32_e64 v57, v59, v57, s12
	v_cndmask_b32_e64 v51, v51, v52, s11
	v_and_b32_e32 v41, 0xffff, v41
	v_lshlrev_b32_e32 v42, 16, v42
	v_cndmask_b32_e64 v49, v49, v50, s10
	v_cmp_lt_u16_e64 s10, v61, v60
	v_cmp_ge_i32_e64 s11, v57, v17
	v_lshlrev_b16 v46, 8, v51
	v_or_b32_e32 v42, v41, v42
	v_mov_b32_e32 v41, v39
	v_cndmask_b32_e64 v52, v56, v54, s12
	s_or_b32 s6, s11, s10
	v_and_b32_e32 v47, 0xff, v49
	v_and_b32_e32 v48, 0xff, v53
	s_wait_loadcnt 0x0
	v_cmp_lt_i32_e64 s9, v52, v18
	s_barrier_signal -1
	v_or_b32_e32 v43, v47, v46
	s_barrier_wait -1
	global_inv scope:SCOPE_SE
	s_wait_alu 0xfffe
	s_and_b32 s6, s9, s6
	s_wait_alu 0xfffe
	v_cndmask_b32_e64 v44, v55, v58, s6
	v_and_b32_e32 v43, 0xffff, v43
	s_delay_alu instid0(VALU_DEP_2) | instskip(NEXT) | instid1(VALU_DEP_1)
	v_lshlrev_b16 v44, 8, v44
	v_or_b32_e32 v44, v48, v44
	s_delay_alu instid0(VALU_DEP_1) | instskip(NEXT) | instid1(VALU_DEP_1)
	v_lshlrev_b32_e32 v44, 16, v44
	v_or_b32_e32 v43, v43, v44
	ds_store_b64 v1, v[42:43]
	s_wait_loadcnt_dscnt 0x0
	s_barrier_signal -1
	s_barrier_wait -1
	global_inv scope:SCOPE_SE
	s_and_saveexec_b32 s7, s4
	s_cbranch_execz .LBB98_134
; %bb.131:                              ;   in Loop: Header=BB98_2 Depth=1
	v_dual_mov_b32 v41, v39 :: v_dual_mov_b32 v42, v33
	s_mov_b32 s8, 0
.LBB98_132:                             ;   Parent Loop BB98_2 Depth=1
                                        ; =>  This Inner Loop Header: Depth=2
	s_delay_alu instid0(VALU_DEP_1) | instskip(NEXT) | instid1(VALU_DEP_1)
	v_sub_nc_u32_e32 v43, v42, v41
	v_lshrrev_b32_e32 v43, 1, v43
	s_delay_alu instid0(VALU_DEP_1) | instskip(NEXT) | instid1(VALU_DEP_1)
	v_add_nc_u32_e32 v43, v43, v41
	v_add_nc_u32_e32 v44, v6, v43
	v_xad_u32 v45, v43, -1, v27
	v_add_nc_u32_e32 v46, 1, v43
	ds_load_u8 v44, v44
	ds_load_u8 v45, v45
	s_wait_dscnt 0x0
	v_cmp_lt_u16_e64 s6, v45, v44
	s_wait_alu 0xf1ff
	s_delay_alu instid0(VALU_DEP_1) | instskip(SKIP_1) | instid1(VALU_DEP_1)
	v_cndmask_b32_e64 v42, v42, v43, s6
	v_cndmask_b32_e64 v41, v46, v41, s6
	v_cmp_ge_i32_e64 s6, v41, v42
	s_wait_alu 0xfffe
	s_or_b32 s8, s6, s8
	s_wait_alu 0xfffe
	s_and_not1_b32 exec_lo, exec_lo, s8
	s_cbranch_execnz .LBB98_132
; %bb.133:                              ;   in Loop: Header=BB98_2 Depth=1
	s_or_b32 exec_lo, exec_lo, s8
.LBB98_134:                             ;   in Loop: Header=BB98_2 Depth=1
	s_wait_alu 0xfffe
	s_or_b32 exec_lo, exec_lo, s7
	v_add_nc_u32_e32 v46, v41, v6
	v_sub_nc_u32_e32 v45, v27, v41
	ds_load_u8 v41, v46
	ds_load_u8 v42, v45
	v_cmp_le_i32_e64 s6, v19, v46
	v_cmp_gt_i32_e64 s8, v20, v45
	s_wait_dscnt 0x1
	v_and_b32_e32 v43, 0xff, v41
	s_wait_dscnt 0x0
	v_and_b32_e32 v44, 0xff, v42
	s_delay_alu instid0(VALU_DEP_1)
	v_cmp_lt_u16_e64 s7, v44, v43
                                        ; implicit-def: $vgpr43
	s_or_b32 s6, s6, s7
	s_wait_alu 0xfffe
	s_and_b32 s6, s8, s6
	s_wait_alu 0xfffe
	s_xor_b32 s7, s6, -1
	s_wait_alu 0xfffe
	s_and_saveexec_b32 s8, s7
	s_wait_alu 0xfffe
	s_xor_b32 s7, exec_lo, s8
; %bb.135:                              ;   in Loop: Header=BB98_2 Depth=1
	ds_load_u8 v43, v46 offset:1
; %bb.136:                              ;   in Loop: Header=BB98_2 Depth=1
	s_wait_alu 0xfffe
	s_or_saveexec_b32 s7, s7
	v_mov_b32_e32 v44, v42
	s_wait_alu 0xfffe
	s_xor_b32 exec_lo, exec_lo, s7
	s_cbranch_execz .LBB98_138
; %bb.137:                              ;   in Loop: Header=BB98_2 Depth=1
	ds_load_u8 v44, v45 offset:1
	s_wait_dscnt 0x1
	v_mov_b32_e32 v43, v41
.LBB98_138:                             ;   in Loop: Header=BB98_2 Depth=1
	s_or_b32 exec_lo, exec_lo, s7
	v_add_nc_u32_e32 v47, 1, v46
	v_add_nc_u32_e32 v49, 1, v45
	s_wait_dscnt 0x0
	v_and_b32_e32 v50, 0xff, v43
	s_delay_alu instid0(VALU_DEP_3) | instskip(SKIP_2) | instid1(VALU_DEP_3)
	v_cndmask_b32_e64 v48, v47, v46, s6
	v_and_b32_e32 v46, 0xff, v44
	v_cndmask_b32_e64 v47, v45, v49, s6
                                        ; implicit-def: $vgpr45
	v_cmp_ge_i32_e64 s7, v48, v19
	s_delay_alu instid0(VALU_DEP_3) | instskip(NEXT) | instid1(VALU_DEP_3)
	v_cmp_lt_u16_e64 s8, v46, v50
	v_cmp_lt_i32_e64 s9, v47, v20
	s_or_b32 s7, s7, s8
	s_wait_alu 0xfffe
	s_and_b32 s7, s9, s7
	s_wait_alu 0xfffe
	s_xor_b32 s8, s7, -1
	s_wait_alu 0xfffe
	s_and_saveexec_b32 s9, s8
	s_wait_alu 0xfffe
	s_xor_b32 s8, exec_lo, s9
; %bb.139:                              ;   in Loop: Header=BB98_2 Depth=1
	ds_load_u8 v45, v48 offset:1
; %bb.140:                              ;   in Loop: Header=BB98_2 Depth=1
	s_wait_alu 0xfffe
	s_or_saveexec_b32 s8, s8
	v_mov_b32_e32 v46, v44
	s_wait_alu 0xfffe
	s_xor_b32 exec_lo, exec_lo, s8
	s_cbranch_execz .LBB98_142
; %bb.141:                              ;   in Loop: Header=BB98_2 Depth=1
	ds_load_u8 v46, v47 offset:1
	s_wait_dscnt 0x1
	v_mov_b32_e32 v45, v43
.LBB98_142:                             ;   in Loop: Header=BB98_2 Depth=1
	s_or_b32 exec_lo, exec_lo, s8
	v_add_nc_u32_e32 v49, 1, v48
	v_add_nc_u32_e32 v51, 1, v47
	s_wait_dscnt 0x0
	v_and_b32_e32 v52, 0xff, v45
	s_delay_alu instid0(VALU_DEP_3) | instskip(SKIP_2) | instid1(VALU_DEP_3)
	v_cndmask_b32_e64 v50, v49, v48, s7
	v_and_b32_e32 v48, 0xff, v46
	v_cndmask_b32_e64 v49, v47, v51, s7
                                        ; implicit-def: $vgpr47
	v_cmp_ge_i32_e64 s8, v50, v19
	s_delay_alu instid0(VALU_DEP_3) | instskip(NEXT) | instid1(VALU_DEP_3)
	v_cmp_lt_u16_e64 s9, v48, v52
	v_cmp_lt_i32_e64 s10, v49, v20
	s_or_b32 s8, s8, s9
	s_wait_alu 0xfffe
	s_and_b32 s8, s10, s8
	s_wait_alu 0xfffe
	s_xor_b32 s9, s8, -1
	s_wait_alu 0xfffe
	s_and_saveexec_b32 s10, s9
	s_wait_alu 0xfffe
	s_xor_b32 s9, exec_lo, s10
; %bb.143:                              ;   in Loop: Header=BB98_2 Depth=1
	ds_load_u8 v47, v50 offset:1
; %bb.144:                              ;   in Loop: Header=BB98_2 Depth=1
	s_wait_alu 0xfffe
	s_or_saveexec_b32 s9, s9
	v_mov_b32_e32 v48, v46
	s_wait_alu 0xfffe
	s_xor_b32 exec_lo, exec_lo, s9
	s_cbranch_execz .LBB98_146
; %bb.145:                              ;   in Loop: Header=BB98_2 Depth=1
	ds_load_u8 v48, v49 offset:1
	s_wait_dscnt 0x1
	v_mov_b32_e32 v47, v45
.LBB98_146:                             ;   in Loop: Header=BB98_2 Depth=1
	s_or_b32 exec_lo, exec_lo, s9
	v_add_nc_u32_e32 v51, 1, v50
	v_add_nc_u32_e32 v53, 1, v49
	s_wait_dscnt 0x0
	v_and_b32_e32 v54, 0xff, v47
	s_delay_alu instid0(VALU_DEP_3) | instskip(SKIP_2) | instid1(VALU_DEP_3)
	v_cndmask_b32_e64 v52, v51, v50, s8
	v_and_b32_e32 v50, 0xff, v48
	v_cndmask_b32_e64 v51, v49, v53, s8
                                        ; implicit-def: $vgpr49
	v_cmp_ge_i32_e64 s9, v52, v19
	s_delay_alu instid0(VALU_DEP_3) | instskip(NEXT) | instid1(VALU_DEP_3)
	v_cmp_lt_u16_e64 s10, v50, v54
	v_cmp_lt_i32_e64 s11, v51, v20
	s_or_b32 s9, s9, s10
	s_wait_alu 0xfffe
	s_and_b32 s9, s11, s9
	s_wait_alu 0xfffe
	s_xor_b32 s10, s9, -1
	s_wait_alu 0xfffe
	s_and_saveexec_b32 s11, s10
	s_wait_alu 0xfffe
	s_xor_b32 s10, exec_lo, s11
; %bb.147:                              ;   in Loop: Header=BB98_2 Depth=1
	ds_load_u8 v49, v52 offset:1
; %bb.148:                              ;   in Loop: Header=BB98_2 Depth=1
	s_wait_alu 0xfffe
	s_or_saveexec_b32 s10, s10
	v_mov_b32_e32 v50, v48
	s_wait_alu 0xfffe
	s_xor_b32 exec_lo, exec_lo, s10
	s_cbranch_execz .LBB98_150
; %bb.149:                              ;   in Loop: Header=BB98_2 Depth=1
	ds_load_u8 v50, v51 offset:1
	s_wait_dscnt 0x1
	v_mov_b32_e32 v49, v47
.LBB98_150:                             ;   in Loop: Header=BB98_2 Depth=1
	s_or_b32 exec_lo, exec_lo, s10
	v_add_nc_u32_e32 v53, 1, v52
	v_add_nc_u32_e32 v55, 1, v51
	s_wait_dscnt 0x0
	v_and_b32_e32 v56, 0xff, v49
	s_delay_alu instid0(VALU_DEP_3) | instskip(SKIP_2) | instid1(VALU_DEP_3)
	v_cndmask_b32_e64 v54, v53, v52, s9
	v_and_b32_e32 v52, 0xff, v50
	v_cndmask_b32_e64 v53, v51, v55, s9
                                        ; implicit-def: $vgpr51
	v_cmp_ge_i32_e64 s10, v54, v19
	s_delay_alu instid0(VALU_DEP_3) | instskip(NEXT) | instid1(VALU_DEP_3)
	v_cmp_lt_u16_e64 s11, v52, v56
	v_cmp_lt_i32_e64 s12, v53, v20
	s_or_b32 s10, s10, s11
	s_wait_alu 0xfffe
	s_and_b32 s10, s12, s10
	s_wait_alu 0xfffe
	s_xor_b32 s11, s10, -1
	s_wait_alu 0xfffe
	s_and_saveexec_b32 s12, s11
	s_wait_alu 0xfffe
	s_xor_b32 s11, exec_lo, s12
; %bb.151:                              ;   in Loop: Header=BB98_2 Depth=1
	ds_load_u8 v51, v54 offset:1
; %bb.152:                              ;   in Loop: Header=BB98_2 Depth=1
	s_wait_alu 0xfffe
	s_or_saveexec_b32 s11, s11
	v_mov_b32_e32 v52, v50
	s_wait_alu 0xfffe
	s_xor_b32 exec_lo, exec_lo, s11
	s_cbranch_execz .LBB98_154
; %bb.153:                              ;   in Loop: Header=BB98_2 Depth=1
	ds_load_u8 v52, v53 offset:1
	s_wait_dscnt 0x1
	v_mov_b32_e32 v51, v49
.LBB98_154:                             ;   in Loop: Header=BB98_2 Depth=1
	s_or_b32 exec_lo, exec_lo, s11
	v_add_nc_u32_e32 v55, 1, v54
	v_add_nc_u32_e32 v57, 1, v53
	s_wait_dscnt 0x0
	v_and_b32_e32 v58, 0xff, v51
	s_delay_alu instid0(VALU_DEP_3) | instskip(SKIP_2) | instid1(VALU_DEP_3)
	v_cndmask_b32_e64 v56, v55, v54, s10
	v_and_b32_e32 v54, 0xff, v52
	v_cndmask_b32_e64 v55, v53, v57, s10
                                        ; implicit-def: $vgpr53
	v_cmp_ge_i32_e64 s11, v56, v19
	s_delay_alu instid0(VALU_DEP_3) | instskip(NEXT) | instid1(VALU_DEP_3)
	v_cmp_lt_u16_e64 s12, v54, v58
	v_cmp_lt_i32_e64 s13, v55, v20
	s_or_b32 s11, s11, s12
	s_wait_alu 0xfffe
	s_and_b32 s11, s13, s11
	s_wait_alu 0xfffe
	s_xor_b32 s12, s11, -1
	s_wait_alu 0xfffe
	s_and_saveexec_b32 s13, s12
	s_wait_alu 0xfffe
	s_xor_b32 s12, exec_lo, s13
; %bb.155:                              ;   in Loop: Header=BB98_2 Depth=1
	ds_load_u8 v53, v56 offset:1
; %bb.156:                              ;   in Loop: Header=BB98_2 Depth=1
	s_wait_alu 0xfffe
	s_or_saveexec_b32 s12, s12
	v_mov_b32_e32 v54, v52
	s_wait_alu 0xfffe
	s_xor_b32 exec_lo, exec_lo, s12
	s_cbranch_execz .LBB98_158
; %bb.157:                              ;   in Loop: Header=BB98_2 Depth=1
	ds_load_u8 v54, v55 offset:1
	s_wait_dscnt 0x1
	v_mov_b32_e32 v53, v51
.LBB98_158:                             ;   in Loop: Header=BB98_2 Depth=1
	s_or_b32 exec_lo, exec_lo, s12
	v_add_nc_u32_e32 v57, 1, v56
	v_add_nc_u32_e32 v58, 1, v55
	s_wait_dscnt 0x0
	v_and_b32_e32 v59, 0xff, v53
	v_and_b32_e32 v60, 0xff, v54
	v_cndmask_b32_e64 v57, v57, v56, s11
	v_cndmask_b32_e64 v56, v55, v58, s11
                                        ; implicit-def: $vgpr55
	s_delay_alu instid0(VALU_DEP_3) | instskip(NEXT) | instid1(VALU_DEP_3)
	v_cmp_lt_u16_e64 s13, v60, v59
	v_cmp_ge_i32_e64 s12, v57, v19
	s_delay_alu instid0(VALU_DEP_3)
	v_cmp_lt_i32_e64 s14, v56, v20
	s_or_b32 s12, s12, s13
	s_wait_alu 0xfffe
	s_and_b32 s12, s14, s12
	s_wait_alu 0xfffe
	s_xor_b32 s13, s12, -1
	s_wait_alu 0xfffe
	s_and_saveexec_b32 s14, s13
	s_delay_alu instid0(SALU_CYCLE_1)
	s_xor_b32 s13, exec_lo, s14
; %bb.159:                              ;   in Loop: Header=BB98_2 Depth=1
	ds_load_u8 v55, v57 offset:1
; %bb.160:                              ;   in Loop: Header=BB98_2 Depth=1
	s_wait_alu 0xfffe
	s_or_saveexec_b32 s13, s13
	v_mov_b32_e32 v58, v54
	s_wait_alu 0xfffe
	s_xor_b32 exec_lo, exec_lo, s13
	s_cbranch_execz .LBB98_162
; %bb.161:                              ;   in Loop: Header=BB98_2 Depth=1
	ds_load_u8 v58, v56 offset:1
	s_wait_dscnt 0x1
	v_mov_b32_e32 v55, v53
.LBB98_162:                             ;   in Loop: Header=BB98_2 Depth=1
	s_or_b32 exec_lo, exec_lo, s13
	v_cndmask_b32_e64 v47, v47, v48, s9
	v_cndmask_b32_e64 v43, v43, v44, s7
	;; [unrolled: 1-line block ×4, first 2 shown]
	v_add_nc_u32_e32 v59, 1, v57
	v_lshlrev_b16 v45, 8, v47
	v_lshlrev_b16 v43, 8, v43
	v_and_b32_e32 v41, 0xff, v41
	v_and_b32_e32 v42, 0xff, v42
	v_cndmask_b32_e64 v53, v53, v54, s12
	v_add_nc_u32_e32 v54, 1, v56
	s_wait_dscnt 0x0
	v_and_b32_e32 v60, 0xff, v55
	v_or_b32_e32 v41, v41, v43
	v_or_b32_e32 v42, v42, v45
	v_and_b32_e32 v61, 0xff, v58
	v_cndmask_b32_e64 v57, v59, v57, s12
	v_cndmask_b32_e64 v51, v51, v52, s11
	v_and_b32_e32 v41, 0xffff, v41
	v_lshlrev_b32_e32 v42, 16, v42
	v_cndmask_b32_e64 v49, v49, v50, s10
	v_cmp_lt_u16_e64 s10, v61, v60
	v_cmp_ge_i32_e64 s11, v57, v19
	v_lshlrev_b16 v46, 8, v51
	v_or_b32_e32 v42, v41, v42
	v_mov_b32_e32 v41, v40
	v_cndmask_b32_e64 v52, v56, v54, s12
	s_or_b32 s6, s11, s10
	v_and_b32_e32 v47, 0xff, v49
	v_and_b32_e32 v48, 0xff, v53
	s_wait_loadcnt 0x0
	v_cmp_lt_i32_e64 s9, v52, v20
	s_barrier_signal -1
	v_or_b32_e32 v43, v47, v46
	s_barrier_wait -1
	global_inv scope:SCOPE_SE
	s_wait_alu 0xfffe
	s_and_b32 s6, s9, s6
	s_wait_alu 0xfffe
	v_cndmask_b32_e64 v44, v55, v58, s6
	v_and_b32_e32 v43, 0xffff, v43
	s_delay_alu instid0(VALU_DEP_2) | instskip(NEXT) | instid1(VALU_DEP_1)
	v_lshlrev_b16 v44, 8, v44
	v_or_b32_e32 v44, v48, v44
	s_delay_alu instid0(VALU_DEP_1) | instskip(NEXT) | instid1(VALU_DEP_1)
	v_lshlrev_b32_e32 v44, 16, v44
	v_or_b32_e32 v43, v43, v44
	ds_store_b64 v1, v[42:43]
	s_wait_loadcnt_dscnt 0x0
	s_barrier_signal -1
	s_barrier_wait -1
	global_inv scope:SCOPE_SE
	s_and_saveexec_b32 s7, s5
	s_cbranch_execz .LBB98_166
; %bb.163:                              ;   in Loop: Header=BB98_2 Depth=1
	v_dual_mov_b32 v41, v40 :: v_dual_mov_b32 v42, v34
	s_mov_b32 s8, 0
.LBB98_164:                             ;   Parent Loop BB98_2 Depth=1
                                        ; =>  This Inner Loop Header: Depth=2
	s_delay_alu instid0(VALU_DEP_1) | instskip(NEXT) | instid1(VALU_DEP_1)
	v_sub_nc_u32_e32 v43, v42, v41
	v_lshrrev_b32_e32 v43, 1, v43
	s_delay_alu instid0(VALU_DEP_1) | instskip(NEXT) | instid1(VALU_DEP_1)
	v_add_nc_u32_e32 v43, v43, v41
	v_add_nc_u32_e32 v44, v7, v43
	v_xad_u32 v45, v43, -1, v28
	v_add_nc_u32_e32 v46, 1, v43
	ds_load_u8 v44, v44
	ds_load_u8 v45, v45
	s_wait_dscnt 0x0
	v_cmp_lt_u16_e64 s6, v45, v44
	s_wait_alu 0xf1ff
	s_delay_alu instid0(VALU_DEP_1) | instskip(SKIP_1) | instid1(VALU_DEP_1)
	v_cndmask_b32_e64 v42, v42, v43, s6
	v_cndmask_b32_e64 v41, v46, v41, s6
	v_cmp_ge_i32_e64 s6, v41, v42
	s_wait_alu 0xfffe
	s_or_b32 s8, s6, s8
	s_wait_alu 0xfffe
	s_and_not1_b32 exec_lo, exec_lo, s8
	s_cbranch_execnz .LBB98_164
; %bb.165:                              ;   in Loop: Header=BB98_2 Depth=1
	s_or_b32 exec_lo, exec_lo, s8
.LBB98_166:                             ;   in Loop: Header=BB98_2 Depth=1
	s_wait_alu 0xfffe
	s_or_b32 exec_lo, exec_lo, s7
	v_add_nc_u32_e32 v46, v41, v7
	v_sub_nc_u32_e32 v45, v28, v41
	ds_load_u8 v41, v46
	ds_load_u8 v42, v45
	v_cmp_le_i32_e64 s6, v21, v46
	v_cmp_gt_i32_e64 s8, v22, v45
	s_wait_dscnt 0x1
	v_and_b32_e32 v43, 0xff, v41
	s_wait_dscnt 0x0
	v_and_b32_e32 v44, 0xff, v42
	s_delay_alu instid0(VALU_DEP_1)
	v_cmp_lt_u16_e64 s7, v44, v43
                                        ; implicit-def: $vgpr43
	s_or_b32 s6, s6, s7
	s_wait_alu 0xfffe
	s_and_b32 s6, s8, s6
	s_wait_alu 0xfffe
	s_xor_b32 s7, s6, -1
	s_wait_alu 0xfffe
	s_and_saveexec_b32 s8, s7
	s_wait_alu 0xfffe
	s_xor_b32 s7, exec_lo, s8
; %bb.167:                              ;   in Loop: Header=BB98_2 Depth=1
	ds_load_u8 v43, v46 offset:1
; %bb.168:                              ;   in Loop: Header=BB98_2 Depth=1
	s_wait_alu 0xfffe
	s_or_saveexec_b32 s7, s7
	v_mov_b32_e32 v44, v42
	s_wait_alu 0xfffe
	s_xor_b32 exec_lo, exec_lo, s7
	s_cbranch_execz .LBB98_170
; %bb.169:                              ;   in Loop: Header=BB98_2 Depth=1
	ds_load_u8 v44, v45 offset:1
	s_wait_dscnt 0x1
	v_mov_b32_e32 v43, v41
.LBB98_170:                             ;   in Loop: Header=BB98_2 Depth=1
	s_or_b32 exec_lo, exec_lo, s7
	v_add_nc_u32_e32 v47, 1, v46
	v_add_nc_u32_e32 v49, 1, v45
	s_wait_dscnt 0x0
	v_and_b32_e32 v50, 0xff, v43
	s_delay_alu instid0(VALU_DEP_3) | instskip(SKIP_2) | instid1(VALU_DEP_3)
	v_cndmask_b32_e64 v48, v47, v46, s6
	v_and_b32_e32 v46, 0xff, v44
	v_cndmask_b32_e64 v47, v45, v49, s6
                                        ; implicit-def: $vgpr45
	v_cmp_ge_i32_e64 s7, v48, v21
	s_delay_alu instid0(VALU_DEP_3) | instskip(NEXT) | instid1(VALU_DEP_3)
	v_cmp_lt_u16_e64 s8, v46, v50
	v_cmp_lt_i32_e64 s9, v47, v22
	s_or_b32 s7, s7, s8
	s_wait_alu 0xfffe
	s_and_b32 s7, s9, s7
	s_wait_alu 0xfffe
	s_xor_b32 s8, s7, -1
	s_wait_alu 0xfffe
	s_and_saveexec_b32 s9, s8
	s_wait_alu 0xfffe
	s_xor_b32 s8, exec_lo, s9
; %bb.171:                              ;   in Loop: Header=BB98_2 Depth=1
	ds_load_u8 v45, v48 offset:1
; %bb.172:                              ;   in Loop: Header=BB98_2 Depth=1
	s_wait_alu 0xfffe
	s_or_saveexec_b32 s8, s8
	v_mov_b32_e32 v46, v44
	s_wait_alu 0xfffe
	s_xor_b32 exec_lo, exec_lo, s8
	s_cbranch_execz .LBB98_174
; %bb.173:                              ;   in Loop: Header=BB98_2 Depth=1
	ds_load_u8 v46, v47 offset:1
	s_wait_dscnt 0x1
	v_mov_b32_e32 v45, v43
.LBB98_174:                             ;   in Loop: Header=BB98_2 Depth=1
	s_or_b32 exec_lo, exec_lo, s8
	v_add_nc_u32_e32 v49, 1, v48
	v_add_nc_u32_e32 v51, 1, v47
	s_wait_dscnt 0x0
	v_and_b32_e32 v52, 0xff, v45
	s_delay_alu instid0(VALU_DEP_3) | instskip(SKIP_2) | instid1(VALU_DEP_3)
	v_cndmask_b32_e64 v50, v49, v48, s7
	v_and_b32_e32 v48, 0xff, v46
	v_cndmask_b32_e64 v49, v47, v51, s7
                                        ; implicit-def: $vgpr47
	v_cmp_ge_i32_e64 s8, v50, v21
	s_delay_alu instid0(VALU_DEP_3) | instskip(NEXT) | instid1(VALU_DEP_3)
	v_cmp_lt_u16_e64 s9, v48, v52
	v_cmp_lt_i32_e64 s10, v49, v22
	s_or_b32 s8, s8, s9
	s_wait_alu 0xfffe
	s_and_b32 s8, s10, s8
	s_wait_alu 0xfffe
	s_xor_b32 s9, s8, -1
	s_wait_alu 0xfffe
	s_and_saveexec_b32 s10, s9
	s_wait_alu 0xfffe
	s_xor_b32 s9, exec_lo, s10
; %bb.175:                              ;   in Loop: Header=BB98_2 Depth=1
	ds_load_u8 v47, v50 offset:1
; %bb.176:                              ;   in Loop: Header=BB98_2 Depth=1
	s_wait_alu 0xfffe
	s_or_saveexec_b32 s9, s9
	v_mov_b32_e32 v48, v46
	s_wait_alu 0xfffe
	s_xor_b32 exec_lo, exec_lo, s9
	s_cbranch_execz .LBB98_178
; %bb.177:                              ;   in Loop: Header=BB98_2 Depth=1
	ds_load_u8 v48, v49 offset:1
	s_wait_dscnt 0x1
	v_mov_b32_e32 v47, v45
.LBB98_178:                             ;   in Loop: Header=BB98_2 Depth=1
	s_or_b32 exec_lo, exec_lo, s9
	v_add_nc_u32_e32 v51, 1, v50
	v_add_nc_u32_e32 v53, 1, v49
	s_wait_dscnt 0x0
	v_and_b32_e32 v54, 0xff, v47
	s_delay_alu instid0(VALU_DEP_3) | instskip(SKIP_2) | instid1(VALU_DEP_3)
	v_cndmask_b32_e64 v52, v51, v50, s8
	v_and_b32_e32 v50, 0xff, v48
	v_cndmask_b32_e64 v51, v49, v53, s8
                                        ; implicit-def: $vgpr49
	v_cmp_ge_i32_e64 s9, v52, v21
	s_delay_alu instid0(VALU_DEP_3) | instskip(NEXT) | instid1(VALU_DEP_3)
	v_cmp_lt_u16_e64 s10, v50, v54
	v_cmp_lt_i32_e64 s11, v51, v22
	s_or_b32 s9, s9, s10
	s_wait_alu 0xfffe
	s_and_b32 s9, s11, s9
	s_wait_alu 0xfffe
	s_xor_b32 s10, s9, -1
	s_wait_alu 0xfffe
	s_and_saveexec_b32 s11, s10
	s_wait_alu 0xfffe
	s_xor_b32 s10, exec_lo, s11
; %bb.179:                              ;   in Loop: Header=BB98_2 Depth=1
	ds_load_u8 v49, v52 offset:1
; %bb.180:                              ;   in Loop: Header=BB98_2 Depth=1
	s_wait_alu 0xfffe
	s_or_saveexec_b32 s10, s10
	v_mov_b32_e32 v50, v48
	s_wait_alu 0xfffe
	s_xor_b32 exec_lo, exec_lo, s10
	s_cbranch_execz .LBB98_182
; %bb.181:                              ;   in Loop: Header=BB98_2 Depth=1
	ds_load_u8 v50, v51 offset:1
	s_wait_dscnt 0x1
	v_mov_b32_e32 v49, v47
.LBB98_182:                             ;   in Loop: Header=BB98_2 Depth=1
	s_or_b32 exec_lo, exec_lo, s10
	v_add_nc_u32_e32 v53, 1, v52
	v_add_nc_u32_e32 v55, 1, v51
	s_wait_dscnt 0x0
	v_and_b32_e32 v56, 0xff, v49
	s_delay_alu instid0(VALU_DEP_3) | instskip(SKIP_2) | instid1(VALU_DEP_3)
	v_cndmask_b32_e64 v54, v53, v52, s9
	v_and_b32_e32 v52, 0xff, v50
	v_cndmask_b32_e64 v53, v51, v55, s9
                                        ; implicit-def: $vgpr51
	v_cmp_ge_i32_e64 s10, v54, v21
	s_delay_alu instid0(VALU_DEP_3) | instskip(NEXT) | instid1(VALU_DEP_3)
	v_cmp_lt_u16_e64 s11, v52, v56
	v_cmp_lt_i32_e64 s12, v53, v22
	s_or_b32 s10, s10, s11
	s_wait_alu 0xfffe
	s_and_b32 s10, s12, s10
	s_wait_alu 0xfffe
	s_xor_b32 s11, s10, -1
	s_wait_alu 0xfffe
	s_and_saveexec_b32 s12, s11
	s_wait_alu 0xfffe
	s_xor_b32 s11, exec_lo, s12
; %bb.183:                              ;   in Loop: Header=BB98_2 Depth=1
	ds_load_u8 v51, v54 offset:1
; %bb.184:                              ;   in Loop: Header=BB98_2 Depth=1
	s_wait_alu 0xfffe
	s_or_saveexec_b32 s11, s11
	v_mov_b32_e32 v52, v50
	s_wait_alu 0xfffe
	s_xor_b32 exec_lo, exec_lo, s11
	s_cbranch_execz .LBB98_186
; %bb.185:                              ;   in Loop: Header=BB98_2 Depth=1
	ds_load_u8 v52, v53 offset:1
	s_wait_dscnt 0x1
	v_mov_b32_e32 v51, v49
.LBB98_186:                             ;   in Loop: Header=BB98_2 Depth=1
	s_or_b32 exec_lo, exec_lo, s11
	v_add_nc_u32_e32 v55, 1, v54
	v_add_nc_u32_e32 v57, 1, v53
	s_wait_dscnt 0x0
	v_and_b32_e32 v58, 0xff, v51
	s_delay_alu instid0(VALU_DEP_3) | instskip(SKIP_2) | instid1(VALU_DEP_3)
	v_cndmask_b32_e64 v56, v55, v54, s10
	v_and_b32_e32 v54, 0xff, v52
	v_cndmask_b32_e64 v55, v53, v57, s10
                                        ; implicit-def: $vgpr53
	v_cmp_ge_i32_e64 s11, v56, v21
	s_delay_alu instid0(VALU_DEP_3) | instskip(NEXT) | instid1(VALU_DEP_3)
	v_cmp_lt_u16_e64 s12, v54, v58
	v_cmp_lt_i32_e64 s13, v55, v22
	s_or_b32 s11, s11, s12
	s_wait_alu 0xfffe
	s_and_b32 s11, s13, s11
	s_wait_alu 0xfffe
	s_xor_b32 s12, s11, -1
	s_wait_alu 0xfffe
	s_and_saveexec_b32 s13, s12
	s_wait_alu 0xfffe
	s_xor_b32 s12, exec_lo, s13
; %bb.187:                              ;   in Loop: Header=BB98_2 Depth=1
	ds_load_u8 v53, v56 offset:1
; %bb.188:                              ;   in Loop: Header=BB98_2 Depth=1
	s_wait_alu 0xfffe
	s_or_saveexec_b32 s12, s12
	v_mov_b32_e32 v54, v52
	s_wait_alu 0xfffe
	s_xor_b32 exec_lo, exec_lo, s12
	s_cbranch_execz .LBB98_190
; %bb.189:                              ;   in Loop: Header=BB98_2 Depth=1
	ds_load_u8 v54, v55 offset:1
	s_wait_dscnt 0x1
	v_mov_b32_e32 v53, v51
.LBB98_190:                             ;   in Loop: Header=BB98_2 Depth=1
	s_or_b32 exec_lo, exec_lo, s12
	v_add_nc_u32_e32 v57, 1, v56
	v_add_nc_u32_e32 v58, 1, v55
	s_wait_dscnt 0x0
	v_and_b32_e32 v59, 0xff, v53
	v_and_b32_e32 v60, 0xff, v54
	v_cndmask_b32_e64 v57, v57, v56, s11
	v_cndmask_b32_e64 v56, v55, v58, s11
                                        ; implicit-def: $vgpr55
	s_delay_alu instid0(VALU_DEP_3) | instskip(NEXT) | instid1(VALU_DEP_3)
	v_cmp_lt_u16_e64 s13, v60, v59
	v_cmp_ge_i32_e64 s12, v57, v21
	s_delay_alu instid0(VALU_DEP_3)
	v_cmp_lt_i32_e64 s14, v56, v22
	s_or_b32 s12, s12, s13
	s_wait_alu 0xfffe
	s_and_b32 s12, s14, s12
	s_wait_alu 0xfffe
	s_xor_b32 s13, s12, -1
	s_wait_alu 0xfffe
	s_and_saveexec_b32 s14, s13
	s_delay_alu instid0(SALU_CYCLE_1)
	s_xor_b32 s13, exec_lo, s14
; %bb.191:                              ;   in Loop: Header=BB98_2 Depth=1
	ds_load_u8 v55, v57 offset:1
; %bb.192:                              ;   in Loop: Header=BB98_2 Depth=1
	s_wait_alu 0xfffe
	s_or_saveexec_b32 s13, s13
	v_mov_b32_e32 v58, v54
	s_wait_alu 0xfffe
	s_xor_b32 exec_lo, exec_lo, s13
	s_cbranch_execz .LBB98_194
; %bb.193:                              ;   in Loop: Header=BB98_2 Depth=1
	ds_load_u8 v58, v56 offset:1
	s_wait_dscnt 0x1
	v_mov_b32_e32 v55, v53
.LBB98_194:                             ;   in Loop: Header=BB98_2 Depth=1
	s_or_b32 exec_lo, exec_lo, s13
	v_cndmask_b32_e64 v47, v47, v48, s9
	v_cndmask_b32_e64 v41, v41, v42, s6
	v_cndmask_b32_e64 v42, v45, v46, s8
	v_add_nc_u32_e32 v59, 1, v57
	v_cndmask_b32_e64 v53, v53, v54, s12
	v_add_nc_u32_e32 v54, 1, v56
	v_lshlrev_b16 v45, 8, v47
	v_and_b32_e32 v42, 0xff, v42
	s_wait_dscnt 0x0
	v_and_b32_e32 v60, 0xff, v55
	v_and_b32_e32 v61, 0xff, v58
	v_cndmask_b32_e64 v57, v59, v57, s12
	v_cndmask_b32_e64 v51, v51, v52, s11
	v_or_b32_e32 v42, v42, v45
	v_mov_b32_e32 v45, v8
	v_cndmask_b32_e64 v52, v56, v54, s12
	v_cndmask_b32_e64 v49, v49, v50, s10
	v_cmp_lt_u16_e64 s10, v61, v60
	v_cmp_ge_i32_e64 s11, v57, v21
	v_cndmask_b32_e64 v43, v43, v44, s7
	v_cmp_lt_i32_e64 s9, v52, v22
	v_and_b32_e32 v41, 0xff, v41
	v_lshlrev_b16 v46, 8, v51
	s_or_b32 s6, s11, s10
	v_lshlrev_b16 v43, 8, v43
	s_wait_alu 0xfffe
	s_and_b32 s6, s9, s6
	v_and_b32_e32 v47, 0xff, v49
	s_wait_alu 0xfffe
	v_cndmask_b32_e64 v44, v55, v58, s6
	v_and_b32_e32 v48, 0xff, v53
	v_or_b32_e32 v41, v41, v43
	v_lshlrev_b32_e32 v42, 16, v42
	v_or_b32_e32 v43, v47, v46
	v_lshlrev_b16 v44, 8, v44
	s_wait_loadcnt 0x0
	v_and_b32_e32 v41, 0xffff, v41
	s_barrier_signal -1
	v_and_b32_e32 v43, 0xffff, v43
	v_or_b32_e32 v44, v48, v44
	s_barrier_wait -1
	v_or_b32_e32 v41, v41, v42
	global_inv scope:SCOPE_SE
	v_lshlrev_b32_e32 v44, 16, v44
	s_delay_alu instid0(VALU_DEP_1)
	v_or_b32_e32 v42, v43, v44
	ds_store_b64 v1, v[41:42]
	s_wait_loadcnt_dscnt 0x0
	s_barrier_signal -1
	s_barrier_wait -1
	global_inv scope:SCOPE_SE
	s_and_saveexec_b32 s7, vcc_lo
	s_cbranch_execz .LBB98_198
; %bb.195:                              ;   in Loop: Header=BB98_2 Depth=1
	v_mov_b32_e32 v45, v8
	v_mov_b32_e32 v41, v9
	s_mov_b32 s8, 0
.LBB98_196:                             ;   Parent Loop BB98_2 Depth=1
                                        ; =>  This Inner Loop Header: Depth=2
	s_delay_alu instid0(VALU_DEP_1) | instskip(NEXT) | instid1(VALU_DEP_1)
	v_sub_nc_u32_e32 v42, v41, v45
	v_lshrrev_b32_e32 v42, 1, v42
	s_delay_alu instid0(VALU_DEP_1) | instskip(NEXT) | instid1(VALU_DEP_1)
	v_add_nc_u32_e32 v42, v42, v45
	v_xad_u32 v43, v42, -1, v10
	v_add_nc_u32_e32 v46, 1, v42
	ds_load_u8 v44, v42
	ds_load_u8 v43, v43
	s_wait_dscnt 0x0
	v_cmp_lt_u16_e64 s6, v43, v44
	s_wait_alu 0xf1ff
	s_delay_alu instid0(VALU_DEP_1) | instskip(SKIP_1) | instid1(VALU_DEP_1)
	v_cndmask_b32_e64 v41, v41, v42, s6
	v_cndmask_b32_e64 v45, v46, v45, s6
	v_cmp_ge_i32_e64 s6, v45, v41
	s_wait_alu 0xfffe
	s_or_b32 s8, s6, s8
	s_wait_alu 0xfffe
	s_and_not1_b32 exec_lo, exec_lo, s8
	s_cbranch_execnz .LBB98_196
; %bb.197:                              ;   in Loop: Header=BB98_2 Depth=1
	s_or_b32 exec_lo, exec_lo, s8
.LBB98_198:                             ;   in Loop: Header=BB98_2 Depth=1
	s_wait_alu 0xfffe
	s_or_b32 exec_lo, exec_lo, s7
	v_sub_nc_u32_e32 v46, v10, v45
	v_cmp_le_i32_e64 s6, 0x200, v45
	ds_load_u8 v41, v45
	ds_load_u8 v42, v46
	v_cmp_gt_i32_e64 s8, 0x400, v46
	s_wait_dscnt 0x1
	v_and_b32_e32 v43, 0xff, v41
	s_wait_dscnt 0x0
	v_and_b32_e32 v44, 0xff, v42
	s_delay_alu instid0(VALU_DEP_1)
	v_cmp_lt_u16_e64 s7, v44, v43
                                        ; implicit-def: $vgpr43
	s_or_b32 s6, s6, s7
	s_wait_alu 0xfffe
	s_and_b32 s6, s8, s6
	s_wait_alu 0xfffe
	s_xor_b32 s7, s6, -1
	s_wait_alu 0xfffe
	s_and_saveexec_b32 s8, s7
	s_wait_alu 0xfffe
	s_xor_b32 s7, exec_lo, s8
; %bb.199:                              ;   in Loop: Header=BB98_2 Depth=1
	ds_load_u8 v43, v45 offset:1
; %bb.200:                              ;   in Loop: Header=BB98_2 Depth=1
	s_wait_alu 0xfffe
	s_or_saveexec_b32 s7, s7
	v_mov_b32_e32 v44, v42
	s_wait_alu 0xfffe
	s_xor_b32 exec_lo, exec_lo, s7
	s_cbranch_execz .LBB98_202
; %bb.201:                              ;   in Loop: Header=BB98_2 Depth=1
	ds_load_u8 v44, v46 offset:1
	s_wait_dscnt 0x1
	v_mov_b32_e32 v43, v41
.LBB98_202:                             ;   in Loop: Header=BB98_2 Depth=1
	s_or_b32 exec_lo, exec_lo, s7
	v_add_nc_u32_e32 v47, 1, v45
	v_add_nc_u32_e32 v49, 1, v46
	s_wait_dscnt 0x0
	v_and_b32_e32 v50, 0xff, v43
	s_delay_alu instid0(VALU_DEP_3) | instskip(SKIP_2) | instid1(VALU_DEP_3)
	v_cndmask_b32_e64 v48, v47, v45, s6
	v_and_b32_e32 v45, 0xff, v44
	v_cndmask_b32_e64 v47, v46, v49, s6
	v_cmp_le_i32_e64 s7, 0x200, v48
	s_delay_alu instid0(VALU_DEP_3) | instskip(NEXT) | instid1(VALU_DEP_3)
	v_cmp_lt_u16_e64 s8, v45, v50
	v_cmp_gt_i32_e64 s9, 0x400, v47
                                        ; implicit-def: $vgpr45
	s_or_b32 s7, s7, s8
	s_wait_alu 0xfffe
	s_and_b32 s7, s9, s7
	s_wait_alu 0xfffe
	s_xor_b32 s8, s7, -1
	s_wait_alu 0xfffe
	s_and_saveexec_b32 s9, s8
	s_wait_alu 0xfffe
	s_xor_b32 s8, exec_lo, s9
; %bb.203:                              ;   in Loop: Header=BB98_2 Depth=1
	ds_load_u8 v45, v48 offset:1
; %bb.204:                              ;   in Loop: Header=BB98_2 Depth=1
	s_wait_alu 0xfffe
	s_or_saveexec_b32 s8, s8
	v_mov_b32_e32 v46, v44
	s_wait_alu 0xfffe
	s_xor_b32 exec_lo, exec_lo, s8
	s_cbranch_execz .LBB98_206
; %bb.205:                              ;   in Loop: Header=BB98_2 Depth=1
	ds_load_u8 v46, v47 offset:1
	s_wait_dscnt 0x1
	v_mov_b32_e32 v45, v43
.LBB98_206:                             ;   in Loop: Header=BB98_2 Depth=1
	s_or_b32 exec_lo, exec_lo, s8
	v_add_nc_u32_e32 v49, 1, v48
	v_add_nc_u32_e32 v51, 1, v47
	s_wait_dscnt 0x0
	v_and_b32_e32 v52, 0xff, v45
	s_delay_alu instid0(VALU_DEP_3) | instskip(SKIP_2) | instid1(VALU_DEP_3)
	v_cndmask_b32_e64 v50, v49, v48, s7
	v_and_b32_e32 v48, 0xff, v46
	v_cndmask_b32_e64 v49, v47, v51, s7
                                        ; implicit-def: $vgpr47
	v_cmp_le_i32_e64 s8, 0x200, v50
	s_delay_alu instid0(VALU_DEP_3) | instskip(NEXT) | instid1(VALU_DEP_3)
	v_cmp_lt_u16_e64 s9, v48, v52
	v_cmp_gt_i32_e64 s10, 0x400, v49
	s_or_b32 s8, s8, s9
	s_wait_alu 0xfffe
	s_and_b32 s8, s10, s8
	s_wait_alu 0xfffe
	s_xor_b32 s9, s8, -1
	s_wait_alu 0xfffe
	s_and_saveexec_b32 s10, s9
	s_wait_alu 0xfffe
	s_xor_b32 s9, exec_lo, s10
; %bb.207:                              ;   in Loop: Header=BB98_2 Depth=1
	ds_load_u8 v47, v50 offset:1
; %bb.208:                              ;   in Loop: Header=BB98_2 Depth=1
	s_wait_alu 0xfffe
	s_or_saveexec_b32 s9, s9
	v_mov_b32_e32 v48, v46
	s_wait_alu 0xfffe
	s_xor_b32 exec_lo, exec_lo, s9
	s_cbranch_execz .LBB98_210
; %bb.209:                              ;   in Loop: Header=BB98_2 Depth=1
	ds_load_u8 v48, v49 offset:1
	s_wait_dscnt 0x1
	v_mov_b32_e32 v47, v45
.LBB98_210:                             ;   in Loop: Header=BB98_2 Depth=1
	s_or_b32 exec_lo, exec_lo, s9
	v_add_nc_u32_e32 v51, 1, v50
	v_add_nc_u32_e32 v53, 1, v49
	s_wait_dscnt 0x0
	v_and_b32_e32 v54, 0xff, v47
	s_delay_alu instid0(VALU_DEP_3) | instskip(SKIP_2) | instid1(VALU_DEP_3)
	v_cndmask_b32_e64 v52, v51, v50, s8
	v_and_b32_e32 v50, 0xff, v48
	v_cndmask_b32_e64 v51, v49, v53, s8
                                        ; implicit-def: $vgpr49
	v_cmp_le_i32_e64 s9, 0x200, v52
	s_delay_alu instid0(VALU_DEP_3) | instskip(NEXT) | instid1(VALU_DEP_3)
	v_cmp_lt_u16_e64 s10, v50, v54
	v_cmp_gt_i32_e64 s11, 0x400, v51
	s_or_b32 s9, s9, s10
	s_wait_alu 0xfffe
	s_and_b32 s9, s11, s9
	s_wait_alu 0xfffe
	s_xor_b32 s10, s9, -1
	s_wait_alu 0xfffe
	s_and_saveexec_b32 s11, s10
	s_wait_alu 0xfffe
	s_xor_b32 s10, exec_lo, s11
; %bb.211:                              ;   in Loop: Header=BB98_2 Depth=1
	ds_load_u8 v49, v52 offset:1
; %bb.212:                              ;   in Loop: Header=BB98_2 Depth=1
	s_wait_alu 0xfffe
	s_or_saveexec_b32 s10, s10
	v_mov_b32_e32 v50, v48
	s_wait_alu 0xfffe
	s_xor_b32 exec_lo, exec_lo, s10
	s_cbranch_execz .LBB98_214
; %bb.213:                              ;   in Loop: Header=BB98_2 Depth=1
	ds_load_u8 v50, v51 offset:1
	s_wait_dscnt 0x1
	v_mov_b32_e32 v49, v47
.LBB98_214:                             ;   in Loop: Header=BB98_2 Depth=1
	s_or_b32 exec_lo, exec_lo, s10
	v_add_nc_u32_e32 v53, 1, v52
	v_add_nc_u32_e32 v55, 1, v51
	s_wait_dscnt 0x0
	v_and_b32_e32 v56, 0xff, v49
	s_delay_alu instid0(VALU_DEP_3) | instskip(SKIP_2) | instid1(VALU_DEP_3)
	v_cndmask_b32_e64 v54, v53, v52, s9
	v_and_b32_e32 v52, 0xff, v50
	v_cndmask_b32_e64 v53, v51, v55, s9
                                        ; implicit-def: $vgpr51
	v_cmp_le_i32_e64 s10, 0x200, v54
	s_delay_alu instid0(VALU_DEP_3) | instskip(NEXT) | instid1(VALU_DEP_3)
	v_cmp_lt_u16_e64 s11, v52, v56
	v_cmp_gt_i32_e64 s12, 0x400, v53
	s_or_b32 s10, s10, s11
	s_wait_alu 0xfffe
	s_and_b32 s10, s12, s10
	s_wait_alu 0xfffe
	s_xor_b32 s11, s10, -1
	s_wait_alu 0xfffe
	s_and_saveexec_b32 s12, s11
	s_wait_alu 0xfffe
	s_xor_b32 s11, exec_lo, s12
; %bb.215:                              ;   in Loop: Header=BB98_2 Depth=1
	ds_load_u8 v51, v54 offset:1
; %bb.216:                              ;   in Loop: Header=BB98_2 Depth=1
	s_wait_alu 0xfffe
	s_or_saveexec_b32 s11, s11
	v_mov_b32_e32 v52, v50
	s_wait_alu 0xfffe
	s_xor_b32 exec_lo, exec_lo, s11
	s_cbranch_execz .LBB98_218
; %bb.217:                              ;   in Loop: Header=BB98_2 Depth=1
	ds_load_u8 v52, v53 offset:1
	s_wait_dscnt 0x1
	v_mov_b32_e32 v51, v49
.LBB98_218:                             ;   in Loop: Header=BB98_2 Depth=1
	s_or_b32 exec_lo, exec_lo, s11
	v_add_nc_u32_e32 v55, 1, v54
	v_add_nc_u32_e32 v57, 1, v53
	s_wait_dscnt 0x0
	v_and_b32_e32 v58, 0xff, v51
	s_delay_alu instid0(VALU_DEP_3) | instskip(SKIP_2) | instid1(VALU_DEP_3)
	v_cndmask_b32_e64 v56, v55, v54, s10
	v_and_b32_e32 v54, 0xff, v52
	v_cndmask_b32_e64 v55, v53, v57, s10
                                        ; implicit-def: $vgpr53
	v_cmp_le_i32_e64 s11, 0x200, v56
	s_delay_alu instid0(VALU_DEP_3) | instskip(NEXT) | instid1(VALU_DEP_3)
	v_cmp_lt_u16_e64 s12, v54, v58
	v_cmp_gt_i32_e64 s13, 0x400, v55
	s_or_b32 s11, s11, s12
	s_wait_alu 0xfffe
	s_and_b32 s11, s13, s11
	s_wait_alu 0xfffe
	s_xor_b32 s12, s11, -1
	s_wait_alu 0xfffe
	s_and_saveexec_b32 s13, s12
	s_wait_alu 0xfffe
	s_xor_b32 s12, exec_lo, s13
; %bb.219:                              ;   in Loop: Header=BB98_2 Depth=1
	ds_load_u8 v53, v56 offset:1
; %bb.220:                              ;   in Loop: Header=BB98_2 Depth=1
	s_wait_alu 0xfffe
	s_or_saveexec_b32 s12, s12
	v_mov_b32_e32 v54, v52
	s_wait_alu 0xfffe
	s_xor_b32 exec_lo, exec_lo, s12
	s_cbranch_execz .LBB98_222
; %bb.221:                              ;   in Loop: Header=BB98_2 Depth=1
	ds_load_u8 v54, v55 offset:1
	s_wait_dscnt 0x1
	v_mov_b32_e32 v53, v51
.LBB98_222:                             ;   in Loop: Header=BB98_2 Depth=1
	s_or_b32 exec_lo, exec_lo, s12
	v_add_nc_u32_e32 v57, 1, v56
	v_add_nc_u32_e32 v58, 1, v55
	s_wait_dscnt 0x0
	v_and_b32_e32 v60, 0xff, v53
	s_delay_alu instid0(VALU_DEP_3) | instskip(SKIP_2) | instid1(VALU_DEP_3)
	v_cndmask_b32_e64 v59, v57, v56, s11
	v_and_b32_e32 v56, 0xff, v54
	v_cndmask_b32_e64 v55, v55, v58, s11
                                        ; implicit-def: $vgpr57
	v_cmp_le_i32_e64 s12, 0x200, v59
	s_delay_alu instid0(VALU_DEP_3) | instskip(NEXT) | instid1(VALU_DEP_3)
	v_cmp_lt_u16_e64 s13, v56, v60
	v_cmp_gt_i32_e64 s14, 0x400, v55
                                        ; implicit-def: $vgpr56
	s_or_b32 s12, s12, s13
	s_wait_alu 0xfffe
	s_and_b32 s12, s14, s12
	s_wait_alu 0xfffe
	s_xor_b32 s13, s12, -1
	s_wait_alu 0xfffe
	s_and_saveexec_b32 s14, s13
	s_delay_alu instid0(SALU_CYCLE_1)
	s_xor_b32 s13, exec_lo, s14
; %bb.223:                              ;   in Loop: Header=BB98_2 Depth=1
	ds_load_u8 v56, v59 offset:1
	v_add_nc_u32_e32 v57, 1, v59
                                        ; implicit-def: $vgpr59
; %bb.224:                              ;   in Loop: Header=BB98_2 Depth=1
	s_wait_alu 0xfffe
	s_or_saveexec_b32 s13, s13
	v_mov_b32_e32 v58, v54
	s_wait_alu 0xfffe
	s_xor_b32 exec_lo, exec_lo, s13
	s_cbranch_execz .LBB98_1
; %bb.225:                              ;   in Loop: Header=BB98_2 Depth=1
	ds_load_u8 v58, v55 offset:1
	s_wait_dscnt 0x1
	v_dual_mov_b32 v56, v53 :: v_dual_add_nc_u32 v55, 1, v55
	v_mov_b32_e32 v57, v59
	s_branch .LBB98_1
.LBB98_226:
	s_add_nc_u64 s[0:1], s[18:19], s[20:21]
	s_wait_alu 0xfffe
	v_add_co_u32 v0, s0, s0, v0
	s_wait_alu 0xf1ff
	v_add_co_ci_u32_e64 v1, null, s1, 0, s0
	s_clause 0x7
	global_store_b8 v[0:1], v42, off
	global_store_b8 v[0:1], v43, off offset:128
	global_store_b8 v[0:1], v44, off offset:256
	;; [unrolled: 1-line block ×7, first 2 shown]
	s_endpgm
	.section	.rodata,"a",@progbits
	.p2align	6, 0x0
	.amdhsa_kernel _Z16sort_keys_kernelIhLj128ELj8EN10test_utils4lessELj10EEvPKT_PS2_T2_
		.amdhsa_group_segment_fixed_size 1025
		.amdhsa_private_segment_fixed_size 0
		.amdhsa_kernarg_size 20
		.amdhsa_user_sgpr_count 2
		.amdhsa_user_sgpr_dispatch_ptr 0
		.amdhsa_user_sgpr_queue_ptr 0
		.amdhsa_user_sgpr_kernarg_segment_ptr 1
		.amdhsa_user_sgpr_dispatch_id 0
		.amdhsa_user_sgpr_private_segment_size 0
		.amdhsa_wavefront_size32 1
		.amdhsa_uses_dynamic_stack 0
		.amdhsa_enable_private_segment 0
		.amdhsa_system_sgpr_workgroup_id_x 1
		.amdhsa_system_sgpr_workgroup_id_y 0
		.amdhsa_system_sgpr_workgroup_id_z 0
		.amdhsa_system_sgpr_workgroup_info 0
		.amdhsa_system_vgpr_workitem_id 0
		.amdhsa_next_free_vgpr 62
		.amdhsa_next_free_sgpr 22
		.amdhsa_reserve_vcc 1
		.amdhsa_float_round_mode_32 0
		.amdhsa_float_round_mode_16_64 0
		.amdhsa_float_denorm_mode_32 3
		.amdhsa_float_denorm_mode_16_64 3
		.amdhsa_fp16_overflow 0
		.amdhsa_workgroup_processor_mode 1
		.amdhsa_memory_ordered 1
		.amdhsa_forward_progress 1
		.amdhsa_inst_pref_size 114
		.amdhsa_round_robin_scheduling 0
		.amdhsa_exception_fp_ieee_invalid_op 0
		.amdhsa_exception_fp_denorm_src 0
		.amdhsa_exception_fp_ieee_div_zero 0
		.amdhsa_exception_fp_ieee_overflow 0
		.amdhsa_exception_fp_ieee_underflow 0
		.amdhsa_exception_fp_ieee_inexact 0
		.amdhsa_exception_int_div_zero 0
	.end_amdhsa_kernel
	.section	.text._Z16sort_keys_kernelIhLj128ELj8EN10test_utils4lessELj10EEvPKT_PS2_T2_,"axG",@progbits,_Z16sort_keys_kernelIhLj128ELj8EN10test_utils4lessELj10EEvPKT_PS2_T2_,comdat
.Lfunc_end98:
	.size	_Z16sort_keys_kernelIhLj128ELj8EN10test_utils4lessELj10EEvPKT_PS2_T2_, .Lfunc_end98-_Z16sort_keys_kernelIhLj128ELj8EN10test_utils4lessELj10EEvPKT_PS2_T2_
                                        ; -- End function
	.set _Z16sort_keys_kernelIhLj128ELj8EN10test_utils4lessELj10EEvPKT_PS2_T2_.num_vgpr, 62
	.set _Z16sort_keys_kernelIhLj128ELj8EN10test_utils4lessELj10EEvPKT_PS2_T2_.num_agpr, 0
	.set _Z16sort_keys_kernelIhLj128ELj8EN10test_utils4lessELj10EEvPKT_PS2_T2_.numbered_sgpr, 22
	.set _Z16sort_keys_kernelIhLj128ELj8EN10test_utils4lessELj10EEvPKT_PS2_T2_.num_named_barrier, 0
	.set _Z16sort_keys_kernelIhLj128ELj8EN10test_utils4lessELj10EEvPKT_PS2_T2_.private_seg_size, 0
	.set _Z16sort_keys_kernelIhLj128ELj8EN10test_utils4lessELj10EEvPKT_PS2_T2_.uses_vcc, 1
	.set _Z16sort_keys_kernelIhLj128ELj8EN10test_utils4lessELj10EEvPKT_PS2_T2_.uses_flat_scratch, 0
	.set _Z16sort_keys_kernelIhLj128ELj8EN10test_utils4lessELj10EEvPKT_PS2_T2_.has_dyn_sized_stack, 0
	.set _Z16sort_keys_kernelIhLj128ELj8EN10test_utils4lessELj10EEvPKT_PS2_T2_.has_recursion, 0
	.set _Z16sort_keys_kernelIhLj128ELj8EN10test_utils4lessELj10EEvPKT_PS2_T2_.has_indirect_call, 0
	.section	.AMDGPU.csdata,"",@progbits
; Kernel info:
; codeLenInByte = 14572
; TotalNumSgprs: 24
; NumVgprs: 62
; ScratchSize: 0
; MemoryBound: 0
; FloatMode: 240
; IeeeMode: 1
; LDSByteSize: 1025 bytes/workgroup (compile time only)
; SGPRBlocks: 0
; VGPRBlocks: 7
; NumSGPRsForWavesPerEU: 24
; NumVGPRsForWavesPerEU: 62
; Occupancy: 16
; WaveLimiterHint : 1
; COMPUTE_PGM_RSRC2:SCRATCH_EN: 0
; COMPUTE_PGM_RSRC2:USER_SGPR: 2
; COMPUTE_PGM_RSRC2:TRAP_HANDLER: 0
; COMPUTE_PGM_RSRC2:TGID_X_EN: 1
; COMPUTE_PGM_RSRC2:TGID_Y_EN: 0
; COMPUTE_PGM_RSRC2:TGID_Z_EN: 0
; COMPUTE_PGM_RSRC2:TIDIG_COMP_CNT: 0
	.section	.text._Z17sort_pairs_kernelIhLj128ELj8EN10test_utils4lessELj10EEvPKT_PS2_T2_,"axG",@progbits,_Z17sort_pairs_kernelIhLj128ELj8EN10test_utils4lessELj10EEvPKT_PS2_T2_,comdat
	.protected	_Z17sort_pairs_kernelIhLj128ELj8EN10test_utils4lessELj10EEvPKT_PS2_T2_ ; -- Begin function _Z17sort_pairs_kernelIhLj128ELj8EN10test_utils4lessELj10EEvPKT_PS2_T2_
	.globl	_Z17sort_pairs_kernelIhLj128ELj8EN10test_utils4lessELj10EEvPKT_PS2_T2_
	.p2align	8
	.type	_Z17sort_pairs_kernelIhLj128ELj8EN10test_utils4lessELj10EEvPKT_PS2_T2_,@function
_Z17sort_pairs_kernelIhLj128ELj8EN10test_utils4lessELj10EEvPKT_PS2_T2_: ; @_Z17sort_pairs_kernelIhLj128ELj8EN10test_utils4lessELj10EEvPKT_PS2_T2_
; %bb.0:
	s_load_b128 s[44:47], s[0:1], 0x0
	s_lshl_b32 s48, ttmp9, 10
	s_mov_b32 s49, 0
	v_lshlrev_b32_e32 v5, 3, v0
	s_delay_alu instid0(VALU_DEP_1)
	v_and_b32_e32 v6, 0x3f0, v5
	v_and_b32_e32 v7, 0x3e0, v5
	;; [unrolled: 1-line block ×5, first 2 shown]
	v_or_b32_e32 v15, 8, v6
	v_add_nc_u32_e32 v16, 16, v6
	v_or_b32_e32 v17, 16, v7
	v_add_nc_u32_e32 v18, 32, v7
	v_and_b32_e32 v9, 0x380, v5
	v_or_b32_e32 v19, 32, v8
	v_sub_nc_u32_e32 v49, v16, v15
	s_wait_kmcnt 0x0
	s_add_nc_u64 s[0:1], s[44:45], s[48:49]
	v_add_nc_u32_e32 v20, 64, v8
	s_clause 0x7
	global_load_u8 v1, v0, s[0:1]
	global_load_u8 v2, v0, s[0:1] offset:256
	global_load_u8 v3, v0, s[0:1] offset:512
	;; [unrolled: 1-line block ×7, first 2 shown]
	v_sub_nc_u32_e32 v33, v15, v6
	v_sub_nc_u32_e32 v50, v18, v17
	;; [unrolled: 1-line block ×3, first 2 shown]
	v_cmp_ge_i32_e64 s0, v39, v49
	v_and_b32_e32 v41, 56, v5
	v_and_b32_e32 v10, 0x300, v5
	v_or_b32_e32 v21, 64, v9
	v_add_nc_u32_e32 v22, 0x80, v9
	v_add_nc_u32_e32 v27, v15, v39
	v_sub_nc_u32_e32 v34, v17, v7
	v_sub_nc_u32_e32 v51, v20, v19
	v_min_i32_e32 v33, v39, v33
	v_sub_nc_u32_e32 v56, v40, v50
	v_cndmask_b32_e64 v39, 0, v55, s0
	v_cmp_ge_i32_e64 s0, v40, v50
	v_and_b32_e32 v42, 0x78, v5
	v_and_b32_e32 v11, 0x200, v5
	v_or_b32_e32 v23, 0x80, v10
	v_add_nc_u32_e32 v24, 0x100, v10
	v_add_nc_u32_e32 v28, v17, v40
	v_sub_nc_u32_e32 v35, v19, v8
	v_sub_nc_u32_e32 v52, v22, v21
	v_min_i32_e32 v34, v40, v34
	v_sub_nc_u32_e32 v57, v41, v51
	s_wait_alu 0xf1ff
	v_cndmask_b32_e64 v40, 0, v56, s0
	v_cmp_ge_i32_e64 s0, v41, v51
	v_and_b32_e32 v43, 0xf8, v5
	v_or_b32_e32 v25, 0x100, v11
	v_add_nc_u32_e32 v26, 0x200, v11
	v_add_nc_u32_e32 v29, v19, v41
	v_sub_nc_u32_e32 v36, v21, v9
	v_sub_nc_u32_e32 v53, v24, v23
	v_min_i32_e32 v35, v41, v35
	v_sub_nc_u32_e32 v58, v42, v52
	s_wait_alu 0xf1ff
	v_cndmask_b32_e64 v41, 0, v57, s0
	v_cmp_ge_i32_e64 s0, v42, v52
	v_and_b32_e32 v44, 0x1f8, v5
	v_add_nc_u32_e32 v30, v21, v42
	v_sub_nc_u32_e32 v37, v23, v10
	v_sub_nc_u32_e32 v54, v26, v25
	v_min_i32_e32 v36, v42, v36
	v_sub_nc_u32_e32 v59, v43, v53
	s_wait_alu 0xf1ff
	v_cndmask_b32_e64 v42, 0, v58, s0
	v_cmp_ge_i32_e64 s0, v43, v53
	v_add_nc_u32_e32 v31, v23, v43
	v_min_i32_e32 v37, v43, v37
	v_sub_nc_u32_e32 v60, v44, v54
	v_sub_nc_u32_e32 v38, v25, v11
	s_wait_alu 0xf1ff
	v_cndmask_b32_e64 v43, 0, v59, s0
	v_cmp_ge_i32_e64 s0, v44, v54
	v_add_nc_u32_e32 v32, v25, v44
	v_subrev_nc_u32_e64 v12, 0x200, v5 clamp
	v_min_i32_e32 v38, v44, v38
	v_min_i32_e32 v13, 0x200, v5
	s_wait_alu 0xf1ff
	v_cndmask_b32_e64 v44, 0, v60, s0
	v_add_nc_u32_e32 v14, 0x200, v5
	v_cmp_lt_i32_e64 s0, v39, v33
	v_cmp_lt_i32_e64 s1, v40, v34
	v_cmp_lt_i32_e64 s2, v41, v35
	v_cmp_lt_i32_e64 s3, v42, v36
	v_cmp_lt_i32_e64 s4, v43, v37
	v_cmp_lt_i32_e64 s5, v44, v38
	s_mov_b32 s44, s49
	v_cmp_lt_i32_e32 vcc_lo, v12, v13
	s_wait_loadcnt 0x7
	v_add_nc_u16 v49, v1, 1
	s_wait_loadcnt 0x6
	v_add_nc_u16 v50, v2, 1
	;; [unrolled: 2-line block ×4, first 2 shown]
	s_wait_loadcnt 0x3
	v_perm_b32 v1, v1, v45, 0xc0c0004
	s_wait_loadcnt 0x2
	v_lshlrev_b16 v53, 8, v46
	v_lshlrev_b16 v45, 8, v45
	s_wait_loadcnt 0x1
	v_lshlrev_b16 v54, 8, v47
	s_wait_loadcnt 0x0
	v_lshlrev_b16 v55, 8, v48
	v_and_b32_e32 v49, 0xff, v49
	v_and_b32_e32 v50, 0xff, v50
	;; [unrolled: 1-line block ×4, first 2 shown]
	v_perm_b32 v2, v2, v46, 0xc0c0004
	v_or_b32_e32 v45, v45, v49
	v_or_b32_e32 v46, v53, v50
	;; [unrolled: 1-line block ×4, first 2 shown]
	v_perm_b32 v3, v3, v48, 0xc0c0004
	v_add_nc_u16 v45, 0x100, v45
	v_add_nc_u16 v46, 0x100, v46
	;; [unrolled: 1-line block ×4, first 2 shown]
	v_perm_b32 v4, v4, v47, 0xc0c0004
	v_and_b32_e32 v45, 0xffff, v45
	v_lshlrev_b32_e32 v46, 16, v46
	v_and_b32_e32 v47, 0xffff, v48
	v_lshlrev_b32_e32 v48, 16, v49
	v_lshl_or_b32 v58, v2, 16, v1
	v_lshl_or_b32 v49, v4, 16, v3
	v_or_b32_e32 v1, v45, v46
	s_delay_alu instid0(VALU_DEP_4)
	v_or_b32_e32 v2, v47, v48
	s_branch .LBB99_2
.LBB99_1:                               ;   in Loop: Header=BB99_2 Depth=1
	s_or_b32 exec_lo, exec_lo, s13
	v_cndmask_b32_e64 v57, v57, v59, s8
	v_cndmask_b32_e64 v59, v61, v62, s9
	s_wait_dscnt 0x0
	v_and_b32_e32 v61, 0xff, v79
	v_and_b32_e32 v62, 0xff, v80
	v_cndmask_b32_e64 v71, v51, v52, s6
	v_cndmask_b32_e64 v51, v65, v66, s10
	;; [unrolled: 1-line block ×4, first 2 shown]
	v_cmp_le_i32_e64 s9, 0x200, v78
	v_cmp_lt_u16_e64 s10, v62, v61
	v_cndmask_b32_e64 v49, v49, v50, s6
	v_cmp_gt_i32_e64 s6, 0x400, v75
	v_perm_b32 v46, v46, v47, 0xc0c0004
	v_perm_b32 v45, v48, v45, 0xc0c0004
	v_perm_b32 v1, v1, v2, 0xc0c0004
	v_perm_b32 v4, v3, v4, 0xc0c0004
	v_cndmask_b32_e64 v56, v53, v56, s7
	v_cndmask_b32_e64 v54, v54, v55, s7
	s_or_b32 s7, s9, s10
	v_lshl_or_b32 v2, v45, 16, v46
	s_wait_alu 0xfffe
	s_and_b32 s6, s6, s7
	v_lshl_or_b32 v1, v4, 16, v1
	s_wait_alu 0xfffe
	v_cndmask_b32_e64 v47, v78, v75, s6
	v_cndmask_b32_e64 v58, v58, v60, s8
	;; [unrolled: 1-line block ×3, first 2 shown]
	s_wait_loadcnt 0x0
	s_barrier_signal -1
	s_barrier_wait -1
	global_inv scope:SCOPE_SE
	ds_store_b64 v5, v[1:2]
	s_wait_loadcnt_dscnt 0x0
	s_barrier_signal -1
	s_barrier_wait -1
	global_inv scope:SCOPE_SE
	ds_load_u8 v46, v49
	ds_load_u8 v4, v76
	;; [unrolled: 1-line block ×8, first 2 shown]
	v_cndmask_b32_e64 v52, v69, v70, s11
	v_cndmask_b32_e64 v53, v74, v77, s12
	;; [unrolled: 1-line block ×3, first 2 shown]
	v_lshlrev_b16 v1, 8, v56
	v_and_b32_e32 v2, 0xff, v71
	v_lshlrev_b16 v49, 8, v59
	v_and_b32_e32 v58, 0xff, v57
	;; [unrolled: 2-line block ×3, first 2 shown]
	v_and_b32_e32 v62, 0xff, v53
	v_lshlrev_b16 v63, 8, v3
	v_or_b32_e32 v1, v2, v1
	v_or_b32_e32 v2, v58, v49
	;; [unrolled: 1-line block ×3, first 2 shown]
	s_wait_dscnt 0x5
	v_perm_b32 v64, v4, v45, 0xc0c0004
	v_or_b32_e32 v58, v62, v63
	v_and_b32_e32 v1, 0xffff, v1
	v_lshlrev_b32_e32 v2, 16, v2
	v_and_b32_e32 v49, 0xffff, v49
	s_wait_dscnt 0x4
	v_perm_b32 v61, v46, v50, 0xc0c0004
	v_lshlrev_b32_e32 v60, 16, v58
	s_wait_dscnt 0x2
	v_perm_b32 v62, v54, v55, 0xc0c0004
	s_wait_dscnt 0x0
	v_perm_b32 v63, v47, v48, 0xc0c0004
	v_or_b32_e32 v58, v1, v2
	s_add_co_i32 s44, s44, 1
	v_or_b32_e32 v49, v49, v60
	v_lshl_or_b32 v1, v62, 16, v61
	v_lshl_or_b32 v2, v64, 16, v63
	s_cmp_eq_u32 s44, 10
	s_cbranch_scc1 .LBB99_226
.LBB99_2:                               ; =>This Loop Header: Depth=1
                                        ;     Child Loop BB99_4 Depth 2
                                        ;     Child Loop BB99_36 Depth 2
                                        ;     Child Loop BB99_68 Depth 2
                                        ;     Child Loop BB99_100 Depth 2
                                        ;     Child Loop BB99_132 Depth 2
                                        ;     Child Loop BB99_164 Depth 2
                                        ;     Child Loop BB99_196 Depth 2
	v_lshrrev_b32_e32 v3, 8, v58
	v_and_b32_e32 v4, 0xff, v58
	v_perm_b32 v45, v58, v58, 0x7060405
	v_lshrrev_b32_e32 v46, 8, v49
	v_and_b32_e32 v50, 0xff, v49
	v_and_b32_e32 v3, 0xff, v3
	v_perm_b32 v48, v49, v49, 0x7060405
	s_delay_alu instid0(VALU_DEP_4) | instskip(SKIP_1) | instid1(VALU_DEP_3)
	v_and_b32_e32 v46, 0xff, v46
	s_barrier_signal -1
	v_cmp_lt_u16_e64 s6, v3, v4
	s_barrier_wait -1
	global_inv scope:SCOPE_SE
	v_cmp_lt_u16_e64 s8, v46, v50
	s_wait_alu 0xf1ff
	v_cndmask_b32_e64 v3, v58, v45, s6
	s_delay_alu instid0(VALU_DEP_1) | instskip(SKIP_1) | instid1(VALU_DEP_2)
	v_lshrrev_b32_e32 v4, 16, v3
	v_lshrrev_b32_e32 v47, 24, v3
	v_perm_b32 v45, 0, v4, 0xc0c0001
	v_and_b32_e32 v4, 0xff, v4
	s_delay_alu instid0(VALU_DEP_2) | instskip(NEXT) | instid1(VALU_DEP_2)
	v_lshlrev_b32_e32 v45, 16, v45
	v_cmp_lt_u16_e64 s7, v47, v4
	v_cndmask_b32_e64 v4, v49, v48, s8
	s_delay_alu instid0(VALU_DEP_3) | instskip(NEXT) | instid1(VALU_DEP_2)
	v_and_or_b32 v45, 0xffff, v3, v45
	v_lshrrev_b32_e32 v47, 16, v4
	v_lshrrev_b32_e32 v49, 24, v4
	v_perm_b32 v50, v4, v4, 0x6070504
	s_wait_alu 0xf1ff
	v_cndmask_b32_e64 v3, v3, v45, s7
	v_and_b32_e32 v47, 0xff, v47
	s_delay_alu instid0(VALU_DEP_2) | instskip(SKIP_2) | instid1(VALU_DEP_4)
	v_lshrrev_b32_e32 v45, 16, v3
	v_lshrrev_b32_e32 v46, 8, v3
	v_perm_b32 v48, v3, v3, 0x7050604
	v_cmp_lt_u16_e64 s11, v49, v47
	s_delay_alu instid0(VALU_DEP_4) | instskip(NEXT) | instid1(VALU_DEP_4)
	v_and_b32_e32 v45, 0xff, v45
	v_and_b32_e32 v46, 0xff, v46
	s_wait_alu 0xf1ff
	s_delay_alu instid0(VALU_DEP_3) | instskip(NEXT) | instid1(VALU_DEP_2)
	v_cndmask_b32_e64 v4, v4, v50, s11
	v_cmp_lt_u16_e64 s10, v45, v46
	s_delay_alu instid0(VALU_DEP_2) | instskip(SKIP_1) | instid1(VALU_DEP_2)
	v_lshlrev_b16 v46, 8, v4
	s_wait_alu 0xf1ff
	v_cndmask_b32_e64 v3, v3, v48, s10
	s_delay_alu instid0(VALU_DEP_1) | instskip(SKIP_1) | instid1(VALU_DEP_2)
	v_lshrrev_b32_e32 v45, 16, v3
	v_lshrrev_b32_e32 v47, 24, v3
	v_and_b32_e32 v45, 0xff, v45
	s_delay_alu instid0(VALU_DEP_1) | instskip(SKIP_1) | instid1(VALU_DEP_2)
	v_or_b32_e32 v45, v45, v46
	v_and_b32_e32 v46, 0xff, v4
	v_lshlrev_b32_e32 v45, 16, v45
	s_delay_alu instid0(VALU_DEP_2) | instskip(NEXT) | instid1(VALU_DEP_2)
	v_cmp_lt_u16_e64 s9, v46, v47
	v_and_or_b32 v45, 0xffff, v3, v45
	s_wait_alu 0xf1ff
	s_delay_alu instid0(VALU_DEP_1) | instskip(SKIP_1) | instid1(VALU_DEP_2)
	v_cndmask_b32_e64 v45, v3, v45, s9
	v_perm_b32 v3, v3, v4, 0x3020107
	v_lshrrev_b32_e32 v46, 8, v45
	v_perm_b32 v47, 0, v45, 0xc0c0001
	v_and_b32_e32 v48, 0xff, v45
	s_delay_alu instid0(VALU_DEP_4) | instskip(NEXT) | instid1(VALU_DEP_4)
	v_cndmask_b32_e64 v3, v4, v3, s9
	v_and_b32_e32 v46, 0xff, v46
	s_delay_alu instid0(VALU_DEP_4) | instskip(NEXT) | instid1(VALU_DEP_2)
	v_and_or_b32 v47, 0xffff0000, v45, v47
	v_cmp_lt_u16_e64 s12, v46, v48
	s_delay_alu instid0(VALU_DEP_4) | instskip(SKIP_2) | instid1(VALU_DEP_3)
	v_lshrrev_b32_e32 v46, 8, v3
	v_perm_b32 v48, v3, v3, 0x7050604
	s_wait_alu 0xf1ff
	v_cndmask_b32_e64 v4, v45, v47, s12
	v_lshrrev_b32_e32 v45, 16, v3
	v_and_b32_e32 v46, 0xff, v46
	s_delay_alu instid0(VALU_DEP_3) | instskip(NEXT) | instid1(VALU_DEP_3)
	v_lshrrev_b32_e32 v47, 16, v4
	v_and_b32_e32 v45, 0xff, v45
	s_delay_alu instid0(VALU_DEP_2) | instskip(NEXT) | instid1(VALU_DEP_2)
	v_perm_b32 v49, 0, v47, 0xc0c0001
	v_cmp_lt_u16_e64 s13, v45, v46
	v_lshrrev_b32_e32 v46, 24, v4
	v_and_b32_e32 v47, 0xff, v47
	s_delay_alu instid0(VALU_DEP_4) | instskip(SKIP_2) | instid1(VALU_DEP_3)
	v_lshlrev_b32_e32 v45, 16, v49
	s_wait_alu 0xf1ff
	v_cndmask_b32_e64 v3, v3, v48, s13
	v_cmp_lt_u16_e64 s14, v46, v47
	s_delay_alu instid0(VALU_DEP_3) | instskip(NEXT) | instid1(VALU_DEP_3)
	v_and_or_b32 v45, 0xffff, v4, v45
	v_lshrrev_b32_e32 v48, 8, v3
	v_and_b32_e32 v50, 0xff, v3
	v_perm_b32 v49, v3, v3, 0x7060405
	s_wait_alu 0xf1ff
	v_cndmask_b32_e64 v4, v4, v45, s14
	v_and_b32_e32 v48, 0xff, v48
	s_delay_alu instid0(VALU_DEP_2) | instskip(NEXT) | instid1(VALU_DEP_2)
	v_lshrrev_b32_e32 v45, 16, v4
	v_cmp_lt_u16_e64 s15, v48, v50
	v_lshrrev_b32_e32 v46, 8, v4
	v_perm_b32 v48, v4, v4, 0x7050604
	s_delay_alu instid0(VALU_DEP_4) | instskip(SKIP_3) | instid1(VALU_DEP_2)
	v_and_b32_e32 v45, 0xff, v45
	s_wait_alu 0xf1ff
	v_cndmask_b32_e64 v3, v3, v49, s15
	v_and_b32_e32 v46, 0xff, v46
	v_lshrrev_b32_e32 v47, 16, v3
	v_lshrrev_b32_e32 v49, 24, v3
	s_delay_alu instid0(VALU_DEP_3) | instskip(SKIP_1) | instid1(VALU_DEP_4)
	v_cmp_lt_u16_e64 s17, v45, v46
	v_perm_b32 v50, v3, v3, 0x6070504
	v_and_b32_e32 v47, 0xff, v47
	s_wait_alu 0xf1ff
	s_delay_alu instid0(VALU_DEP_3) | instskip(NEXT) | instid1(VALU_DEP_2)
	v_cndmask_b32_e64 v4, v4, v48, s17
	v_cmp_lt_u16_e64 s18, v49, v47
	s_delay_alu instid0(VALU_DEP_2) | instskip(SKIP_2) | instid1(VALU_DEP_3)
	v_lshrrev_b32_e32 v45, 16, v4
	v_lshrrev_b32_e32 v47, 24, v4
	s_wait_alu 0xf1ff
	v_cndmask_b32_e64 v3, v3, v50, s18
	s_delay_alu instid0(VALU_DEP_3) | instskip(NEXT) | instid1(VALU_DEP_2)
	v_and_b32_e32 v45, 0xff, v45
	v_lshlrev_b16 v46, 8, v3
	s_delay_alu instid0(VALU_DEP_1) | instskip(SKIP_1) | instid1(VALU_DEP_2)
	v_or_b32_e32 v45, v45, v46
	v_and_b32_e32 v46, 0xff, v3
	v_lshlrev_b32_e32 v45, 16, v45
	s_delay_alu instid0(VALU_DEP_2) | instskip(NEXT) | instid1(VALU_DEP_2)
	v_cmp_lt_u16_e64 s16, v46, v47
	v_and_or_b32 v45, 0xffff, v4, v45
	s_wait_alu 0xf1ff
	s_delay_alu instid0(VALU_DEP_1) | instskip(SKIP_1) | instid1(VALU_DEP_2)
	v_cndmask_b32_e64 v45, v4, v45, s16
	v_perm_b32 v4, v4, v3, 0x3020107
	v_lshrrev_b32_e32 v46, 8, v45
	v_perm_b32 v47, 0, v45, 0xc0c0001
	v_and_b32_e32 v48, 0xff, v45
	s_delay_alu instid0(VALU_DEP_4) | instskip(NEXT) | instid1(VALU_DEP_4)
	v_cndmask_b32_e64 v3, v3, v4, s16
	v_and_b32_e32 v46, 0xff, v46
	s_delay_alu instid0(VALU_DEP_4) | instskip(NEXT) | instid1(VALU_DEP_2)
	v_and_or_b32 v47, 0xffff0000, v45, v47
	v_cmp_lt_u16_e64 s19, v46, v48
	s_delay_alu instid0(VALU_DEP_4) | instskip(SKIP_2) | instid1(VALU_DEP_3)
	v_lshrrev_b32_e32 v46, 8, v3
	v_perm_b32 v48, v3, v3, 0x7050604
	s_wait_alu 0xf1ff
	v_cndmask_b32_e64 v4, v45, v47, s19
	v_lshrrev_b32_e32 v45, 16, v3
	v_and_b32_e32 v46, 0xff, v46
	s_delay_alu instid0(VALU_DEP_3) | instskip(NEXT) | instid1(VALU_DEP_3)
	v_lshrrev_b32_e32 v47, 16, v4
	v_and_b32_e32 v45, 0xff, v45
	s_delay_alu instid0(VALU_DEP_2) | instskip(NEXT) | instid1(VALU_DEP_2)
	v_perm_b32 v49, 0, v47, 0xc0c0001
	v_cmp_lt_u16_e64 s21, v45, v46
	v_lshrrev_b32_e32 v46, 24, v4
	v_and_b32_e32 v47, 0xff, v47
	s_delay_alu instid0(VALU_DEP_4) | instskip(SKIP_2) | instid1(VALU_DEP_3)
	v_lshlrev_b32_e32 v45, 16, v49
	s_wait_alu 0xf1ff
	v_cndmask_b32_e64 v3, v3, v48, s21
	v_cmp_lt_u16_e64 s22, v46, v47
	s_delay_alu instid0(VALU_DEP_3) | instskip(NEXT) | instid1(VALU_DEP_3)
	v_and_or_b32 v45, 0xffff, v4, v45
	v_lshrrev_b32_e32 v48, 8, v3
	v_and_b32_e32 v50, 0xff, v3
	v_perm_b32 v49, v3, v3, 0x7060405
	s_wait_alu 0xf1ff
	v_cndmask_b32_e64 v4, v4, v45, s22
	v_and_b32_e32 v48, 0xff, v48
	s_delay_alu instid0(VALU_DEP_2) | instskip(NEXT) | instid1(VALU_DEP_2)
	v_lshrrev_b32_e32 v45, 16, v4
	v_cmp_lt_u16_e64 s24, v48, v50
	v_lshrrev_b32_e32 v46, 8, v4
	v_perm_b32 v48, v4, v4, 0x7050604
	s_delay_alu instid0(VALU_DEP_4) | instskip(SKIP_3) | instid1(VALU_DEP_2)
	v_and_b32_e32 v45, 0xff, v45
	s_wait_alu 0xf1ff
	v_cndmask_b32_e64 v3, v3, v49, s24
	v_and_b32_e32 v46, 0xff, v46
	v_lshrrev_b32_e32 v47, 16, v3
	v_lshrrev_b32_e32 v49, 24, v3
	s_delay_alu instid0(VALU_DEP_3) | instskip(SKIP_1) | instid1(VALU_DEP_4)
	v_cmp_lt_u16_e64 s27, v45, v46
	v_perm_b32 v50, v3, v3, 0x6070504
	v_and_b32_e32 v47, 0xff, v47
	s_wait_alu 0xf1ff
	s_delay_alu instid0(VALU_DEP_3) | instskip(NEXT) | instid1(VALU_DEP_2)
	v_cndmask_b32_e64 v4, v4, v48, s27
	v_cmp_lt_u16_e64 s28, v49, v47
	s_delay_alu instid0(VALU_DEP_2) | instskip(SKIP_2) | instid1(VALU_DEP_3)
	v_lshrrev_b32_e32 v45, 16, v4
	v_lshrrev_b32_e32 v47, 24, v4
	s_wait_alu 0xf1ff
	v_cndmask_b32_e64 v3, v3, v50, s28
	s_delay_alu instid0(VALU_DEP_3) | instskip(NEXT) | instid1(VALU_DEP_2)
	v_and_b32_e32 v45, 0xff, v45
	v_lshlrev_b16 v46, 8, v3
	s_delay_alu instid0(VALU_DEP_1) | instskip(SKIP_1) | instid1(VALU_DEP_2)
	v_or_b32_e32 v45, v45, v46
	v_and_b32_e32 v46, 0xff, v3
	v_lshlrev_b32_e32 v45, 16, v45
	s_delay_alu instid0(VALU_DEP_2) | instskip(NEXT) | instid1(VALU_DEP_2)
	v_cmp_lt_u16_e64 s25, v46, v47
	v_and_or_b32 v45, 0xffff, v4, v45
	s_wait_alu 0xf1ff
	s_delay_alu instid0(VALU_DEP_1) | instskip(SKIP_1) | instid1(VALU_DEP_2)
	v_cndmask_b32_e64 v45, v4, v45, s25
	v_perm_b32 v4, v4, v3, 0x3020107
	v_lshrrev_b32_e32 v46, 8, v45
	v_perm_b32 v47, 0, v45, 0xc0c0001
	v_and_b32_e32 v48, 0xff, v45
	s_delay_alu instid0(VALU_DEP_4) | instskip(NEXT) | instid1(VALU_DEP_4)
	v_cndmask_b32_e64 v3, v3, v4, s25
	v_and_b32_e32 v46, 0xff, v46
	s_delay_alu instid0(VALU_DEP_4) | instskip(NEXT) | instid1(VALU_DEP_2)
	v_and_or_b32 v47, 0xffff0000, v45, v47
	v_cmp_lt_u16_e64 s33, v46, v48
	s_delay_alu instid0(VALU_DEP_4) | instskip(SKIP_2) | instid1(VALU_DEP_3)
	v_lshrrev_b32_e32 v46, 8, v3
	v_perm_b32 v48, v3, v3, 0x7050604
	s_wait_alu 0xf1ff
	v_cndmask_b32_e64 v4, v45, v47, s33
	v_lshrrev_b32_e32 v45, 16, v3
	v_and_b32_e32 v46, 0xff, v46
	s_delay_alu instid0(VALU_DEP_3) | instskip(NEXT) | instid1(VALU_DEP_3)
	v_lshrrev_b32_e32 v47, 16, v4
	v_and_b32_e32 v45, 0xff, v45
	s_delay_alu instid0(VALU_DEP_2) | instskip(NEXT) | instid1(VALU_DEP_2)
	v_perm_b32 v49, 0, v47, 0xc0c0001
	v_cmp_lt_u16_e64 s31, v45, v46
	v_lshrrev_b32_e32 v46, 24, v4
	v_and_b32_e32 v47, 0xff, v47
	s_delay_alu instid0(VALU_DEP_4) | instskip(SKIP_2) | instid1(VALU_DEP_3)
	v_lshlrev_b32_e32 v45, 16, v49
	s_wait_alu 0xf1ff
	v_cndmask_b32_e64 v3, v3, v48, s31
	v_cmp_lt_u16_e64 s34, v46, v47
	s_delay_alu instid0(VALU_DEP_3) | instskip(NEXT) | instid1(VALU_DEP_3)
	v_and_or_b32 v45, 0xffff, v4, v45
	v_lshrrev_b32_e32 v48, 8, v3
	v_and_b32_e32 v50, 0xff, v3
	v_perm_b32 v49, v3, v3, 0x7060405
	s_wait_alu 0xf1ff
	v_cndmask_b32_e64 v4, v4, v45, s34
	v_and_b32_e32 v48, 0xff, v48
	s_delay_alu instid0(VALU_DEP_2) | instskip(NEXT) | instid1(VALU_DEP_2)
	v_lshrrev_b32_e32 v45, 16, v4
	v_cmp_lt_u16_e64 s26, v48, v50
	v_lshrrev_b32_e32 v46, 8, v4
	v_perm_b32 v48, v4, v4, 0x7050604
	s_delay_alu instid0(VALU_DEP_4) | instskip(SKIP_3) | instid1(VALU_DEP_2)
	v_and_b32_e32 v45, 0xff, v45
	s_wait_alu 0xf1ff
	v_cndmask_b32_e64 v3, v3, v49, s26
	v_and_b32_e32 v46, 0xff, v46
	v_lshrrev_b32_e32 v47, 16, v3
	v_lshrrev_b32_e32 v49, 24, v3
	s_delay_alu instid0(VALU_DEP_3) | instskip(SKIP_1) | instid1(VALU_DEP_4)
	v_cmp_lt_u16_e64 s30, v45, v46
	v_perm_b32 v50, v3, v3, 0x6070504
	v_and_b32_e32 v47, 0xff, v47
	s_wait_alu 0xf1ff
	s_delay_alu instid0(VALU_DEP_3) | instskip(NEXT) | instid1(VALU_DEP_2)
	v_cndmask_b32_e64 v4, v4, v48, s30
	v_cmp_lt_u16_e64 s29, v49, v47
	s_delay_alu instid0(VALU_DEP_2) | instskip(SKIP_1) | instid1(VALU_DEP_2)
	v_lshrrev_b32_e32 v47, 24, v4
	s_wait_alu 0xf1ff
	v_cndmask_b32_e64 v45, v3, v50, s29
	v_lshrrev_b32_e32 v3, 16, v4
	s_delay_alu instid0(VALU_DEP_2) | instskip(NEXT) | instid1(VALU_DEP_2)
	v_lshlrev_b16 v46, 8, v45
	v_and_b32_e32 v3, 0xff, v3
	v_perm_b32 v48, v4, v45, 0x3020107
	s_delay_alu instid0(VALU_DEP_2) | instskip(SKIP_1) | instid1(VALU_DEP_2)
	v_or_b32_e32 v3, v3, v46
	v_and_b32_e32 v46, 0xff, v45
	v_lshlrev_b32_e32 v3, 16, v3
	s_delay_alu instid0(VALU_DEP_2) | instskip(NEXT) | instid1(VALU_DEP_2)
	v_cmp_lt_u16_e64 s20, v46, v47
	v_and_or_b32 v3, 0xffff, v4, v3
	s_wait_alu 0xf1ff
	s_delay_alu instid0(VALU_DEP_1) | instskip(SKIP_1) | instid1(VALU_DEP_1)
	v_cndmask_b32_e64 v3, v4, v3, s20
	v_cndmask_b32_e64 v4, v45, v48, s20
	v_lshrrev_b32_e32 v45, 16, v4
	v_lshrrev_b32_e32 v46, 8, v4
	v_perm_b32 v47, v4, v4, 0x7050604
	s_delay_alu instid0(VALU_DEP_3) | instskip(NEXT) | instid1(VALU_DEP_3)
	v_and_b32_e32 v45, 0xff, v45
	v_and_b32_e32 v46, 0xff, v46
	s_delay_alu instid0(VALU_DEP_1) | instskip(SKIP_2) | instid1(VALU_DEP_2)
	v_cmp_lt_u16_e64 s23, v45, v46
	v_mov_b32_e32 v45, v39
	s_wait_alu 0xf1ff
	v_cndmask_b32_e64 v4, v4, v47, s23
	ds_store_b64 v5, v[3:4]
	s_wait_loadcnt_dscnt 0x0
	s_barrier_signal -1
	s_barrier_wait -1
	global_inv scope:SCOPE_SE
	s_and_saveexec_b32 s36, s0
	s_cbranch_execz .LBB99_6
; %bb.3:                                ;   in Loop: Header=BB99_2 Depth=1
	v_mov_b32_e32 v45, v39
	v_mov_b32_e32 v3, v33
	s_mov_b32 s37, 0
.LBB99_4:                               ;   Parent Loop BB99_2 Depth=1
                                        ; =>  This Inner Loop Header: Depth=2
	s_delay_alu instid0(VALU_DEP_1) | instskip(NEXT) | instid1(VALU_DEP_1)
	v_sub_nc_u32_e32 v4, v3, v45
	v_lshrrev_b32_e32 v4, 1, v4
	s_delay_alu instid0(VALU_DEP_1) | instskip(NEXT) | instid1(VALU_DEP_1)
	v_add_nc_u32_e32 v4, v4, v45
	v_add_nc_u32_e32 v46, v6, v4
	v_xad_u32 v47, v4, -1, v27
	v_add_nc_u32_e32 v48, 1, v4
	ds_load_u8 v46, v46
	ds_load_u8 v47, v47
	s_wait_dscnt 0x0
	v_cmp_lt_u16_e64 s35, v47, v46
	s_wait_alu 0xf1ff
	s_delay_alu instid0(VALU_DEP_1) | instskip(SKIP_1) | instid1(VALU_DEP_1)
	v_cndmask_b32_e64 v3, v3, v4, s35
	v_cndmask_b32_e64 v45, v48, v45, s35
	v_cmp_ge_i32_e64 s35, v45, v3
	s_wait_alu 0xfffe
	s_or_b32 s37, s35, s37
	s_wait_alu 0xfffe
	s_and_not1_b32 exec_lo, exec_lo, s37
	s_cbranch_execnz .LBB99_4
; %bb.5:                                ;   in Loop: Header=BB99_2 Depth=1
	s_or_b32 exec_lo, exec_lo, s37
.LBB99_6:                               ;   in Loop: Header=BB99_2 Depth=1
	s_wait_alu 0xfffe
	s_or_b32 exec_lo, exec_lo, s36
	v_lshrrev_b64 v[3:4], 24, v[1:2]
	v_add_nc_u32_e32 v4, v45, v6
	v_sub_nc_u32_e32 v45, v27, v45
	v_lshrrev_b32_e32 v56, 8, v2
	v_lshrrev_b32_e32 v57, 16, v2
	;; [unrolled: 1-line block ×3, first 2 shown]
	ds_load_u8 v46, v4
	ds_load_u8 v47, v45
	v_cmp_le_i32_e64 s35, v15, v4
	v_cmp_gt_i32_e64 s37, v16, v45
	v_lshrrev_b32_e32 v59, 16, v1
	v_lshrrev_b32_e32 v61, 8, v1
	s_wait_dscnt 0x1
	v_and_b32_e32 v48, 0xff, v46
	s_wait_dscnt 0x0
	v_and_b32_e32 v49, 0xff, v47
	s_delay_alu instid0(VALU_DEP_1)
	v_cmp_lt_u16_e64 s36, v49, v48
                                        ; implicit-def: $vgpr48
	s_or_b32 s35, s35, s36
	s_wait_alu 0xfffe
	s_and_b32 s35, s37, s35
	s_wait_alu 0xfffe
	s_xor_b32 s36, s35, -1
	s_wait_alu 0xfffe
	s_and_saveexec_b32 s37, s36
	s_wait_alu 0xfffe
	s_xor_b32 s36, exec_lo, s37
; %bb.7:                                ;   in Loop: Header=BB99_2 Depth=1
	ds_load_u8 v48, v4 offset:1
; %bb.8:                                ;   in Loop: Header=BB99_2 Depth=1
	s_wait_alu 0xfffe
	s_or_saveexec_b32 s36, s36
	v_mov_b32_e32 v49, v47
	s_wait_alu 0xfffe
	s_xor_b32 exec_lo, exec_lo, s36
	s_cbranch_execz .LBB99_10
; %bb.9:                                ;   in Loop: Header=BB99_2 Depth=1
	ds_load_u8 v49, v45 offset:1
	s_wait_dscnt 0x1
	v_mov_b32_e32 v48, v46
.LBB99_10:                              ;   in Loop: Header=BB99_2 Depth=1
	s_or_b32 exec_lo, exec_lo, s36
	v_add_nc_u32_e32 v50, 1, v4
	v_add_nc_u32_e32 v51, 1, v45
	s_wait_dscnt 0x0
	v_and_b32_e32 v52, 0xff, v48
	v_and_b32_e32 v53, 0xff, v49
	v_cndmask_b32_e64 v50, v50, v4, s35
	v_cndmask_b32_e64 v51, v45, v51, s35
	s_delay_alu instid0(VALU_DEP_3) | instskip(NEXT) | instid1(VALU_DEP_3)
	v_cmp_lt_u16_e64 s37, v53, v52
                                        ; implicit-def: $vgpr52
	v_cmp_ge_i32_e64 s36, v50, v15
	s_delay_alu instid0(VALU_DEP_3)
	v_cmp_lt_i32_e64 s38, v51, v16
	s_or_b32 s36, s36, s37
	s_wait_alu 0xfffe
	s_and_b32 s36, s38, s36
	s_wait_alu 0xfffe
	s_xor_b32 s37, s36, -1
	s_wait_alu 0xfffe
	s_and_saveexec_b32 s38, s37
	s_wait_alu 0xfffe
	s_xor_b32 s37, exec_lo, s38
; %bb.11:                               ;   in Loop: Header=BB99_2 Depth=1
	ds_load_u8 v52, v50 offset:1
; %bb.12:                               ;   in Loop: Header=BB99_2 Depth=1
	s_wait_alu 0xfffe
	s_or_saveexec_b32 s37, s37
	v_mov_b32_e32 v53, v49
	s_wait_alu 0xfffe
	s_xor_b32 exec_lo, exec_lo, s37
	s_cbranch_execz .LBB99_14
; %bb.13:                               ;   in Loop: Header=BB99_2 Depth=1
	ds_load_u8 v53, v51 offset:1
	s_wait_dscnt 0x1
	v_mov_b32_e32 v52, v48
.LBB99_14:                              ;   in Loop: Header=BB99_2 Depth=1
	s_or_b32 exec_lo, exec_lo, s37
	v_add_nc_u32_e32 v54, 1, v50
	v_add_nc_u32_e32 v55, 1, v51
	s_wait_dscnt 0x0
	v_and_b32_e32 v60, 0xff, v52
	v_and_b32_e32 v62, 0xff, v53
	v_cndmask_b32_e64 v54, v54, v50, s36
	v_cndmask_b32_e64 v55, v51, v55, s36
	s_delay_alu instid0(VALU_DEP_3) | instskip(NEXT) | instid1(VALU_DEP_3)
	v_cmp_lt_u16_e64 s38, v62, v60
                                        ; implicit-def: $vgpr60
	v_cmp_ge_i32_e64 s37, v54, v15
	s_delay_alu instid0(VALU_DEP_3)
	v_cmp_lt_i32_e64 s39, v55, v16
	s_or_b32 s37, s37, s38
	s_wait_alu 0xfffe
	s_and_b32 s37, s39, s37
	s_wait_alu 0xfffe
	s_xor_b32 s38, s37, -1
	s_wait_alu 0xfffe
	s_and_saveexec_b32 s39, s38
	s_wait_alu 0xfffe
	s_xor_b32 s38, exec_lo, s39
; %bb.15:                               ;   in Loop: Header=BB99_2 Depth=1
	ds_load_u8 v60, v54 offset:1
; %bb.16:                               ;   in Loop: Header=BB99_2 Depth=1
	s_wait_alu 0xfffe
	s_or_saveexec_b32 s38, s38
	v_mov_b32_e32 v62, v53
	s_wait_alu 0xfffe
	s_xor_b32 exec_lo, exec_lo, s38
	s_cbranch_execz .LBB99_18
; %bb.17:                               ;   in Loop: Header=BB99_2 Depth=1
	ds_load_u8 v62, v55 offset:1
	s_wait_dscnt 0x1
	v_mov_b32_e32 v60, v52
.LBB99_18:                              ;   in Loop: Header=BB99_2 Depth=1
	s_or_b32 exec_lo, exec_lo, s38
	v_add_nc_u32_e32 v63, 1, v54
	v_add_nc_u32_e32 v64, 1, v55
	s_wait_dscnt 0x0
	v_and_b32_e32 v65, 0xff, v60
	v_and_b32_e32 v66, 0xff, v62
	v_cndmask_b32_e64 v63, v63, v54, s37
	v_cndmask_b32_e64 v64, v55, v64, s37
	s_delay_alu instid0(VALU_DEP_3) | instskip(NEXT) | instid1(VALU_DEP_3)
	v_cmp_lt_u16_e64 s39, v66, v65
                                        ; implicit-def: $vgpr65
	v_cmp_ge_i32_e64 s38, v63, v15
	s_delay_alu instid0(VALU_DEP_3)
	v_cmp_lt_i32_e64 s40, v64, v16
	s_or_b32 s38, s38, s39
	s_wait_alu 0xfffe
	s_and_b32 s38, s40, s38
	s_wait_alu 0xfffe
	s_xor_b32 s39, s38, -1
	s_wait_alu 0xfffe
	s_and_saveexec_b32 s40, s39
	s_wait_alu 0xfffe
	s_xor_b32 s39, exec_lo, s40
; %bb.19:                               ;   in Loop: Header=BB99_2 Depth=1
	ds_load_u8 v65, v63 offset:1
; %bb.20:                               ;   in Loop: Header=BB99_2 Depth=1
	s_wait_alu 0xfffe
	s_or_saveexec_b32 s39, s39
	v_mov_b32_e32 v66, v62
	s_wait_alu 0xfffe
	s_xor_b32 exec_lo, exec_lo, s39
	s_cbranch_execz .LBB99_22
; %bb.21:                               ;   in Loop: Header=BB99_2 Depth=1
	ds_load_u8 v66, v64 offset:1
	s_wait_dscnt 0x1
	v_mov_b32_e32 v65, v60
.LBB99_22:                              ;   in Loop: Header=BB99_2 Depth=1
	s_or_b32 exec_lo, exec_lo, s39
	v_add_nc_u32_e32 v67, 1, v63
	v_add_nc_u32_e32 v68, 1, v64
	s_wait_dscnt 0x0
	v_and_b32_e32 v69, 0xff, v65
	v_and_b32_e32 v70, 0xff, v66
	v_cndmask_b32_e64 v67, v67, v63, s38
	v_cndmask_b32_e64 v68, v64, v68, s38
	s_delay_alu instid0(VALU_DEP_3) | instskip(NEXT) | instid1(VALU_DEP_3)
	v_cmp_lt_u16_e64 s40, v70, v69
                                        ; implicit-def: $vgpr70
	v_cmp_ge_i32_e64 s39, v67, v15
	s_delay_alu instid0(VALU_DEP_3)
	v_cmp_lt_i32_e64 s41, v68, v16
	s_or_b32 s39, s39, s40
	s_wait_alu 0xfffe
	s_and_b32 s39, s41, s39
	s_wait_alu 0xfffe
	s_xor_b32 s40, s39, -1
	s_wait_alu 0xfffe
	s_and_saveexec_b32 s41, s40
	s_wait_alu 0xfffe
	s_xor_b32 s40, exec_lo, s41
; %bb.23:                               ;   in Loop: Header=BB99_2 Depth=1
	ds_load_u8 v70, v67 offset:1
; %bb.24:                               ;   in Loop: Header=BB99_2 Depth=1
	s_wait_alu 0xfffe
	s_or_saveexec_b32 s40, s40
	v_mov_b32_e32 v72, v66
	s_wait_alu 0xfffe
	s_xor_b32 exec_lo, exec_lo, s40
	s_cbranch_execz .LBB99_26
; %bb.25:                               ;   in Loop: Header=BB99_2 Depth=1
	ds_load_u8 v72, v68 offset:1
	s_wait_dscnt 0x1
	v_mov_b32_e32 v70, v65
.LBB99_26:                              ;   in Loop: Header=BB99_2 Depth=1
	s_or_b32 exec_lo, exec_lo, s40
	v_add_nc_u32_e32 v69, 1, v67
	v_add_nc_u32_e32 v71, 1, v68
	s_wait_dscnt 0x0
	v_and_b32_e32 v73, 0xff, v70
                                        ; implicit-def: $vgpr77
	s_delay_alu instid0(VALU_DEP_3) | instskip(SKIP_2) | instid1(VALU_DEP_3)
	v_cndmask_b32_e64 v75, v69, v67, s39
	v_and_b32_e32 v69, 0xff, v72
	v_cndmask_b32_e64 v76, v68, v71, s39
	v_cmp_ge_i32_e64 s40, v75, v15
	s_delay_alu instid0(VALU_DEP_3) | instskip(NEXT) | instid1(VALU_DEP_3)
	v_cmp_lt_u16_e64 s41, v69, v73
	v_cmp_lt_i32_e64 s42, v76, v16
	s_or_b32 s40, s40, s41
	s_wait_alu 0xfffe
	s_and_b32 s41, s42, s40
	s_wait_alu 0xfffe
	s_xor_b32 s40, s41, -1
	s_wait_alu 0xfffe
	s_and_saveexec_b32 s42, s40
	s_delay_alu instid0(SALU_CYCLE_1)
	s_xor_b32 s40, exec_lo, s42
; %bb.27:                               ;   in Loop: Header=BB99_2 Depth=1
	ds_load_u8 v77, v75 offset:1
; %bb.28:                               ;   in Loop: Header=BB99_2 Depth=1
	s_wait_alu 0xfffe
	s_or_saveexec_b32 s40, s40
	v_mov_b32_e32 v78, v72
	s_wait_alu 0xfffe
	s_xor_b32 exec_lo, exec_lo, s40
	s_cbranch_execz .LBB99_30
; %bb.29:                               ;   in Loop: Header=BB99_2 Depth=1
	ds_load_u8 v78, v76 offset:1
	s_wait_dscnt 0x1
	v_mov_b32_e32 v77, v70
.LBB99_30:                              ;   in Loop: Header=BB99_2 Depth=1
	s_or_b32 exec_lo, exec_lo, s40
	v_add_nc_u32_e32 v69, 1, v75
	v_add_nc_u32_e32 v71, 1, v76
	s_wait_dscnt 0x0
	v_and_b32_e32 v79, 0xff, v77
	s_delay_alu instid0(VALU_DEP_3) | instskip(SKIP_2) | instid1(VALU_DEP_3)
	v_cndmask_b32_e64 v73, v69, v75, s41
	v_and_b32_e32 v69, 0xff, v78
	v_cndmask_b32_e64 v74, v76, v71, s41
	v_cmp_ge_i32_e64 s40, v73, v15
	s_delay_alu instid0(VALU_DEP_3) | instskip(NEXT) | instid1(VALU_DEP_3)
	v_cmp_lt_u16_e64 s42, v69, v79
	v_cmp_lt_i32_e64 s43, v74, v16
                                        ; implicit-def: $vgpr69
	s_or_b32 s40, s40, s42
	s_wait_alu 0xfffe
	s_and_b32 s40, s43, s40
	s_wait_alu 0xfffe
	s_xor_b32 s42, s40, -1
	s_delay_alu instid0(SALU_CYCLE_1) | instskip(NEXT) | instid1(SALU_CYCLE_1)
	s_and_saveexec_b32 s43, s42
	s_xor_b32 s42, exec_lo, s43
; %bb.31:                               ;   in Loop: Header=BB99_2 Depth=1
	ds_load_u8 v69, v73 offset:1
; %bb.32:                               ;   in Loop: Header=BB99_2 Depth=1
	s_or_saveexec_b32 s42, s42
	v_mov_b32_e32 v71, v78
	s_xor_b32 exec_lo, exec_lo, s42
	s_cbranch_execz .LBB99_34
; %bb.33:                               ;   in Loop: Header=BB99_2 Depth=1
	ds_load_u8 v71, v74 offset:1
	s_wait_dscnt 0x1
	v_mov_b32_e32 v69, v77
.LBB99_34:                              ;   in Loop: Header=BB99_2 Depth=1
	s_or_b32 exec_lo, exec_lo, s42
	v_perm_b32 v79, v61, v1, 0xc0c0004
	v_perm_b32 v1, v1, v61, 0xc0c0004
	;; [unrolled: 1-line block ×5, first 2 shown]
	v_cndmask_b32_e64 v60, v60, v62, s38
	v_cndmask_b32_e64 v1, v1, v79, s6
	v_perm_b32 v59, 0, v3, 0xc0c0001
	v_cndmask_b32_e64 v46, v46, v47, s35
	v_lshl_or_b32 v2, v56, 16, v2
	v_cndmask_b32_e64 v48, v48, v49, s36
	v_lshl_or_b32 v1, v3, 16, v1
	v_lshlrev_b32_e32 v3, 16, v59
	v_cndmask_b32_e64 v49, v50, v51, s36
	v_perm_b32 v56, v2, v2, 0x7060405
	v_add_nc_u32_e32 v58, 1, v73
	v_add_nc_u32_e32 v57, 1, v74
	v_and_or_b32 v3, 0xffff, v1, v3
	v_cndmask_b32_e64 v52, v52, v53, s37
	v_cndmask_b32_e64 v2, v2, v56, s8
	;; [unrolled: 1-line block ×6, first 2 shown]
	v_perm_b32 v56, v2, v2, 0x6070504
	v_cndmask_b32_e64 v70, v70, v72, s41
	v_cmp_ge_i32_e64 s7, v54, v15
	v_perm_b32 v3, v1, v1, 0x7050604
	v_cmp_lt_i32_e64 s8, v51, v16
	v_cndmask_b32_e64 v2, v2, v56, s11
	v_cndmask_b32_e64 v63, v63, v64, s38
	;; [unrolled: 1-line block ×5, first 2 shown]
	v_lshlrev_b16 v56, 8, v2
	s_wait_loadcnt_dscnt 0x0
	s_barrier_signal -1
	v_lshrrev_b32_e32 v3, 16, v1
	s_barrier_wait -1
	global_inv scope:SCOPE_SE
	v_and_b32_e32 v3, 0xff, v3
	s_delay_alu instid0(VALU_DEP_1) | instskip(NEXT) | instid1(VALU_DEP_1)
	v_or_b32_e32 v3, v3, v56
	v_lshlrev_b32_e32 v3, 16, v3
	s_delay_alu instid0(VALU_DEP_1) | instskip(NEXT) | instid1(VALU_DEP_1)
	v_and_or_b32 v3, 0xffff, v1, v3
	v_cndmask_b32_e64 v3, v1, v3, s9
	v_perm_b32 v1, v1, v2, 0x3020107
	s_delay_alu instid0(VALU_DEP_2) | instskip(NEXT) | instid1(VALU_DEP_2)
	v_perm_b32 v56, 0, v3, 0xc0c0001
	v_cndmask_b32_e64 v1, v2, v1, s9
	s_delay_alu instid0(VALU_DEP_2) | instskip(NEXT) | instid1(VALU_DEP_1)
	v_and_or_b32 v56, 0xffff0000, v3, v56
	v_cndmask_b32_e64 v3, v3, v56, s12
	s_delay_alu instid0(VALU_DEP_1) | instskip(NEXT) | instid1(VALU_DEP_1)
	v_lshrrev_b32_e32 v56, 16, v3
	v_perm_b32 v2, 0, v56, 0xc0c0001
	v_perm_b32 v56, v1, v1, 0x7050604
	s_delay_alu instid0(VALU_DEP_2) | instskip(NEXT) | instid1(VALU_DEP_2)
	v_lshlrev_b32_e32 v2, 16, v2
	v_cndmask_b32_e64 v1, v1, v56, s13
	s_delay_alu instid0(VALU_DEP_2) | instskip(NEXT) | instid1(VALU_DEP_2)
	v_and_or_b32 v2, 0xffff, v3, v2
	v_perm_b32 v56, v1, v1, 0x7060405
	s_delay_alu instid0(VALU_DEP_2) | instskip(NEXT) | instid1(VALU_DEP_2)
	v_cndmask_b32_e64 v2, v3, v2, s14
	v_cndmask_b32_e64 v1, v1, v56, s15
	s_delay_alu instid0(VALU_DEP_2) | instskip(NEXT) | instid1(VALU_DEP_2)
	v_perm_b32 v3, v2, v2, 0x7050604
	v_perm_b32 v56, v1, v1, 0x6070504
	s_delay_alu instid0(VALU_DEP_2) | instskip(NEXT) | instid1(VALU_DEP_2)
	v_cndmask_b32_e64 v2, v2, v3, s17
	v_cndmask_b32_e64 v1, v1, v56, s18
	s_delay_alu instid0(VALU_DEP_2) | instskip(NEXT) | instid1(VALU_DEP_2)
	v_lshrrev_b32_e32 v3, 16, v2
	v_lshlrev_b16 v56, 8, v1
	s_delay_alu instid0(VALU_DEP_2) | instskip(NEXT) | instid1(VALU_DEP_1)
	v_and_b32_e32 v3, 0xff, v3
	v_or_b32_e32 v3, v3, v56
	s_delay_alu instid0(VALU_DEP_1) | instskip(NEXT) | instid1(VALU_DEP_1)
	v_lshlrev_b32_e32 v3, 16, v3
	v_and_or_b32 v3, 0xffff, v2, v3
	s_delay_alu instid0(VALU_DEP_1) | instskip(SKIP_1) | instid1(VALU_DEP_2)
	v_cndmask_b32_e64 v3, v2, v3, s16
	v_perm_b32 v2, v2, v1, 0x3020107
	v_perm_b32 v56, 0, v3, 0xc0c0001
	s_delay_alu instid0(VALU_DEP_2) | instskip(NEXT) | instid1(VALU_DEP_2)
	v_cndmask_b32_e64 v1, v1, v2, s16
	v_and_or_b32 v56, 0xffff0000, v3, v56
	s_delay_alu instid0(VALU_DEP_1) | instskip(NEXT) | instid1(VALU_DEP_1)
	v_cndmask_b32_e64 v3, v3, v56, s19
	v_lshrrev_b32_e32 v56, 16, v3
	s_delay_alu instid0(VALU_DEP_1) | instskip(SKIP_1) | instid1(VALU_DEP_2)
	v_perm_b32 v2, 0, v56, 0xc0c0001
	v_perm_b32 v56, v1, v1, 0x7050604
	v_lshlrev_b32_e32 v2, 16, v2
	s_delay_alu instid0(VALU_DEP_2) | instskip(NEXT) | instid1(VALU_DEP_2)
	v_cndmask_b32_e64 v1, v1, v56, s21
	v_and_or_b32 v2, 0xffff, v3, v2
	s_delay_alu instid0(VALU_DEP_2) | instskip(NEXT) | instid1(VALU_DEP_2)
	v_perm_b32 v56, v1, v1, 0x7060405
	v_cndmask_b32_e64 v2, v3, v2, s22
	s_delay_alu instid0(VALU_DEP_2) | instskip(NEXT) | instid1(VALU_DEP_2)
	v_cndmask_b32_e64 v1, v1, v56, s24
	v_perm_b32 v3, v2, v2, 0x7050604
	s_delay_alu instid0(VALU_DEP_2) | instskip(NEXT) | instid1(VALU_DEP_2)
	v_perm_b32 v56, v1, v1, 0x6070504
	v_cndmask_b32_e64 v2, v2, v3, s27
	s_delay_alu instid0(VALU_DEP_2) | instskip(NEXT) | instid1(VALU_DEP_2)
	v_cndmask_b32_e64 v1, v1, v56, s28
	v_lshrrev_b32_e32 v3, 16, v2
	s_delay_alu instid0(VALU_DEP_2) | instskip(NEXT) | instid1(VALU_DEP_2)
	v_lshlrev_b16 v56, 8, v1
	v_and_b32_e32 v3, 0xff, v3
	s_delay_alu instid0(VALU_DEP_1) | instskip(NEXT) | instid1(VALU_DEP_1)
	v_or_b32_e32 v3, v3, v56
	v_lshlrev_b32_e32 v3, 16, v3
	s_delay_alu instid0(VALU_DEP_1) | instskip(NEXT) | instid1(VALU_DEP_1)
	v_and_or_b32 v3, 0xffff, v2, v3
	v_cndmask_b32_e64 v3, v2, v3, s25
	v_perm_b32 v2, v2, v1, 0x3020107
	s_delay_alu instid0(VALU_DEP_2) | instskip(NEXT) | instid1(VALU_DEP_2)
	v_perm_b32 v56, 0, v3, 0xc0c0001
	v_cndmask_b32_e64 v1, v1, v2, s25
	s_delay_alu instid0(VALU_DEP_2) | instskip(NEXT) | instid1(VALU_DEP_2)
	v_and_or_b32 v56, 0xffff0000, v3, v56
	v_perm_b32 v62, v1, v1, 0x7050604
	s_delay_alu instid0(VALU_DEP_2) | instskip(NEXT) | instid1(VALU_DEP_2)
	v_cndmask_b32_e64 v3, v3, v56, s33
	v_cndmask_b32_e64 v1, v1, v62, s31
	v_cndmask_b32_e64 v56, v77, v78, s40
	s_delay_alu instid0(VALU_DEP_3) | instskip(NEXT) | instid1(VALU_DEP_3)
	v_lshrrev_b32_e32 v59, 16, v3
	v_perm_b32 v47, v1, v1, 0x7060405
	s_delay_alu instid0(VALU_DEP_3) | instskip(NEXT) | instid1(VALU_DEP_3)
	v_and_b32_e32 v56, 0xff, v56
	v_perm_b32 v2, 0, v59, 0xc0c0001
	s_delay_alu instid0(VALU_DEP_3) | instskip(SKIP_2) | instid1(VALU_DEP_4)
	v_cndmask_b32_e64 v1, v1, v47, s26
	v_cndmask_b32_e64 v59, v65, v66, s39
	;; [unrolled: 1-line block ×3, first 2 shown]
	v_lshlrev_b32_e32 v2, 16, v2
	s_delay_alu instid0(VALU_DEP_4) | instskip(NEXT) | instid1(VALU_DEP_2)
	v_perm_b32 v50, v1, v1, 0x6070504
	v_and_or_b32 v2, 0xffff, v3, v2
	s_delay_alu instid0(VALU_DEP_2) | instskip(SKIP_1) | instid1(VALU_DEP_3)
	v_cndmask_b32_e64 v1, v1, v50, s29
	v_and_b32_e32 v50, 0xff, v52
	v_cndmask_b32_e64 v2, v3, v2, s34
	v_cndmask_b32_e64 v3, v4, v45, s35
	v_and_b32_e32 v4, 0xff, v69
	v_and_b32_e32 v45, 0xff, v71
	s_delay_alu instid0(VALU_DEP_4) | instskip(NEXT) | instid1(VALU_DEP_2)
	v_perm_b32 v47, v2, v2, 0x7050604
	v_cmp_lt_u16_e64 s6, v45, v4
	v_and_b32_e32 v45, 0xff, v46
	s_delay_alu instid0(VALU_DEP_3)
	v_cndmask_b32_e64 v47, v2, v47, s30
	v_lshlrev_b16 v46, 8, v1
	v_lshlrev_b16 v4, 8, v48
	s_or_b32 s6, s7, s6
	v_lshlrev_b16 v48, 8, v60
	v_lshrrev_b32_e32 v2, 16, v47
	v_perm_b32 v52, v47, v1, 0x3020107
	s_wait_alu 0xfffe
	s_and_b32 s6, s8, s6
	s_wait_alu 0xfffe
	v_cndmask_b32_e64 v55, v69, v71, s6
	v_and_b32_e32 v2, 0xff, v2
	v_cndmask_b32_e64 v1, v1, v52, s20
	v_and_b32_e32 v52, 0xff, v59
	v_or_b32_e32 v59, v45, v4
	v_lshlrev_b16 v4, 8, v55
	v_or_b32_e32 v2, v2, v46
	v_perm_b32 v57, v1, v1, 0x7050604
	v_lshlrev_b16 v46, 8, v70
	v_cndmask_b32_e64 v45, v54, v51, s6
	v_or_b32_e32 v50, v50, v48
	v_lshlrev_b32_e32 v2, 16, v2
	v_or_b32_e32 v51, v56, v4
	v_or_b32_e32 v52, v52, v46
	s_delay_alu instid0(VALU_DEP_4) | instskip(NEXT) | instid1(VALU_DEP_4)
	v_lshlrev_b32_e32 v50, 16, v50
	v_and_or_b32 v58, 0xffff, v47, v2
	v_cndmask_b32_e64 v2, v1, v57, s23
	s_delay_alu instid0(VALU_DEP_4) | instskip(SKIP_1) | instid1(VALU_DEP_4)
	v_and_b32_e32 v52, 0xffff, v52
	v_lshlrev_b32_e32 v51, 16, v51
	v_cndmask_b32_e64 v1, v47, v58, s20
	ds_store_b64 v5, v[1:2]
	s_wait_loadcnt_dscnt 0x0
	s_barrier_signal -1
	s_barrier_wait -1
	global_inv scope:SCOPE_SE
	ds_load_u8 v1, v3
	ds_load_u8 v45, v45
	ds_load_u8 v2, v49
	ds_load_u8 v3, v53
	ds_load_u8 v4, v63
	ds_load_u8 v46, v65
	ds_load_u8 v47, v72
	ds_load_u8 v48, v61
	v_and_b32_e32 v49, 0xffff, v59
	s_wait_loadcnt_dscnt 0x0
	s_barrier_signal -1
	s_barrier_wait -1
	global_inv scope:SCOPE_SE
	v_or_b32_e32 v49, v49, v50
	v_or_b32_e32 v50, v52, v51
	ds_store_b64 v5, v[49:50]
	v_mov_b32_e32 v50, v40
	s_wait_loadcnt_dscnt 0x0
	s_barrier_signal -1
	s_barrier_wait -1
	global_inv scope:SCOPE_SE
	s_and_saveexec_b32 s7, s1
	s_cbranch_execz .LBB99_38
; %bb.35:                               ;   in Loop: Header=BB99_2 Depth=1
	v_dual_mov_b32 v50, v40 :: v_dual_mov_b32 v49, v34
	s_mov_b32 s8, 0
.LBB99_36:                              ;   Parent Loop BB99_2 Depth=1
                                        ; =>  This Inner Loop Header: Depth=2
	s_delay_alu instid0(VALU_DEP_1) | instskip(NEXT) | instid1(VALU_DEP_1)
	v_sub_nc_u32_e32 v51, v49, v50
	v_lshrrev_b32_e32 v51, 1, v51
	s_delay_alu instid0(VALU_DEP_1) | instskip(NEXT) | instid1(VALU_DEP_1)
	v_add_nc_u32_e32 v51, v51, v50
	v_add_nc_u32_e32 v52, v7, v51
	v_xad_u32 v53, v51, -1, v28
	v_add_nc_u32_e32 v54, 1, v51
	ds_load_u8 v52, v52
	ds_load_u8 v53, v53
	s_wait_dscnt 0x0
	v_cmp_lt_u16_e64 s6, v53, v52
	s_wait_alu 0xf1ff
	s_delay_alu instid0(VALU_DEP_1) | instskip(SKIP_1) | instid1(VALU_DEP_1)
	v_cndmask_b32_e64 v49, v49, v51, s6
	v_cndmask_b32_e64 v50, v54, v50, s6
	v_cmp_ge_i32_e64 s6, v50, v49
	s_wait_alu 0xfffe
	s_or_b32 s8, s6, s8
	s_wait_alu 0xfffe
	s_and_not1_b32 exec_lo, exec_lo, s8
	s_cbranch_execnz .LBB99_36
; %bb.37:                               ;   in Loop: Header=BB99_2 Depth=1
	s_or_b32 exec_lo, exec_lo, s8
.LBB99_38:                              ;   in Loop: Header=BB99_2 Depth=1
	s_wait_alu 0xfffe
	s_or_b32 exec_lo, exec_lo, s7
	v_add_nc_u32_e32 v49, v50, v7
	v_sub_nc_u32_e32 v50, v28, v50
	ds_load_u8 v51, v49
	ds_load_u8 v52, v50
	v_cmp_le_i32_e64 s6, v17, v49
	v_cmp_gt_i32_e64 s8, v18, v50
	s_wait_dscnt 0x1
	v_and_b32_e32 v53, 0xff, v51
	s_wait_dscnt 0x0
	v_and_b32_e32 v54, 0xff, v52
	s_delay_alu instid0(VALU_DEP_1)
	v_cmp_lt_u16_e64 s7, v54, v53
                                        ; implicit-def: $vgpr53
	s_or_b32 s6, s6, s7
	s_wait_alu 0xfffe
	s_and_b32 s6, s8, s6
	s_wait_alu 0xfffe
	s_xor_b32 s7, s6, -1
	s_wait_alu 0xfffe
	s_and_saveexec_b32 s8, s7
	s_wait_alu 0xfffe
	s_xor_b32 s7, exec_lo, s8
; %bb.39:                               ;   in Loop: Header=BB99_2 Depth=1
	ds_load_u8 v53, v49 offset:1
; %bb.40:                               ;   in Loop: Header=BB99_2 Depth=1
	s_wait_alu 0xfffe
	s_or_saveexec_b32 s7, s7
	v_mov_b32_e32 v54, v52
	s_wait_alu 0xfffe
	s_xor_b32 exec_lo, exec_lo, s7
	s_cbranch_execz .LBB99_42
; %bb.41:                               ;   in Loop: Header=BB99_2 Depth=1
	ds_load_u8 v54, v50 offset:1
	s_wait_dscnt 0x1
	v_mov_b32_e32 v53, v51
.LBB99_42:                              ;   in Loop: Header=BB99_2 Depth=1
	s_or_b32 exec_lo, exec_lo, s7
	v_add_nc_u32_e32 v55, 1, v49
	v_add_nc_u32_e32 v56, 1, v50
	s_wait_dscnt 0x0
	v_and_b32_e32 v57, 0xff, v53
	v_and_b32_e32 v58, 0xff, v54
	v_cndmask_b32_e64 v55, v55, v49, s6
	v_cndmask_b32_e64 v56, v50, v56, s6
	s_delay_alu instid0(VALU_DEP_3) | instskip(NEXT) | instid1(VALU_DEP_3)
	v_cmp_lt_u16_e64 s8, v58, v57
                                        ; implicit-def: $vgpr57
	v_cmp_ge_i32_e64 s7, v55, v17
	s_delay_alu instid0(VALU_DEP_3)
	v_cmp_lt_i32_e64 s9, v56, v18
	s_or_b32 s7, s7, s8
	s_wait_alu 0xfffe
	s_and_b32 s7, s9, s7
	s_wait_alu 0xfffe
	s_xor_b32 s8, s7, -1
	s_wait_alu 0xfffe
	s_and_saveexec_b32 s9, s8
	s_wait_alu 0xfffe
	s_xor_b32 s8, exec_lo, s9
; %bb.43:                               ;   in Loop: Header=BB99_2 Depth=1
	ds_load_u8 v57, v55 offset:1
; %bb.44:                               ;   in Loop: Header=BB99_2 Depth=1
	s_wait_alu 0xfffe
	s_or_saveexec_b32 s8, s8
	v_mov_b32_e32 v58, v54
	s_wait_alu 0xfffe
	s_xor_b32 exec_lo, exec_lo, s8
	s_cbranch_execz .LBB99_46
; %bb.45:                               ;   in Loop: Header=BB99_2 Depth=1
	ds_load_u8 v58, v56 offset:1
	s_wait_dscnt 0x1
	v_mov_b32_e32 v57, v53
.LBB99_46:                              ;   in Loop: Header=BB99_2 Depth=1
	s_or_b32 exec_lo, exec_lo, s8
	v_add_nc_u32_e32 v59, 1, v55
	v_add_nc_u32_e32 v60, 1, v56
	s_wait_dscnt 0x0
	v_and_b32_e32 v61, 0xff, v57
	v_and_b32_e32 v62, 0xff, v58
	v_cndmask_b32_e64 v59, v59, v55, s7
	v_cndmask_b32_e64 v60, v56, v60, s7
	s_delay_alu instid0(VALU_DEP_3) | instskip(NEXT) | instid1(VALU_DEP_3)
	v_cmp_lt_u16_e64 s9, v62, v61
                                        ; implicit-def: $vgpr61
	v_cmp_ge_i32_e64 s8, v59, v17
	s_delay_alu instid0(VALU_DEP_3)
	v_cmp_lt_i32_e64 s10, v60, v18
	s_or_b32 s8, s8, s9
	s_wait_alu 0xfffe
	s_and_b32 s8, s10, s8
	s_wait_alu 0xfffe
	s_xor_b32 s9, s8, -1
	s_wait_alu 0xfffe
	s_and_saveexec_b32 s10, s9
	s_wait_alu 0xfffe
	s_xor_b32 s9, exec_lo, s10
; %bb.47:                               ;   in Loop: Header=BB99_2 Depth=1
	ds_load_u8 v61, v59 offset:1
; %bb.48:                               ;   in Loop: Header=BB99_2 Depth=1
	s_wait_alu 0xfffe
	s_or_saveexec_b32 s9, s9
	v_mov_b32_e32 v62, v58
	s_wait_alu 0xfffe
	s_xor_b32 exec_lo, exec_lo, s9
	s_cbranch_execz .LBB99_50
; %bb.49:                               ;   in Loop: Header=BB99_2 Depth=1
	ds_load_u8 v62, v60 offset:1
	s_wait_dscnt 0x1
	v_mov_b32_e32 v61, v57
.LBB99_50:                              ;   in Loop: Header=BB99_2 Depth=1
	s_or_b32 exec_lo, exec_lo, s9
	v_add_nc_u32_e32 v63, 1, v59
	v_add_nc_u32_e32 v64, 1, v60
	s_wait_dscnt 0x0
	v_and_b32_e32 v65, 0xff, v61
	v_and_b32_e32 v66, 0xff, v62
	v_cndmask_b32_e64 v63, v63, v59, s8
	v_cndmask_b32_e64 v64, v60, v64, s8
	s_delay_alu instid0(VALU_DEP_3) | instskip(NEXT) | instid1(VALU_DEP_3)
	v_cmp_lt_u16_e64 s10, v66, v65
                                        ; implicit-def: $vgpr65
	v_cmp_ge_i32_e64 s9, v63, v17
	s_delay_alu instid0(VALU_DEP_3)
	v_cmp_lt_i32_e64 s11, v64, v18
	s_or_b32 s9, s9, s10
	s_wait_alu 0xfffe
	s_and_b32 s9, s11, s9
	s_wait_alu 0xfffe
	s_xor_b32 s10, s9, -1
	s_wait_alu 0xfffe
	s_and_saveexec_b32 s11, s10
	s_wait_alu 0xfffe
	s_xor_b32 s10, exec_lo, s11
; %bb.51:                               ;   in Loop: Header=BB99_2 Depth=1
	ds_load_u8 v65, v63 offset:1
; %bb.52:                               ;   in Loop: Header=BB99_2 Depth=1
	s_wait_alu 0xfffe
	s_or_saveexec_b32 s10, s10
	v_mov_b32_e32 v66, v62
	s_wait_alu 0xfffe
	s_xor_b32 exec_lo, exec_lo, s10
	s_cbranch_execz .LBB99_54
; %bb.53:                               ;   in Loop: Header=BB99_2 Depth=1
	ds_load_u8 v66, v64 offset:1
	s_wait_dscnt 0x1
	v_mov_b32_e32 v65, v61
.LBB99_54:                              ;   in Loop: Header=BB99_2 Depth=1
	s_or_b32 exec_lo, exec_lo, s10
	v_add_nc_u32_e32 v67, 1, v63
	v_add_nc_u32_e32 v68, 1, v64
	s_wait_dscnt 0x0
	v_and_b32_e32 v69, 0xff, v65
	v_and_b32_e32 v70, 0xff, v66
	v_cndmask_b32_e64 v67, v67, v63, s9
	v_cndmask_b32_e64 v68, v64, v68, s9
	s_delay_alu instid0(VALU_DEP_3) | instskip(NEXT) | instid1(VALU_DEP_3)
	v_cmp_lt_u16_e64 s11, v70, v69
                                        ; implicit-def: $vgpr69
	v_cmp_ge_i32_e64 s10, v67, v17
	s_delay_alu instid0(VALU_DEP_3)
	v_cmp_lt_i32_e64 s12, v68, v18
	s_or_b32 s10, s10, s11
	s_wait_alu 0xfffe
	s_and_b32 s10, s12, s10
	s_wait_alu 0xfffe
	s_xor_b32 s11, s10, -1
	s_wait_alu 0xfffe
	s_and_saveexec_b32 s12, s11
	s_wait_alu 0xfffe
	s_xor_b32 s11, exec_lo, s12
; %bb.55:                               ;   in Loop: Header=BB99_2 Depth=1
	ds_load_u8 v69, v67 offset:1
; %bb.56:                               ;   in Loop: Header=BB99_2 Depth=1
	s_wait_alu 0xfffe
	s_or_saveexec_b32 s11, s11
	v_mov_b32_e32 v70, v66
	s_wait_alu 0xfffe
	s_xor_b32 exec_lo, exec_lo, s11
	s_cbranch_execz .LBB99_58
; %bb.57:                               ;   in Loop: Header=BB99_2 Depth=1
	ds_load_u8 v70, v68 offset:1
	s_wait_dscnt 0x1
	v_mov_b32_e32 v69, v65
.LBB99_58:                              ;   in Loop: Header=BB99_2 Depth=1
	s_or_b32 exec_lo, exec_lo, s11
	v_add_nc_u32_e32 v71, 1, v67
	v_add_nc_u32_e32 v72, 1, v68
	s_wait_dscnt 0x0
	v_and_b32_e32 v73, 0xff, v69
	v_and_b32_e32 v74, 0xff, v70
	v_cndmask_b32_e64 v71, v71, v67, s10
	v_cndmask_b32_e64 v72, v68, v72, s10
	s_delay_alu instid0(VALU_DEP_3) | instskip(NEXT) | instid1(VALU_DEP_3)
	v_cmp_lt_u16_e64 s12, v74, v73
                                        ; implicit-def: $vgpr74
	v_cmp_ge_i32_e64 s11, v71, v17
	s_delay_alu instid0(VALU_DEP_3)
	v_cmp_lt_i32_e64 s13, v72, v18
	s_or_b32 s11, s11, s12
	s_wait_alu 0xfffe
	s_and_b32 s11, s13, s11
	s_wait_alu 0xfffe
	s_xor_b32 s12, s11, -1
	s_wait_alu 0xfffe
	s_and_saveexec_b32 s13, s12
	s_wait_alu 0xfffe
	s_xor_b32 s12, exec_lo, s13
; %bb.59:                               ;   in Loop: Header=BB99_2 Depth=1
	ds_load_u8 v74, v71 offset:1
; %bb.60:                               ;   in Loop: Header=BB99_2 Depth=1
	s_wait_alu 0xfffe
	s_or_saveexec_b32 s12, s12
	v_mov_b32_e32 v76, v70
	s_wait_alu 0xfffe
	s_xor_b32 exec_lo, exec_lo, s12
	s_cbranch_execz .LBB99_62
; %bb.61:                               ;   in Loop: Header=BB99_2 Depth=1
	ds_load_u8 v76, v72 offset:1
	s_wait_dscnt 0x1
	v_mov_b32_e32 v74, v69
.LBB99_62:                              ;   in Loop: Header=BB99_2 Depth=1
	s_or_b32 exec_lo, exec_lo, s12
	v_add_nc_u32_e32 v73, 1, v71
	v_add_nc_u32_e32 v75, 1, v72
	s_wait_dscnt 0x0
	v_and_b32_e32 v79, 0xff, v74
	s_delay_alu instid0(VALU_DEP_3) | instskip(SKIP_2) | instid1(VALU_DEP_3)
	v_cndmask_b32_e64 v77, v73, v71, s11
	v_and_b32_e32 v73, 0xff, v76
	v_cndmask_b32_e64 v78, v72, v75, s11
	v_cmp_ge_i32_e64 s12, v77, v17
	s_delay_alu instid0(VALU_DEP_3) | instskip(NEXT) | instid1(VALU_DEP_3)
	v_cmp_lt_u16_e64 s13, v73, v79
	v_cmp_lt_i32_e64 s14, v78, v18
                                        ; implicit-def: $vgpr73
	s_or_b32 s12, s12, s13
	s_wait_alu 0xfffe
	s_and_b32 s12, s14, s12
	s_wait_alu 0xfffe
	s_xor_b32 s13, s12, -1
	s_wait_alu 0xfffe
	s_and_saveexec_b32 s14, s13
	s_wait_alu 0xfffe
	s_xor_b32 s13, exec_lo, s14
; %bb.63:                               ;   in Loop: Header=BB99_2 Depth=1
	ds_load_u8 v73, v77 offset:1
; %bb.64:                               ;   in Loop: Header=BB99_2 Depth=1
	s_wait_alu 0xfffe
	s_or_saveexec_b32 s13, s13
	v_mov_b32_e32 v75, v76
	s_wait_alu 0xfffe
	s_xor_b32 exec_lo, exec_lo, s13
	s_cbranch_execz .LBB99_66
; %bb.65:                               ;   in Loop: Header=BB99_2 Depth=1
	ds_load_u8 v75, v78 offset:1
	s_wait_dscnt 0x1
	v_mov_b32_e32 v73, v74
.LBB99_66:                              ;   in Loop: Header=BB99_2 Depth=1
	s_or_b32 exec_lo, exec_lo, s13
	v_add_nc_u32_e32 v80, 1, v77
	v_add_nc_u32_e32 v79, 1, v78
	v_cndmask_b32_e64 v74, v74, v76, s12
	v_cndmask_b32_e64 v76, v77, v78, s12
	;; [unrolled: 1-line block ×5, first 2 shown]
	s_wait_dscnt 0x0
	v_and_b32_e32 v63, 0xff, v73
	v_and_b32_e32 v64, 0xff, v75
	v_cndmask_b32_e64 v78, v78, v79, s12
	v_cndmask_b32_e64 v57, v57, v58, s8
	;; [unrolled: 1-line block ×3, first 2 shown]
	v_cmp_ge_i32_e64 s8, v77, v17
	v_cmp_lt_u16_e64 s9, v64, v63
	v_cndmask_b32_e64 v51, v51, v52, s6
	v_cndmask_b32_e64 v49, v49, v50, s6
	v_cmp_lt_i32_e64 s6, v78, v18
	v_perm_b32 v46, v46, v47, 0xc0c0004
	v_perm_b32 v45, v48, v45, 0xc0c0004
	;; [unrolled: 1-line block ×4, first 2 shown]
	v_cndmask_b32_e64 v53, v53, v54, s7
	v_cndmask_b32_e64 v54, v55, v56, s7
	s_or_b32 s7, s8, s9
	v_cndmask_b32_e64 v69, v69, v70, s11
	s_wait_alu 0xfffe
	s_and_b32 s6, s6, s7
	v_cndmask_b32_e64 v65, v65, v66, s10
	s_wait_alu 0xfffe
	v_cndmask_b32_e64 v4, v73, v75, s6
	v_lshl_or_b32 v2, v45, 16, v46
	v_lshl_or_b32 v1, v3, 16, v1
	s_wait_loadcnt 0x0
	s_barrier_signal -1
	s_barrier_wait -1
	global_inv scope:SCOPE_SE
	ds_store_b64 v5, v[1:2]
	v_lshlrev_b16 v1, 8, v53
	v_and_b32_e32 v2, 0xff, v51
	v_lshlrev_b16 v3, 8, v61
	v_and_b32_e32 v45, 0xff, v57
	;; [unrolled: 2-line block ×3, first 2 shown]
	v_and_b32_e32 v50, 0xff, v74
	v_lshlrev_b16 v4, 8, v4
	v_cndmask_b32_e64 v47, v77, v78, s6
	v_cndmask_b32_e64 v70, v71, v72, s11
	;; [unrolled: 1-line block ×3, first 2 shown]
	s_wait_loadcnt_dscnt 0x0
	s_barrier_signal -1
	s_barrier_wait -1
	global_inv scope:SCOPE_SE
	v_or_b32_e32 v51, v2, v1
	v_or_b32_e32 v52, v45, v3
	;; [unrolled: 1-line block ×4, first 2 shown]
	ds_load_u8 v1, v49
	ds_load_u8 v45, v47
	;; [unrolled: 1-line block ×8, first 2 shown]
	v_and_b32_e32 v49, 0xffff, v51
	v_lshlrev_b32_e32 v51, 16, v52
	v_and_b32_e32 v52, 0xffff, v53
	v_lshlrev_b32_e32 v50, 16, v50
	s_wait_loadcnt_dscnt 0x0
	s_barrier_signal -1
	v_or_b32_e32 v49, v49, v51
	s_barrier_wait -1
	v_or_b32_e32 v50, v52, v50
	global_inv scope:SCOPE_SE
	ds_store_b64 v5, v[49:50]
	v_mov_b32_e32 v50, v41
	s_wait_loadcnt_dscnt 0x0
	s_barrier_signal -1
	s_barrier_wait -1
	global_inv scope:SCOPE_SE
	s_and_saveexec_b32 s7, s2
	s_cbranch_execz .LBB99_70
; %bb.67:                               ;   in Loop: Header=BB99_2 Depth=1
	v_dual_mov_b32 v50, v41 :: v_dual_mov_b32 v49, v35
	s_mov_b32 s8, 0
.LBB99_68:                              ;   Parent Loop BB99_2 Depth=1
                                        ; =>  This Inner Loop Header: Depth=2
	s_delay_alu instid0(VALU_DEP_1) | instskip(NEXT) | instid1(VALU_DEP_1)
	v_sub_nc_u32_e32 v51, v49, v50
	v_lshrrev_b32_e32 v51, 1, v51
	s_delay_alu instid0(VALU_DEP_1) | instskip(NEXT) | instid1(VALU_DEP_1)
	v_add_nc_u32_e32 v51, v51, v50
	v_add_nc_u32_e32 v52, v8, v51
	v_xad_u32 v53, v51, -1, v29
	v_add_nc_u32_e32 v54, 1, v51
	ds_load_u8 v52, v52
	ds_load_u8 v53, v53
	s_wait_dscnt 0x0
	v_cmp_lt_u16_e64 s6, v53, v52
	s_wait_alu 0xf1ff
	s_delay_alu instid0(VALU_DEP_1) | instskip(SKIP_1) | instid1(VALU_DEP_1)
	v_cndmask_b32_e64 v49, v49, v51, s6
	v_cndmask_b32_e64 v50, v54, v50, s6
	v_cmp_ge_i32_e64 s6, v50, v49
	s_wait_alu 0xfffe
	s_or_b32 s8, s6, s8
	s_wait_alu 0xfffe
	s_and_not1_b32 exec_lo, exec_lo, s8
	s_cbranch_execnz .LBB99_68
; %bb.69:                               ;   in Loop: Header=BB99_2 Depth=1
	s_or_b32 exec_lo, exec_lo, s8
.LBB99_70:                              ;   in Loop: Header=BB99_2 Depth=1
	s_wait_alu 0xfffe
	s_or_b32 exec_lo, exec_lo, s7
	v_add_nc_u32_e32 v49, v50, v8
	v_sub_nc_u32_e32 v50, v29, v50
	ds_load_u8 v51, v49
	ds_load_u8 v52, v50
	v_cmp_le_i32_e64 s6, v19, v49
	v_cmp_gt_i32_e64 s8, v20, v50
	s_wait_dscnt 0x1
	v_and_b32_e32 v53, 0xff, v51
	s_wait_dscnt 0x0
	v_and_b32_e32 v54, 0xff, v52
	s_delay_alu instid0(VALU_DEP_1)
	v_cmp_lt_u16_e64 s7, v54, v53
                                        ; implicit-def: $vgpr53
	s_or_b32 s6, s6, s7
	s_wait_alu 0xfffe
	s_and_b32 s6, s8, s6
	s_wait_alu 0xfffe
	s_xor_b32 s7, s6, -1
	s_wait_alu 0xfffe
	s_and_saveexec_b32 s8, s7
	s_wait_alu 0xfffe
	s_xor_b32 s7, exec_lo, s8
; %bb.71:                               ;   in Loop: Header=BB99_2 Depth=1
	ds_load_u8 v53, v49 offset:1
; %bb.72:                               ;   in Loop: Header=BB99_2 Depth=1
	s_wait_alu 0xfffe
	s_or_saveexec_b32 s7, s7
	v_mov_b32_e32 v54, v52
	s_wait_alu 0xfffe
	s_xor_b32 exec_lo, exec_lo, s7
	s_cbranch_execz .LBB99_74
; %bb.73:                               ;   in Loop: Header=BB99_2 Depth=1
	ds_load_u8 v54, v50 offset:1
	s_wait_dscnt 0x1
	v_mov_b32_e32 v53, v51
.LBB99_74:                              ;   in Loop: Header=BB99_2 Depth=1
	s_or_b32 exec_lo, exec_lo, s7
	v_add_nc_u32_e32 v55, 1, v49
	v_add_nc_u32_e32 v56, 1, v50
	s_wait_dscnt 0x0
	v_and_b32_e32 v57, 0xff, v53
	v_and_b32_e32 v58, 0xff, v54
	v_cndmask_b32_e64 v55, v55, v49, s6
	v_cndmask_b32_e64 v56, v50, v56, s6
	s_delay_alu instid0(VALU_DEP_3) | instskip(NEXT) | instid1(VALU_DEP_3)
	v_cmp_lt_u16_e64 s8, v58, v57
                                        ; implicit-def: $vgpr57
	v_cmp_ge_i32_e64 s7, v55, v19
	s_delay_alu instid0(VALU_DEP_3)
	v_cmp_lt_i32_e64 s9, v56, v20
	s_or_b32 s7, s7, s8
	s_wait_alu 0xfffe
	s_and_b32 s7, s9, s7
	s_wait_alu 0xfffe
	s_xor_b32 s8, s7, -1
	s_wait_alu 0xfffe
	s_and_saveexec_b32 s9, s8
	s_wait_alu 0xfffe
	s_xor_b32 s8, exec_lo, s9
; %bb.75:                               ;   in Loop: Header=BB99_2 Depth=1
	ds_load_u8 v57, v55 offset:1
; %bb.76:                               ;   in Loop: Header=BB99_2 Depth=1
	s_wait_alu 0xfffe
	s_or_saveexec_b32 s8, s8
	v_mov_b32_e32 v58, v54
	s_wait_alu 0xfffe
	s_xor_b32 exec_lo, exec_lo, s8
	s_cbranch_execz .LBB99_78
; %bb.77:                               ;   in Loop: Header=BB99_2 Depth=1
	ds_load_u8 v58, v56 offset:1
	s_wait_dscnt 0x1
	v_mov_b32_e32 v57, v53
.LBB99_78:                              ;   in Loop: Header=BB99_2 Depth=1
	s_or_b32 exec_lo, exec_lo, s8
	v_add_nc_u32_e32 v59, 1, v55
	v_add_nc_u32_e32 v60, 1, v56
	s_wait_dscnt 0x0
	v_and_b32_e32 v61, 0xff, v57
	v_and_b32_e32 v62, 0xff, v58
	v_cndmask_b32_e64 v59, v59, v55, s7
	v_cndmask_b32_e64 v60, v56, v60, s7
	s_delay_alu instid0(VALU_DEP_3) | instskip(NEXT) | instid1(VALU_DEP_3)
	v_cmp_lt_u16_e64 s9, v62, v61
                                        ; implicit-def: $vgpr61
	v_cmp_ge_i32_e64 s8, v59, v19
	s_delay_alu instid0(VALU_DEP_3)
	v_cmp_lt_i32_e64 s10, v60, v20
	s_or_b32 s8, s8, s9
	s_wait_alu 0xfffe
	s_and_b32 s8, s10, s8
	s_wait_alu 0xfffe
	s_xor_b32 s9, s8, -1
	s_wait_alu 0xfffe
	s_and_saveexec_b32 s10, s9
	s_wait_alu 0xfffe
	s_xor_b32 s9, exec_lo, s10
; %bb.79:                               ;   in Loop: Header=BB99_2 Depth=1
	ds_load_u8 v61, v59 offset:1
; %bb.80:                               ;   in Loop: Header=BB99_2 Depth=1
	s_wait_alu 0xfffe
	s_or_saveexec_b32 s9, s9
	v_mov_b32_e32 v62, v58
	s_wait_alu 0xfffe
	s_xor_b32 exec_lo, exec_lo, s9
	s_cbranch_execz .LBB99_82
; %bb.81:                               ;   in Loop: Header=BB99_2 Depth=1
	ds_load_u8 v62, v60 offset:1
	s_wait_dscnt 0x1
	v_mov_b32_e32 v61, v57
.LBB99_82:                              ;   in Loop: Header=BB99_2 Depth=1
	s_or_b32 exec_lo, exec_lo, s9
	v_add_nc_u32_e32 v63, 1, v59
	v_add_nc_u32_e32 v64, 1, v60
	s_wait_dscnt 0x0
	v_and_b32_e32 v65, 0xff, v61
	v_and_b32_e32 v66, 0xff, v62
	v_cndmask_b32_e64 v63, v63, v59, s8
	v_cndmask_b32_e64 v64, v60, v64, s8
	s_delay_alu instid0(VALU_DEP_3) | instskip(NEXT) | instid1(VALU_DEP_3)
	v_cmp_lt_u16_e64 s10, v66, v65
                                        ; implicit-def: $vgpr65
	v_cmp_ge_i32_e64 s9, v63, v19
	s_delay_alu instid0(VALU_DEP_3)
	v_cmp_lt_i32_e64 s11, v64, v20
	s_or_b32 s9, s9, s10
	s_wait_alu 0xfffe
	s_and_b32 s9, s11, s9
	s_wait_alu 0xfffe
	s_xor_b32 s10, s9, -1
	s_wait_alu 0xfffe
	s_and_saveexec_b32 s11, s10
	s_wait_alu 0xfffe
	s_xor_b32 s10, exec_lo, s11
; %bb.83:                               ;   in Loop: Header=BB99_2 Depth=1
	ds_load_u8 v65, v63 offset:1
; %bb.84:                               ;   in Loop: Header=BB99_2 Depth=1
	s_wait_alu 0xfffe
	s_or_saveexec_b32 s10, s10
	v_mov_b32_e32 v66, v62
	s_wait_alu 0xfffe
	s_xor_b32 exec_lo, exec_lo, s10
	s_cbranch_execz .LBB99_86
; %bb.85:                               ;   in Loop: Header=BB99_2 Depth=1
	ds_load_u8 v66, v64 offset:1
	s_wait_dscnt 0x1
	v_mov_b32_e32 v65, v61
.LBB99_86:                              ;   in Loop: Header=BB99_2 Depth=1
	s_or_b32 exec_lo, exec_lo, s10
	v_add_nc_u32_e32 v67, 1, v63
	v_add_nc_u32_e32 v68, 1, v64
	s_wait_dscnt 0x0
	v_and_b32_e32 v69, 0xff, v65
	v_and_b32_e32 v70, 0xff, v66
	v_cndmask_b32_e64 v67, v67, v63, s9
	v_cndmask_b32_e64 v68, v64, v68, s9
	s_delay_alu instid0(VALU_DEP_3) | instskip(NEXT) | instid1(VALU_DEP_3)
	v_cmp_lt_u16_e64 s11, v70, v69
                                        ; implicit-def: $vgpr69
	v_cmp_ge_i32_e64 s10, v67, v19
	s_delay_alu instid0(VALU_DEP_3)
	v_cmp_lt_i32_e64 s12, v68, v20
	s_or_b32 s10, s10, s11
	s_wait_alu 0xfffe
	s_and_b32 s10, s12, s10
	s_wait_alu 0xfffe
	s_xor_b32 s11, s10, -1
	s_wait_alu 0xfffe
	s_and_saveexec_b32 s12, s11
	s_wait_alu 0xfffe
	s_xor_b32 s11, exec_lo, s12
; %bb.87:                               ;   in Loop: Header=BB99_2 Depth=1
	ds_load_u8 v69, v67 offset:1
; %bb.88:                               ;   in Loop: Header=BB99_2 Depth=1
	s_wait_alu 0xfffe
	s_or_saveexec_b32 s11, s11
	v_mov_b32_e32 v70, v66
	s_wait_alu 0xfffe
	s_xor_b32 exec_lo, exec_lo, s11
	s_cbranch_execz .LBB99_90
; %bb.89:                               ;   in Loop: Header=BB99_2 Depth=1
	ds_load_u8 v70, v68 offset:1
	s_wait_dscnt 0x1
	v_mov_b32_e32 v69, v65
.LBB99_90:                              ;   in Loop: Header=BB99_2 Depth=1
	s_or_b32 exec_lo, exec_lo, s11
	v_add_nc_u32_e32 v71, 1, v67
	v_add_nc_u32_e32 v72, 1, v68
	s_wait_dscnt 0x0
	v_and_b32_e32 v73, 0xff, v69
	v_and_b32_e32 v74, 0xff, v70
	v_cndmask_b32_e64 v71, v71, v67, s10
	v_cndmask_b32_e64 v72, v68, v72, s10
	s_delay_alu instid0(VALU_DEP_3) | instskip(NEXT) | instid1(VALU_DEP_3)
	v_cmp_lt_u16_e64 s12, v74, v73
                                        ; implicit-def: $vgpr74
	v_cmp_ge_i32_e64 s11, v71, v19
	s_delay_alu instid0(VALU_DEP_3)
	v_cmp_lt_i32_e64 s13, v72, v20
	s_or_b32 s11, s11, s12
	s_wait_alu 0xfffe
	s_and_b32 s11, s13, s11
	s_wait_alu 0xfffe
	s_xor_b32 s12, s11, -1
	s_wait_alu 0xfffe
	s_and_saveexec_b32 s13, s12
	s_wait_alu 0xfffe
	s_xor_b32 s12, exec_lo, s13
; %bb.91:                               ;   in Loop: Header=BB99_2 Depth=1
	ds_load_u8 v74, v71 offset:1
; %bb.92:                               ;   in Loop: Header=BB99_2 Depth=1
	s_wait_alu 0xfffe
	s_or_saveexec_b32 s12, s12
	v_mov_b32_e32 v76, v70
	s_wait_alu 0xfffe
	s_xor_b32 exec_lo, exec_lo, s12
	s_cbranch_execz .LBB99_94
; %bb.93:                               ;   in Loop: Header=BB99_2 Depth=1
	ds_load_u8 v76, v72 offset:1
	s_wait_dscnt 0x1
	v_mov_b32_e32 v74, v69
.LBB99_94:                              ;   in Loop: Header=BB99_2 Depth=1
	s_or_b32 exec_lo, exec_lo, s12
	v_add_nc_u32_e32 v73, 1, v71
	v_add_nc_u32_e32 v75, 1, v72
	s_wait_dscnt 0x0
	v_and_b32_e32 v79, 0xff, v74
	s_delay_alu instid0(VALU_DEP_3) | instskip(SKIP_2) | instid1(VALU_DEP_3)
	v_cndmask_b32_e64 v77, v73, v71, s11
	v_and_b32_e32 v73, 0xff, v76
	v_cndmask_b32_e64 v78, v72, v75, s11
	v_cmp_ge_i32_e64 s12, v77, v19
	s_delay_alu instid0(VALU_DEP_3) | instskip(NEXT) | instid1(VALU_DEP_3)
	v_cmp_lt_u16_e64 s13, v73, v79
	v_cmp_lt_i32_e64 s14, v78, v20
                                        ; implicit-def: $vgpr73
	s_or_b32 s12, s12, s13
	s_wait_alu 0xfffe
	s_and_b32 s12, s14, s12
	s_wait_alu 0xfffe
	s_xor_b32 s13, s12, -1
	s_wait_alu 0xfffe
	s_and_saveexec_b32 s14, s13
	s_wait_alu 0xfffe
	s_xor_b32 s13, exec_lo, s14
; %bb.95:                               ;   in Loop: Header=BB99_2 Depth=1
	ds_load_u8 v73, v77 offset:1
; %bb.96:                               ;   in Loop: Header=BB99_2 Depth=1
	s_wait_alu 0xfffe
	s_or_saveexec_b32 s13, s13
	v_mov_b32_e32 v75, v76
	s_wait_alu 0xfffe
	s_xor_b32 exec_lo, exec_lo, s13
	s_cbranch_execz .LBB99_98
; %bb.97:                               ;   in Loop: Header=BB99_2 Depth=1
	ds_load_u8 v75, v78 offset:1
	s_wait_dscnt 0x1
	v_mov_b32_e32 v73, v74
.LBB99_98:                              ;   in Loop: Header=BB99_2 Depth=1
	s_or_b32 exec_lo, exec_lo, s13
	v_add_nc_u32_e32 v80, 1, v77
	v_add_nc_u32_e32 v79, 1, v78
	v_cndmask_b32_e64 v74, v74, v76, s12
	v_cndmask_b32_e64 v76, v77, v78, s12
	;; [unrolled: 1-line block ×5, first 2 shown]
	s_wait_dscnt 0x0
	v_and_b32_e32 v63, 0xff, v73
	v_and_b32_e32 v64, 0xff, v75
	v_cndmask_b32_e64 v78, v78, v79, s12
	v_cndmask_b32_e64 v57, v57, v58, s8
	;; [unrolled: 1-line block ×3, first 2 shown]
	v_cmp_ge_i32_e64 s8, v77, v19
	v_cmp_lt_u16_e64 s9, v64, v63
	v_cndmask_b32_e64 v51, v51, v52, s6
	v_cndmask_b32_e64 v49, v49, v50, s6
	v_cmp_lt_i32_e64 s6, v78, v20
	v_perm_b32 v46, v46, v47, 0xc0c0004
	v_perm_b32 v45, v48, v45, 0xc0c0004
	;; [unrolled: 1-line block ×4, first 2 shown]
	v_cndmask_b32_e64 v53, v53, v54, s7
	v_cndmask_b32_e64 v54, v55, v56, s7
	s_or_b32 s7, s8, s9
	v_cndmask_b32_e64 v69, v69, v70, s11
	s_wait_alu 0xfffe
	s_and_b32 s6, s6, s7
	v_cndmask_b32_e64 v65, v65, v66, s10
	s_wait_alu 0xfffe
	v_cndmask_b32_e64 v4, v73, v75, s6
	v_lshl_or_b32 v2, v45, 16, v46
	v_lshl_or_b32 v1, v3, 16, v1
	s_wait_loadcnt 0x0
	s_barrier_signal -1
	s_barrier_wait -1
	global_inv scope:SCOPE_SE
	ds_store_b64 v5, v[1:2]
	v_lshlrev_b16 v1, 8, v53
	v_and_b32_e32 v2, 0xff, v51
	v_lshlrev_b16 v3, 8, v61
	v_and_b32_e32 v45, 0xff, v57
	;; [unrolled: 2-line block ×3, first 2 shown]
	v_and_b32_e32 v50, 0xff, v74
	v_lshlrev_b16 v4, 8, v4
	v_cndmask_b32_e64 v47, v77, v78, s6
	v_cndmask_b32_e64 v70, v71, v72, s11
	v_cndmask_b32_e64 v66, v67, v68, s10
	s_wait_loadcnt_dscnt 0x0
	s_barrier_signal -1
	s_barrier_wait -1
	global_inv scope:SCOPE_SE
	v_or_b32_e32 v51, v2, v1
	v_or_b32_e32 v52, v45, v3
	;; [unrolled: 1-line block ×4, first 2 shown]
	ds_load_u8 v1, v49
	ds_load_u8 v45, v47
	ds_load_u8 v2, v54
	ds_load_u8 v3, v58
	ds_load_u8 v4, v62
	ds_load_u8 v46, v66
	ds_load_u8 v47, v70
	ds_load_u8 v48, v76
	v_and_b32_e32 v49, 0xffff, v51
	v_lshlrev_b32_e32 v51, 16, v52
	v_and_b32_e32 v52, 0xffff, v53
	v_lshlrev_b32_e32 v50, 16, v50
	s_wait_loadcnt_dscnt 0x0
	s_barrier_signal -1
	v_or_b32_e32 v49, v49, v51
	s_barrier_wait -1
	v_or_b32_e32 v50, v52, v50
	global_inv scope:SCOPE_SE
	ds_store_b64 v5, v[49:50]
	v_mov_b32_e32 v50, v42
	s_wait_loadcnt_dscnt 0x0
	s_barrier_signal -1
	s_barrier_wait -1
	global_inv scope:SCOPE_SE
	s_and_saveexec_b32 s7, s3
	s_cbranch_execz .LBB99_102
; %bb.99:                               ;   in Loop: Header=BB99_2 Depth=1
	v_dual_mov_b32 v50, v42 :: v_dual_mov_b32 v49, v36
	s_mov_b32 s8, 0
.LBB99_100:                             ;   Parent Loop BB99_2 Depth=1
                                        ; =>  This Inner Loop Header: Depth=2
	s_delay_alu instid0(VALU_DEP_1) | instskip(NEXT) | instid1(VALU_DEP_1)
	v_sub_nc_u32_e32 v51, v49, v50
	v_lshrrev_b32_e32 v51, 1, v51
	s_delay_alu instid0(VALU_DEP_1) | instskip(NEXT) | instid1(VALU_DEP_1)
	v_add_nc_u32_e32 v51, v51, v50
	v_add_nc_u32_e32 v52, v9, v51
	v_xad_u32 v53, v51, -1, v30
	v_add_nc_u32_e32 v54, 1, v51
	ds_load_u8 v52, v52
	ds_load_u8 v53, v53
	s_wait_dscnt 0x0
	v_cmp_lt_u16_e64 s6, v53, v52
	s_wait_alu 0xf1ff
	s_delay_alu instid0(VALU_DEP_1) | instskip(SKIP_1) | instid1(VALU_DEP_1)
	v_cndmask_b32_e64 v49, v49, v51, s6
	v_cndmask_b32_e64 v50, v54, v50, s6
	v_cmp_ge_i32_e64 s6, v50, v49
	s_wait_alu 0xfffe
	s_or_b32 s8, s6, s8
	s_wait_alu 0xfffe
	s_and_not1_b32 exec_lo, exec_lo, s8
	s_cbranch_execnz .LBB99_100
; %bb.101:                              ;   in Loop: Header=BB99_2 Depth=1
	s_or_b32 exec_lo, exec_lo, s8
.LBB99_102:                             ;   in Loop: Header=BB99_2 Depth=1
	s_wait_alu 0xfffe
	s_or_b32 exec_lo, exec_lo, s7
	v_add_nc_u32_e32 v49, v50, v9
	v_sub_nc_u32_e32 v50, v30, v50
	ds_load_u8 v51, v49
	ds_load_u8 v52, v50
	v_cmp_le_i32_e64 s6, v21, v49
	v_cmp_gt_i32_e64 s8, v22, v50
	s_wait_dscnt 0x1
	v_and_b32_e32 v53, 0xff, v51
	s_wait_dscnt 0x0
	v_and_b32_e32 v54, 0xff, v52
	s_delay_alu instid0(VALU_DEP_1)
	v_cmp_lt_u16_e64 s7, v54, v53
                                        ; implicit-def: $vgpr53
	s_or_b32 s6, s6, s7
	s_wait_alu 0xfffe
	s_and_b32 s6, s8, s6
	s_wait_alu 0xfffe
	s_xor_b32 s7, s6, -1
	s_wait_alu 0xfffe
	s_and_saveexec_b32 s8, s7
	s_wait_alu 0xfffe
	s_xor_b32 s7, exec_lo, s8
; %bb.103:                              ;   in Loop: Header=BB99_2 Depth=1
	ds_load_u8 v53, v49 offset:1
; %bb.104:                              ;   in Loop: Header=BB99_2 Depth=1
	s_wait_alu 0xfffe
	s_or_saveexec_b32 s7, s7
	v_mov_b32_e32 v54, v52
	s_wait_alu 0xfffe
	s_xor_b32 exec_lo, exec_lo, s7
	s_cbranch_execz .LBB99_106
; %bb.105:                              ;   in Loop: Header=BB99_2 Depth=1
	ds_load_u8 v54, v50 offset:1
	s_wait_dscnt 0x1
	v_mov_b32_e32 v53, v51
.LBB99_106:                             ;   in Loop: Header=BB99_2 Depth=1
	s_or_b32 exec_lo, exec_lo, s7
	v_add_nc_u32_e32 v55, 1, v49
	v_add_nc_u32_e32 v56, 1, v50
	s_wait_dscnt 0x0
	v_and_b32_e32 v57, 0xff, v53
	v_and_b32_e32 v58, 0xff, v54
	v_cndmask_b32_e64 v55, v55, v49, s6
	v_cndmask_b32_e64 v56, v50, v56, s6
	s_delay_alu instid0(VALU_DEP_3) | instskip(NEXT) | instid1(VALU_DEP_3)
	v_cmp_lt_u16_e64 s8, v58, v57
                                        ; implicit-def: $vgpr57
	v_cmp_ge_i32_e64 s7, v55, v21
	s_delay_alu instid0(VALU_DEP_3)
	v_cmp_lt_i32_e64 s9, v56, v22
	s_or_b32 s7, s7, s8
	s_wait_alu 0xfffe
	s_and_b32 s7, s9, s7
	s_wait_alu 0xfffe
	s_xor_b32 s8, s7, -1
	s_wait_alu 0xfffe
	s_and_saveexec_b32 s9, s8
	s_wait_alu 0xfffe
	s_xor_b32 s8, exec_lo, s9
; %bb.107:                              ;   in Loop: Header=BB99_2 Depth=1
	ds_load_u8 v57, v55 offset:1
; %bb.108:                              ;   in Loop: Header=BB99_2 Depth=1
	s_wait_alu 0xfffe
	s_or_saveexec_b32 s8, s8
	v_mov_b32_e32 v58, v54
	s_wait_alu 0xfffe
	s_xor_b32 exec_lo, exec_lo, s8
	s_cbranch_execz .LBB99_110
; %bb.109:                              ;   in Loop: Header=BB99_2 Depth=1
	ds_load_u8 v58, v56 offset:1
	s_wait_dscnt 0x1
	v_mov_b32_e32 v57, v53
.LBB99_110:                             ;   in Loop: Header=BB99_2 Depth=1
	s_or_b32 exec_lo, exec_lo, s8
	v_add_nc_u32_e32 v59, 1, v55
	v_add_nc_u32_e32 v60, 1, v56
	s_wait_dscnt 0x0
	v_and_b32_e32 v61, 0xff, v57
	v_and_b32_e32 v62, 0xff, v58
	v_cndmask_b32_e64 v59, v59, v55, s7
	v_cndmask_b32_e64 v60, v56, v60, s7
	s_delay_alu instid0(VALU_DEP_3) | instskip(NEXT) | instid1(VALU_DEP_3)
	v_cmp_lt_u16_e64 s9, v62, v61
                                        ; implicit-def: $vgpr61
	v_cmp_ge_i32_e64 s8, v59, v21
	s_delay_alu instid0(VALU_DEP_3)
	v_cmp_lt_i32_e64 s10, v60, v22
	s_or_b32 s8, s8, s9
	s_wait_alu 0xfffe
	s_and_b32 s8, s10, s8
	s_wait_alu 0xfffe
	s_xor_b32 s9, s8, -1
	s_wait_alu 0xfffe
	s_and_saveexec_b32 s10, s9
	s_wait_alu 0xfffe
	s_xor_b32 s9, exec_lo, s10
; %bb.111:                              ;   in Loop: Header=BB99_2 Depth=1
	ds_load_u8 v61, v59 offset:1
; %bb.112:                              ;   in Loop: Header=BB99_2 Depth=1
	s_wait_alu 0xfffe
	s_or_saveexec_b32 s9, s9
	v_mov_b32_e32 v62, v58
	s_wait_alu 0xfffe
	s_xor_b32 exec_lo, exec_lo, s9
	s_cbranch_execz .LBB99_114
; %bb.113:                              ;   in Loop: Header=BB99_2 Depth=1
	ds_load_u8 v62, v60 offset:1
	s_wait_dscnt 0x1
	v_mov_b32_e32 v61, v57
.LBB99_114:                             ;   in Loop: Header=BB99_2 Depth=1
	s_or_b32 exec_lo, exec_lo, s9
	v_add_nc_u32_e32 v63, 1, v59
	v_add_nc_u32_e32 v64, 1, v60
	s_wait_dscnt 0x0
	v_and_b32_e32 v65, 0xff, v61
	v_and_b32_e32 v66, 0xff, v62
	v_cndmask_b32_e64 v63, v63, v59, s8
	v_cndmask_b32_e64 v64, v60, v64, s8
	s_delay_alu instid0(VALU_DEP_3) | instskip(NEXT) | instid1(VALU_DEP_3)
	v_cmp_lt_u16_e64 s10, v66, v65
                                        ; implicit-def: $vgpr65
	v_cmp_ge_i32_e64 s9, v63, v21
	s_delay_alu instid0(VALU_DEP_3)
	v_cmp_lt_i32_e64 s11, v64, v22
	s_or_b32 s9, s9, s10
	s_wait_alu 0xfffe
	s_and_b32 s9, s11, s9
	s_wait_alu 0xfffe
	s_xor_b32 s10, s9, -1
	s_wait_alu 0xfffe
	s_and_saveexec_b32 s11, s10
	s_wait_alu 0xfffe
	s_xor_b32 s10, exec_lo, s11
; %bb.115:                              ;   in Loop: Header=BB99_2 Depth=1
	ds_load_u8 v65, v63 offset:1
; %bb.116:                              ;   in Loop: Header=BB99_2 Depth=1
	s_wait_alu 0xfffe
	s_or_saveexec_b32 s10, s10
	v_mov_b32_e32 v66, v62
	s_wait_alu 0xfffe
	s_xor_b32 exec_lo, exec_lo, s10
	s_cbranch_execz .LBB99_118
; %bb.117:                              ;   in Loop: Header=BB99_2 Depth=1
	ds_load_u8 v66, v64 offset:1
	s_wait_dscnt 0x1
	v_mov_b32_e32 v65, v61
.LBB99_118:                             ;   in Loop: Header=BB99_2 Depth=1
	s_or_b32 exec_lo, exec_lo, s10
	v_add_nc_u32_e32 v67, 1, v63
	v_add_nc_u32_e32 v68, 1, v64
	s_wait_dscnt 0x0
	v_and_b32_e32 v69, 0xff, v65
	v_and_b32_e32 v70, 0xff, v66
	v_cndmask_b32_e64 v67, v67, v63, s9
	v_cndmask_b32_e64 v68, v64, v68, s9
	s_delay_alu instid0(VALU_DEP_3) | instskip(NEXT) | instid1(VALU_DEP_3)
	v_cmp_lt_u16_e64 s11, v70, v69
                                        ; implicit-def: $vgpr69
	v_cmp_ge_i32_e64 s10, v67, v21
	s_delay_alu instid0(VALU_DEP_3)
	v_cmp_lt_i32_e64 s12, v68, v22
	s_or_b32 s10, s10, s11
	s_wait_alu 0xfffe
	s_and_b32 s10, s12, s10
	s_wait_alu 0xfffe
	s_xor_b32 s11, s10, -1
	s_wait_alu 0xfffe
	s_and_saveexec_b32 s12, s11
	s_wait_alu 0xfffe
	s_xor_b32 s11, exec_lo, s12
; %bb.119:                              ;   in Loop: Header=BB99_2 Depth=1
	ds_load_u8 v69, v67 offset:1
; %bb.120:                              ;   in Loop: Header=BB99_2 Depth=1
	s_wait_alu 0xfffe
	s_or_saveexec_b32 s11, s11
	v_mov_b32_e32 v70, v66
	s_wait_alu 0xfffe
	s_xor_b32 exec_lo, exec_lo, s11
	s_cbranch_execz .LBB99_122
; %bb.121:                              ;   in Loop: Header=BB99_2 Depth=1
	ds_load_u8 v70, v68 offset:1
	s_wait_dscnt 0x1
	v_mov_b32_e32 v69, v65
.LBB99_122:                             ;   in Loop: Header=BB99_2 Depth=1
	s_or_b32 exec_lo, exec_lo, s11
	v_add_nc_u32_e32 v71, 1, v67
	v_add_nc_u32_e32 v72, 1, v68
	s_wait_dscnt 0x0
	v_and_b32_e32 v73, 0xff, v69
	v_and_b32_e32 v74, 0xff, v70
	v_cndmask_b32_e64 v71, v71, v67, s10
	v_cndmask_b32_e64 v72, v68, v72, s10
	s_delay_alu instid0(VALU_DEP_3) | instskip(NEXT) | instid1(VALU_DEP_3)
	v_cmp_lt_u16_e64 s12, v74, v73
                                        ; implicit-def: $vgpr74
	v_cmp_ge_i32_e64 s11, v71, v21
	s_delay_alu instid0(VALU_DEP_3)
	v_cmp_lt_i32_e64 s13, v72, v22
	s_or_b32 s11, s11, s12
	s_wait_alu 0xfffe
	s_and_b32 s11, s13, s11
	s_wait_alu 0xfffe
	s_xor_b32 s12, s11, -1
	s_wait_alu 0xfffe
	s_and_saveexec_b32 s13, s12
	s_wait_alu 0xfffe
	s_xor_b32 s12, exec_lo, s13
; %bb.123:                              ;   in Loop: Header=BB99_2 Depth=1
	ds_load_u8 v74, v71 offset:1
; %bb.124:                              ;   in Loop: Header=BB99_2 Depth=1
	s_wait_alu 0xfffe
	s_or_saveexec_b32 s12, s12
	v_mov_b32_e32 v76, v70
	s_wait_alu 0xfffe
	s_xor_b32 exec_lo, exec_lo, s12
	s_cbranch_execz .LBB99_126
; %bb.125:                              ;   in Loop: Header=BB99_2 Depth=1
	ds_load_u8 v76, v72 offset:1
	s_wait_dscnt 0x1
	v_mov_b32_e32 v74, v69
.LBB99_126:                             ;   in Loop: Header=BB99_2 Depth=1
	s_or_b32 exec_lo, exec_lo, s12
	v_add_nc_u32_e32 v73, 1, v71
	v_add_nc_u32_e32 v75, 1, v72
	s_wait_dscnt 0x0
	v_and_b32_e32 v79, 0xff, v74
	s_delay_alu instid0(VALU_DEP_3) | instskip(SKIP_2) | instid1(VALU_DEP_3)
	v_cndmask_b32_e64 v77, v73, v71, s11
	v_and_b32_e32 v73, 0xff, v76
	v_cndmask_b32_e64 v78, v72, v75, s11
	v_cmp_ge_i32_e64 s12, v77, v21
	s_delay_alu instid0(VALU_DEP_3) | instskip(NEXT) | instid1(VALU_DEP_3)
	v_cmp_lt_u16_e64 s13, v73, v79
	v_cmp_lt_i32_e64 s14, v78, v22
                                        ; implicit-def: $vgpr73
	s_or_b32 s12, s12, s13
	s_wait_alu 0xfffe
	s_and_b32 s12, s14, s12
	s_wait_alu 0xfffe
	s_xor_b32 s13, s12, -1
	s_wait_alu 0xfffe
	s_and_saveexec_b32 s14, s13
	s_wait_alu 0xfffe
	s_xor_b32 s13, exec_lo, s14
; %bb.127:                              ;   in Loop: Header=BB99_2 Depth=1
	ds_load_u8 v73, v77 offset:1
; %bb.128:                              ;   in Loop: Header=BB99_2 Depth=1
	s_wait_alu 0xfffe
	s_or_saveexec_b32 s13, s13
	v_mov_b32_e32 v75, v76
	s_wait_alu 0xfffe
	s_xor_b32 exec_lo, exec_lo, s13
	s_cbranch_execz .LBB99_130
; %bb.129:                              ;   in Loop: Header=BB99_2 Depth=1
	ds_load_u8 v75, v78 offset:1
	s_wait_dscnt 0x1
	v_mov_b32_e32 v73, v74
.LBB99_130:                             ;   in Loop: Header=BB99_2 Depth=1
	s_or_b32 exec_lo, exec_lo, s13
	v_add_nc_u32_e32 v80, 1, v77
	v_add_nc_u32_e32 v79, 1, v78
	v_cndmask_b32_e64 v74, v74, v76, s12
	v_cndmask_b32_e64 v76, v77, v78, s12
	;; [unrolled: 1-line block ×5, first 2 shown]
	s_wait_dscnt 0x0
	v_and_b32_e32 v63, 0xff, v73
	v_and_b32_e32 v64, 0xff, v75
	v_cndmask_b32_e64 v78, v78, v79, s12
	v_cndmask_b32_e64 v57, v57, v58, s8
	;; [unrolled: 1-line block ×3, first 2 shown]
	v_cmp_ge_i32_e64 s8, v77, v21
	v_cmp_lt_u16_e64 s9, v64, v63
	v_cndmask_b32_e64 v51, v51, v52, s6
	v_cndmask_b32_e64 v49, v49, v50, s6
	v_cmp_lt_i32_e64 s6, v78, v22
	v_perm_b32 v46, v46, v47, 0xc0c0004
	v_perm_b32 v45, v48, v45, 0xc0c0004
	v_perm_b32 v1, v1, v2, 0xc0c0004
	v_perm_b32 v3, v3, v4, 0xc0c0004
	v_cndmask_b32_e64 v53, v53, v54, s7
	v_cndmask_b32_e64 v54, v55, v56, s7
	s_or_b32 s7, s8, s9
	v_cndmask_b32_e64 v69, v69, v70, s11
	s_wait_alu 0xfffe
	s_and_b32 s6, s6, s7
	v_cndmask_b32_e64 v65, v65, v66, s10
	s_wait_alu 0xfffe
	v_cndmask_b32_e64 v4, v73, v75, s6
	v_lshl_or_b32 v2, v45, 16, v46
	v_lshl_or_b32 v1, v3, 16, v1
	s_wait_loadcnt 0x0
	s_barrier_signal -1
	s_barrier_wait -1
	global_inv scope:SCOPE_SE
	ds_store_b64 v5, v[1:2]
	v_lshlrev_b16 v1, 8, v53
	v_and_b32_e32 v2, 0xff, v51
	v_lshlrev_b16 v3, 8, v61
	v_and_b32_e32 v45, 0xff, v57
	;; [unrolled: 2-line block ×3, first 2 shown]
	v_and_b32_e32 v50, 0xff, v74
	v_lshlrev_b16 v4, 8, v4
	v_cndmask_b32_e64 v47, v77, v78, s6
	v_cndmask_b32_e64 v70, v71, v72, s11
	;; [unrolled: 1-line block ×3, first 2 shown]
	s_wait_loadcnt_dscnt 0x0
	s_barrier_signal -1
	s_barrier_wait -1
	global_inv scope:SCOPE_SE
	v_or_b32_e32 v51, v2, v1
	v_or_b32_e32 v52, v45, v3
	;; [unrolled: 1-line block ×4, first 2 shown]
	ds_load_u8 v1, v49
	ds_load_u8 v45, v47
	;; [unrolled: 1-line block ×8, first 2 shown]
	v_and_b32_e32 v49, 0xffff, v51
	v_lshlrev_b32_e32 v51, 16, v52
	v_and_b32_e32 v52, 0xffff, v53
	v_lshlrev_b32_e32 v50, 16, v50
	s_wait_loadcnt_dscnt 0x0
	s_barrier_signal -1
	v_or_b32_e32 v49, v49, v51
	s_barrier_wait -1
	v_or_b32_e32 v50, v52, v50
	global_inv scope:SCOPE_SE
	ds_store_b64 v5, v[49:50]
	v_mov_b32_e32 v50, v43
	s_wait_loadcnt_dscnt 0x0
	s_barrier_signal -1
	s_barrier_wait -1
	global_inv scope:SCOPE_SE
	s_and_saveexec_b32 s7, s4
	s_cbranch_execz .LBB99_134
; %bb.131:                              ;   in Loop: Header=BB99_2 Depth=1
	v_dual_mov_b32 v50, v43 :: v_dual_mov_b32 v49, v37
	s_mov_b32 s8, 0
.LBB99_132:                             ;   Parent Loop BB99_2 Depth=1
                                        ; =>  This Inner Loop Header: Depth=2
	s_delay_alu instid0(VALU_DEP_1) | instskip(NEXT) | instid1(VALU_DEP_1)
	v_sub_nc_u32_e32 v51, v49, v50
	v_lshrrev_b32_e32 v51, 1, v51
	s_delay_alu instid0(VALU_DEP_1) | instskip(NEXT) | instid1(VALU_DEP_1)
	v_add_nc_u32_e32 v51, v51, v50
	v_add_nc_u32_e32 v52, v10, v51
	v_xad_u32 v53, v51, -1, v31
	v_add_nc_u32_e32 v54, 1, v51
	ds_load_u8 v52, v52
	ds_load_u8 v53, v53
	s_wait_dscnt 0x0
	v_cmp_lt_u16_e64 s6, v53, v52
	s_wait_alu 0xf1ff
	s_delay_alu instid0(VALU_DEP_1) | instskip(SKIP_1) | instid1(VALU_DEP_1)
	v_cndmask_b32_e64 v49, v49, v51, s6
	v_cndmask_b32_e64 v50, v54, v50, s6
	v_cmp_ge_i32_e64 s6, v50, v49
	s_wait_alu 0xfffe
	s_or_b32 s8, s6, s8
	s_wait_alu 0xfffe
	s_and_not1_b32 exec_lo, exec_lo, s8
	s_cbranch_execnz .LBB99_132
; %bb.133:                              ;   in Loop: Header=BB99_2 Depth=1
	s_or_b32 exec_lo, exec_lo, s8
.LBB99_134:                             ;   in Loop: Header=BB99_2 Depth=1
	s_wait_alu 0xfffe
	s_or_b32 exec_lo, exec_lo, s7
	v_add_nc_u32_e32 v49, v50, v10
	v_sub_nc_u32_e32 v50, v31, v50
	ds_load_u8 v51, v49
	ds_load_u8 v52, v50
	v_cmp_le_i32_e64 s6, v23, v49
	v_cmp_gt_i32_e64 s8, v24, v50
	s_wait_dscnt 0x1
	v_and_b32_e32 v53, 0xff, v51
	s_wait_dscnt 0x0
	v_and_b32_e32 v54, 0xff, v52
	s_delay_alu instid0(VALU_DEP_1)
	v_cmp_lt_u16_e64 s7, v54, v53
                                        ; implicit-def: $vgpr53
	s_or_b32 s6, s6, s7
	s_wait_alu 0xfffe
	s_and_b32 s6, s8, s6
	s_wait_alu 0xfffe
	s_xor_b32 s7, s6, -1
	s_wait_alu 0xfffe
	s_and_saveexec_b32 s8, s7
	s_wait_alu 0xfffe
	s_xor_b32 s7, exec_lo, s8
; %bb.135:                              ;   in Loop: Header=BB99_2 Depth=1
	ds_load_u8 v53, v49 offset:1
; %bb.136:                              ;   in Loop: Header=BB99_2 Depth=1
	s_wait_alu 0xfffe
	s_or_saveexec_b32 s7, s7
	v_mov_b32_e32 v54, v52
	s_wait_alu 0xfffe
	s_xor_b32 exec_lo, exec_lo, s7
	s_cbranch_execz .LBB99_138
; %bb.137:                              ;   in Loop: Header=BB99_2 Depth=1
	ds_load_u8 v54, v50 offset:1
	s_wait_dscnt 0x1
	v_mov_b32_e32 v53, v51
.LBB99_138:                             ;   in Loop: Header=BB99_2 Depth=1
	s_or_b32 exec_lo, exec_lo, s7
	v_add_nc_u32_e32 v55, 1, v49
	v_add_nc_u32_e32 v56, 1, v50
	s_wait_dscnt 0x0
	v_and_b32_e32 v57, 0xff, v53
	v_and_b32_e32 v58, 0xff, v54
	v_cndmask_b32_e64 v55, v55, v49, s6
	v_cndmask_b32_e64 v56, v50, v56, s6
	s_delay_alu instid0(VALU_DEP_3) | instskip(NEXT) | instid1(VALU_DEP_3)
	v_cmp_lt_u16_e64 s8, v58, v57
                                        ; implicit-def: $vgpr57
	v_cmp_ge_i32_e64 s7, v55, v23
	s_delay_alu instid0(VALU_DEP_3)
	v_cmp_lt_i32_e64 s9, v56, v24
	s_or_b32 s7, s7, s8
	s_wait_alu 0xfffe
	s_and_b32 s7, s9, s7
	s_wait_alu 0xfffe
	s_xor_b32 s8, s7, -1
	s_wait_alu 0xfffe
	s_and_saveexec_b32 s9, s8
	s_wait_alu 0xfffe
	s_xor_b32 s8, exec_lo, s9
; %bb.139:                              ;   in Loop: Header=BB99_2 Depth=1
	ds_load_u8 v57, v55 offset:1
; %bb.140:                              ;   in Loop: Header=BB99_2 Depth=1
	s_wait_alu 0xfffe
	s_or_saveexec_b32 s8, s8
	v_mov_b32_e32 v58, v54
	s_wait_alu 0xfffe
	s_xor_b32 exec_lo, exec_lo, s8
	s_cbranch_execz .LBB99_142
; %bb.141:                              ;   in Loop: Header=BB99_2 Depth=1
	ds_load_u8 v58, v56 offset:1
	s_wait_dscnt 0x1
	v_mov_b32_e32 v57, v53
.LBB99_142:                             ;   in Loop: Header=BB99_2 Depth=1
	s_or_b32 exec_lo, exec_lo, s8
	v_add_nc_u32_e32 v59, 1, v55
	v_add_nc_u32_e32 v60, 1, v56
	s_wait_dscnt 0x0
	v_and_b32_e32 v61, 0xff, v57
	v_and_b32_e32 v62, 0xff, v58
	v_cndmask_b32_e64 v59, v59, v55, s7
	v_cndmask_b32_e64 v60, v56, v60, s7
	s_delay_alu instid0(VALU_DEP_3) | instskip(NEXT) | instid1(VALU_DEP_3)
	v_cmp_lt_u16_e64 s9, v62, v61
                                        ; implicit-def: $vgpr61
	v_cmp_ge_i32_e64 s8, v59, v23
	s_delay_alu instid0(VALU_DEP_3)
	v_cmp_lt_i32_e64 s10, v60, v24
	s_or_b32 s8, s8, s9
	s_wait_alu 0xfffe
	s_and_b32 s8, s10, s8
	s_wait_alu 0xfffe
	s_xor_b32 s9, s8, -1
	s_wait_alu 0xfffe
	s_and_saveexec_b32 s10, s9
	s_wait_alu 0xfffe
	s_xor_b32 s9, exec_lo, s10
; %bb.143:                              ;   in Loop: Header=BB99_2 Depth=1
	ds_load_u8 v61, v59 offset:1
; %bb.144:                              ;   in Loop: Header=BB99_2 Depth=1
	s_wait_alu 0xfffe
	s_or_saveexec_b32 s9, s9
	v_mov_b32_e32 v62, v58
	s_wait_alu 0xfffe
	s_xor_b32 exec_lo, exec_lo, s9
	s_cbranch_execz .LBB99_146
; %bb.145:                              ;   in Loop: Header=BB99_2 Depth=1
	ds_load_u8 v62, v60 offset:1
	s_wait_dscnt 0x1
	v_mov_b32_e32 v61, v57
.LBB99_146:                             ;   in Loop: Header=BB99_2 Depth=1
	s_or_b32 exec_lo, exec_lo, s9
	v_add_nc_u32_e32 v63, 1, v59
	v_add_nc_u32_e32 v64, 1, v60
	s_wait_dscnt 0x0
	v_and_b32_e32 v65, 0xff, v61
	v_and_b32_e32 v66, 0xff, v62
	v_cndmask_b32_e64 v63, v63, v59, s8
	v_cndmask_b32_e64 v64, v60, v64, s8
	s_delay_alu instid0(VALU_DEP_3) | instskip(NEXT) | instid1(VALU_DEP_3)
	v_cmp_lt_u16_e64 s10, v66, v65
                                        ; implicit-def: $vgpr65
	v_cmp_ge_i32_e64 s9, v63, v23
	s_delay_alu instid0(VALU_DEP_3)
	v_cmp_lt_i32_e64 s11, v64, v24
	s_or_b32 s9, s9, s10
	s_wait_alu 0xfffe
	s_and_b32 s9, s11, s9
	s_wait_alu 0xfffe
	s_xor_b32 s10, s9, -1
	s_wait_alu 0xfffe
	s_and_saveexec_b32 s11, s10
	s_wait_alu 0xfffe
	s_xor_b32 s10, exec_lo, s11
; %bb.147:                              ;   in Loop: Header=BB99_2 Depth=1
	ds_load_u8 v65, v63 offset:1
; %bb.148:                              ;   in Loop: Header=BB99_2 Depth=1
	s_wait_alu 0xfffe
	s_or_saveexec_b32 s10, s10
	v_mov_b32_e32 v66, v62
	s_wait_alu 0xfffe
	s_xor_b32 exec_lo, exec_lo, s10
	s_cbranch_execz .LBB99_150
; %bb.149:                              ;   in Loop: Header=BB99_2 Depth=1
	ds_load_u8 v66, v64 offset:1
	s_wait_dscnt 0x1
	v_mov_b32_e32 v65, v61
.LBB99_150:                             ;   in Loop: Header=BB99_2 Depth=1
	s_or_b32 exec_lo, exec_lo, s10
	v_add_nc_u32_e32 v67, 1, v63
	v_add_nc_u32_e32 v68, 1, v64
	s_wait_dscnt 0x0
	v_and_b32_e32 v69, 0xff, v65
	v_and_b32_e32 v70, 0xff, v66
	v_cndmask_b32_e64 v67, v67, v63, s9
	v_cndmask_b32_e64 v68, v64, v68, s9
	s_delay_alu instid0(VALU_DEP_3) | instskip(NEXT) | instid1(VALU_DEP_3)
	v_cmp_lt_u16_e64 s11, v70, v69
                                        ; implicit-def: $vgpr69
	v_cmp_ge_i32_e64 s10, v67, v23
	s_delay_alu instid0(VALU_DEP_3)
	v_cmp_lt_i32_e64 s12, v68, v24
	s_or_b32 s10, s10, s11
	s_wait_alu 0xfffe
	s_and_b32 s10, s12, s10
	s_wait_alu 0xfffe
	s_xor_b32 s11, s10, -1
	s_wait_alu 0xfffe
	s_and_saveexec_b32 s12, s11
	s_wait_alu 0xfffe
	s_xor_b32 s11, exec_lo, s12
; %bb.151:                              ;   in Loop: Header=BB99_2 Depth=1
	ds_load_u8 v69, v67 offset:1
; %bb.152:                              ;   in Loop: Header=BB99_2 Depth=1
	s_wait_alu 0xfffe
	s_or_saveexec_b32 s11, s11
	v_mov_b32_e32 v70, v66
	s_wait_alu 0xfffe
	s_xor_b32 exec_lo, exec_lo, s11
	s_cbranch_execz .LBB99_154
; %bb.153:                              ;   in Loop: Header=BB99_2 Depth=1
	ds_load_u8 v70, v68 offset:1
	s_wait_dscnt 0x1
	v_mov_b32_e32 v69, v65
.LBB99_154:                             ;   in Loop: Header=BB99_2 Depth=1
	s_or_b32 exec_lo, exec_lo, s11
	v_add_nc_u32_e32 v71, 1, v67
	v_add_nc_u32_e32 v72, 1, v68
	s_wait_dscnt 0x0
	v_and_b32_e32 v73, 0xff, v69
	v_and_b32_e32 v74, 0xff, v70
	v_cndmask_b32_e64 v71, v71, v67, s10
	v_cndmask_b32_e64 v72, v68, v72, s10
	s_delay_alu instid0(VALU_DEP_3) | instskip(NEXT) | instid1(VALU_DEP_3)
	v_cmp_lt_u16_e64 s12, v74, v73
                                        ; implicit-def: $vgpr74
	v_cmp_ge_i32_e64 s11, v71, v23
	s_delay_alu instid0(VALU_DEP_3)
	v_cmp_lt_i32_e64 s13, v72, v24
	s_or_b32 s11, s11, s12
	s_wait_alu 0xfffe
	s_and_b32 s11, s13, s11
	s_wait_alu 0xfffe
	s_xor_b32 s12, s11, -1
	s_wait_alu 0xfffe
	s_and_saveexec_b32 s13, s12
	s_wait_alu 0xfffe
	s_xor_b32 s12, exec_lo, s13
; %bb.155:                              ;   in Loop: Header=BB99_2 Depth=1
	ds_load_u8 v74, v71 offset:1
; %bb.156:                              ;   in Loop: Header=BB99_2 Depth=1
	s_wait_alu 0xfffe
	s_or_saveexec_b32 s12, s12
	v_mov_b32_e32 v76, v70
	s_wait_alu 0xfffe
	s_xor_b32 exec_lo, exec_lo, s12
	s_cbranch_execz .LBB99_158
; %bb.157:                              ;   in Loop: Header=BB99_2 Depth=1
	ds_load_u8 v76, v72 offset:1
	s_wait_dscnt 0x1
	v_mov_b32_e32 v74, v69
.LBB99_158:                             ;   in Loop: Header=BB99_2 Depth=1
	s_or_b32 exec_lo, exec_lo, s12
	v_add_nc_u32_e32 v73, 1, v71
	v_add_nc_u32_e32 v75, 1, v72
	s_wait_dscnt 0x0
	v_and_b32_e32 v79, 0xff, v74
	s_delay_alu instid0(VALU_DEP_3) | instskip(SKIP_2) | instid1(VALU_DEP_3)
	v_cndmask_b32_e64 v77, v73, v71, s11
	v_and_b32_e32 v73, 0xff, v76
	v_cndmask_b32_e64 v78, v72, v75, s11
	v_cmp_ge_i32_e64 s12, v77, v23
	s_delay_alu instid0(VALU_DEP_3) | instskip(NEXT) | instid1(VALU_DEP_3)
	v_cmp_lt_u16_e64 s13, v73, v79
	v_cmp_lt_i32_e64 s14, v78, v24
                                        ; implicit-def: $vgpr73
	s_or_b32 s12, s12, s13
	s_wait_alu 0xfffe
	s_and_b32 s12, s14, s12
	s_wait_alu 0xfffe
	s_xor_b32 s13, s12, -1
	s_wait_alu 0xfffe
	s_and_saveexec_b32 s14, s13
	s_wait_alu 0xfffe
	s_xor_b32 s13, exec_lo, s14
; %bb.159:                              ;   in Loop: Header=BB99_2 Depth=1
	ds_load_u8 v73, v77 offset:1
; %bb.160:                              ;   in Loop: Header=BB99_2 Depth=1
	s_wait_alu 0xfffe
	s_or_saveexec_b32 s13, s13
	v_mov_b32_e32 v75, v76
	s_wait_alu 0xfffe
	s_xor_b32 exec_lo, exec_lo, s13
	s_cbranch_execz .LBB99_162
; %bb.161:                              ;   in Loop: Header=BB99_2 Depth=1
	ds_load_u8 v75, v78 offset:1
	s_wait_dscnt 0x1
	v_mov_b32_e32 v73, v74
.LBB99_162:                             ;   in Loop: Header=BB99_2 Depth=1
	s_or_b32 exec_lo, exec_lo, s13
	v_add_nc_u32_e32 v80, 1, v77
	v_add_nc_u32_e32 v79, 1, v78
	v_cndmask_b32_e64 v74, v74, v76, s12
	v_cndmask_b32_e64 v76, v77, v78, s12
	;; [unrolled: 1-line block ×5, first 2 shown]
	s_wait_dscnt 0x0
	v_and_b32_e32 v63, 0xff, v73
	v_and_b32_e32 v64, 0xff, v75
	v_cndmask_b32_e64 v78, v78, v79, s12
	v_cndmask_b32_e64 v57, v57, v58, s8
	;; [unrolled: 1-line block ×3, first 2 shown]
	v_cmp_ge_i32_e64 s8, v77, v23
	v_cmp_lt_u16_e64 s9, v64, v63
	v_cndmask_b32_e64 v51, v51, v52, s6
	v_cndmask_b32_e64 v49, v49, v50, s6
	v_cmp_lt_i32_e64 s6, v78, v24
	v_perm_b32 v46, v46, v47, 0xc0c0004
	v_perm_b32 v45, v48, v45, 0xc0c0004
	;; [unrolled: 1-line block ×4, first 2 shown]
	v_cndmask_b32_e64 v53, v53, v54, s7
	v_cndmask_b32_e64 v54, v55, v56, s7
	s_or_b32 s7, s8, s9
	v_cndmask_b32_e64 v69, v69, v70, s11
	s_wait_alu 0xfffe
	s_and_b32 s6, s6, s7
	v_cndmask_b32_e64 v65, v65, v66, s10
	s_wait_alu 0xfffe
	v_cndmask_b32_e64 v4, v73, v75, s6
	v_lshl_or_b32 v2, v45, 16, v46
	v_lshl_or_b32 v1, v3, 16, v1
	s_wait_loadcnt 0x0
	s_barrier_signal -1
	s_barrier_wait -1
	global_inv scope:SCOPE_SE
	ds_store_b64 v5, v[1:2]
	v_lshlrev_b16 v1, 8, v53
	v_and_b32_e32 v2, 0xff, v51
	v_lshlrev_b16 v3, 8, v61
	v_and_b32_e32 v45, 0xff, v57
	;; [unrolled: 2-line block ×3, first 2 shown]
	v_and_b32_e32 v50, 0xff, v74
	v_lshlrev_b16 v4, 8, v4
	v_cndmask_b32_e64 v47, v77, v78, s6
	v_cndmask_b32_e64 v70, v71, v72, s11
	;; [unrolled: 1-line block ×3, first 2 shown]
	s_wait_loadcnt_dscnt 0x0
	s_barrier_signal -1
	s_barrier_wait -1
	global_inv scope:SCOPE_SE
	v_or_b32_e32 v51, v2, v1
	v_or_b32_e32 v52, v45, v3
	;; [unrolled: 1-line block ×4, first 2 shown]
	ds_load_u8 v1, v49
	ds_load_u8 v45, v47
	;; [unrolled: 1-line block ×8, first 2 shown]
	v_and_b32_e32 v49, 0xffff, v51
	v_lshlrev_b32_e32 v51, 16, v52
	v_and_b32_e32 v52, 0xffff, v53
	v_lshlrev_b32_e32 v50, 16, v50
	s_wait_loadcnt_dscnt 0x0
	s_barrier_signal -1
	v_or_b32_e32 v49, v49, v51
	s_barrier_wait -1
	v_or_b32_e32 v50, v52, v50
	global_inv scope:SCOPE_SE
	ds_store_b64 v5, v[49:50]
	v_mov_b32_e32 v50, v44
	s_wait_loadcnt_dscnt 0x0
	s_barrier_signal -1
	s_barrier_wait -1
	global_inv scope:SCOPE_SE
	s_and_saveexec_b32 s7, s5
	s_cbranch_execz .LBB99_166
; %bb.163:                              ;   in Loop: Header=BB99_2 Depth=1
	v_dual_mov_b32 v50, v44 :: v_dual_mov_b32 v49, v38
	s_mov_b32 s8, 0
.LBB99_164:                             ;   Parent Loop BB99_2 Depth=1
                                        ; =>  This Inner Loop Header: Depth=2
	s_delay_alu instid0(VALU_DEP_1) | instskip(NEXT) | instid1(VALU_DEP_1)
	v_sub_nc_u32_e32 v51, v49, v50
	v_lshrrev_b32_e32 v51, 1, v51
	s_delay_alu instid0(VALU_DEP_1) | instskip(NEXT) | instid1(VALU_DEP_1)
	v_add_nc_u32_e32 v51, v51, v50
	v_add_nc_u32_e32 v52, v11, v51
	v_xad_u32 v53, v51, -1, v32
	v_add_nc_u32_e32 v54, 1, v51
	ds_load_u8 v52, v52
	ds_load_u8 v53, v53
	s_wait_dscnt 0x0
	v_cmp_lt_u16_e64 s6, v53, v52
	s_wait_alu 0xf1ff
	s_delay_alu instid0(VALU_DEP_1) | instskip(SKIP_1) | instid1(VALU_DEP_1)
	v_cndmask_b32_e64 v49, v49, v51, s6
	v_cndmask_b32_e64 v50, v54, v50, s6
	v_cmp_ge_i32_e64 s6, v50, v49
	s_wait_alu 0xfffe
	s_or_b32 s8, s6, s8
	s_wait_alu 0xfffe
	s_and_not1_b32 exec_lo, exec_lo, s8
	s_cbranch_execnz .LBB99_164
; %bb.165:                              ;   in Loop: Header=BB99_2 Depth=1
	s_or_b32 exec_lo, exec_lo, s8
.LBB99_166:                             ;   in Loop: Header=BB99_2 Depth=1
	s_wait_alu 0xfffe
	s_or_b32 exec_lo, exec_lo, s7
	v_add_nc_u32_e32 v49, v50, v11
	v_sub_nc_u32_e32 v50, v32, v50
	ds_load_u8 v51, v49
	ds_load_u8 v52, v50
	v_cmp_le_i32_e64 s6, v25, v49
	v_cmp_gt_i32_e64 s8, v26, v50
	s_wait_dscnt 0x1
	v_and_b32_e32 v53, 0xff, v51
	s_wait_dscnt 0x0
	v_and_b32_e32 v54, 0xff, v52
	s_delay_alu instid0(VALU_DEP_1)
	v_cmp_lt_u16_e64 s7, v54, v53
                                        ; implicit-def: $vgpr53
	s_or_b32 s6, s6, s7
	s_wait_alu 0xfffe
	s_and_b32 s6, s8, s6
	s_wait_alu 0xfffe
	s_xor_b32 s7, s6, -1
	s_wait_alu 0xfffe
	s_and_saveexec_b32 s8, s7
	s_wait_alu 0xfffe
	s_xor_b32 s7, exec_lo, s8
; %bb.167:                              ;   in Loop: Header=BB99_2 Depth=1
	ds_load_u8 v53, v49 offset:1
; %bb.168:                              ;   in Loop: Header=BB99_2 Depth=1
	s_wait_alu 0xfffe
	s_or_saveexec_b32 s7, s7
	v_mov_b32_e32 v54, v52
	s_wait_alu 0xfffe
	s_xor_b32 exec_lo, exec_lo, s7
	s_cbranch_execz .LBB99_170
; %bb.169:                              ;   in Loop: Header=BB99_2 Depth=1
	ds_load_u8 v54, v50 offset:1
	s_wait_dscnt 0x1
	v_mov_b32_e32 v53, v51
.LBB99_170:                             ;   in Loop: Header=BB99_2 Depth=1
	s_or_b32 exec_lo, exec_lo, s7
	v_add_nc_u32_e32 v55, 1, v49
	v_add_nc_u32_e32 v56, 1, v50
	s_wait_dscnt 0x0
	v_and_b32_e32 v57, 0xff, v53
	v_and_b32_e32 v58, 0xff, v54
	v_cndmask_b32_e64 v55, v55, v49, s6
	v_cndmask_b32_e64 v56, v50, v56, s6
	s_delay_alu instid0(VALU_DEP_3) | instskip(NEXT) | instid1(VALU_DEP_3)
	v_cmp_lt_u16_e64 s8, v58, v57
                                        ; implicit-def: $vgpr57
	v_cmp_ge_i32_e64 s7, v55, v25
	s_delay_alu instid0(VALU_DEP_3)
	v_cmp_lt_i32_e64 s9, v56, v26
	s_or_b32 s7, s7, s8
	s_wait_alu 0xfffe
	s_and_b32 s7, s9, s7
	s_wait_alu 0xfffe
	s_xor_b32 s8, s7, -1
	s_wait_alu 0xfffe
	s_and_saveexec_b32 s9, s8
	s_wait_alu 0xfffe
	s_xor_b32 s8, exec_lo, s9
; %bb.171:                              ;   in Loop: Header=BB99_2 Depth=1
	ds_load_u8 v57, v55 offset:1
; %bb.172:                              ;   in Loop: Header=BB99_2 Depth=1
	s_wait_alu 0xfffe
	s_or_saveexec_b32 s8, s8
	v_mov_b32_e32 v58, v54
	s_wait_alu 0xfffe
	s_xor_b32 exec_lo, exec_lo, s8
	s_cbranch_execz .LBB99_174
; %bb.173:                              ;   in Loop: Header=BB99_2 Depth=1
	ds_load_u8 v58, v56 offset:1
	s_wait_dscnt 0x1
	v_mov_b32_e32 v57, v53
.LBB99_174:                             ;   in Loop: Header=BB99_2 Depth=1
	s_or_b32 exec_lo, exec_lo, s8
	v_add_nc_u32_e32 v59, 1, v55
	v_add_nc_u32_e32 v60, 1, v56
	s_wait_dscnt 0x0
	v_and_b32_e32 v61, 0xff, v57
	v_and_b32_e32 v62, 0xff, v58
	v_cndmask_b32_e64 v59, v59, v55, s7
	v_cndmask_b32_e64 v60, v56, v60, s7
	s_delay_alu instid0(VALU_DEP_3) | instskip(NEXT) | instid1(VALU_DEP_3)
	v_cmp_lt_u16_e64 s9, v62, v61
                                        ; implicit-def: $vgpr61
	v_cmp_ge_i32_e64 s8, v59, v25
	s_delay_alu instid0(VALU_DEP_3)
	v_cmp_lt_i32_e64 s10, v60, v26
	s_or_b32 s8, s8, s9
	s_wait_alu 0xfffe
	s_and_b32 s8, s10, s8
	s_wait_alu 0xfffe
	s_xor_b32 s9, s8, -1
	s_wait_alu 0xfffe
	s_and_saveexec_b32 s10, s9
	s_wait_alu 0xfffe
	s_xor_b32 s9, exec_lo, s10
; %bb.175:                              ;   in Loop: Header=BB99_2 Depth=1
	ds_load_u8 v61, v59 offset:1
; %bb.176:                              ;   in Loop: Header=BB99_2 Depth=1
	s_wait_alu 0xfffe
	s_or_saveexec_b32 s9, s9
	v_mov_b32_e32 v62, v58
	s_wait_alu 0xfffe
	s_xor_b32 exec_lo, exec_lo, s9
	s_cbranch_execz .LBB99_178
; %bb.177:                              ;   in Loop: Header=BB99_2 Depth=1
	ds_load_u8 v62, v60 offset:1
	s_wait_dscnt 0x1
	v_mov_b32_e32 v61, v57
.LBB99_178:                             ;   in Loop: Header=BB99_2 Depth=1
	s_or_b32 exec_lo, exec_lo, s9
	v_add_nc_u32_e32 v63, 1, v59
	v_add_nc_u32_e32 v64, 1, v60
	s_wait_dscnt 0x0
	v_and_b32_e32 v65, 0xff, v61
	v_and_b32_e32 v66, 0xff, v62
	v_cndmask_b32_e64 v63, v63, v59, s8
	v_cndmask_b32_e64 v64, v60, v64, s8
	s_delay_alu instid0(VALU_DEP_3) | instskip(NEXT) | instid1(VALU_DEP_3)
	v_cmp_lt_u16_e64 s10, v66, v65
                                        ; implicit-def: $vgpr65
	v_cmp_ge_i32_e64 s9, v63, v25
	s_delay_alu instid0(VALU_DEP_3)
	v_cmp_lt_i32_e64 s11, v64, v26
	s_or_b32 s9, s9, s10
	s_wait_alu 0xfffe
	s_and_b32 s9, s11, s9
	s_wait_alu 0xfffe
	s_xor_b32 s10, s9, -1
	s_wait_alu 0xfffe
	s_and_saveexec_b32 s11, s10
	s_wait_alu 0xfffe
	s_xor_b32 s10, exec_lo, s11
; %bb.179:                              ;   in Loop: Header=BB99_2 Depth=1
	ds_load_u8 v65, v63 offset:1
; %bb.180:                              ;   in Loop: Header=BB99_2 Depth=1
	s_wait_alu 0xfffe
	s_or_saveexec_b32 s10, s10
	v_mov_b32_e32 v66, v62
	s_wait_alu 0xfffe
	s_xor_b32 exec_lo, exec_lo, s10
	s_cbranch_execz .LBB99_182
; %bb.181:                              ;   in Loop: Header=BB99_2 Depth=1
	ds_load_u8 v66, v64 offset:1
	s_wait_dscnt 0x1
	v_mov_b32_e32 v65, v61
.LBB99_182:                             ;   in Loop: Header=BB99_2 Depth=1
	s_or_b32 exec_lo, exec_lo, s10
	v_add_nc_u32_e32 v67, 1, v63
	v_add_nc_u32_e32 v68, 1, v64
	s_wait_dscnt 0x0
	v_and_b32_e32 v69, 0xff, v65
	v_and_b32_e32 v70, 0xff, v66
	v_cndmask_b32_e64 v67, v67, v63, s9
	v_cndmask_b32_e64 v68, v64, v68, s9
	s_delay_alu instid0(VALU_DEP_3) | instskip(NEXT) | instid1(VALU_DEP_3)
	v_cmp_lt_u16_e64 s11, v70, v69
                                        ; implicit-def: $vgpr69
	v_cmp_ge_i32_e64 s10, v67, v25
	s_delay_alu instid0(VALU_DEP_3)
	v_cmp_lt_i32_e64 s12, v68, v26
	s_or_b32 s10, s10, s11
	s_wait_alu 0xfffe
	s_and_b32 s10, s12, s10
	s_wait_alu 0xfffe
	s_xor_b32 s11, s10, -1
	s_wait_alu 0xfffe
	s_and_saveexec_b32 s12, s11
	s_wait_alu 0xfffe
	s_xor_b32 s11, exec_lo, s12
; %bb.183:                              ;   in Loop: Header=BB99_2 Depth=1
	ds_load_u8 v69, v67 offset:1
; %bb.184:                              ;   in Loop: Header=BB99_2 Depth=1
	s_wait_alu 0xfffe
	s_or_saveexec_b32 s11, s11
	v_mov_b32_e32 v70, v66
	s_wait_alu 0xfffe
	s_xor_b32 exec_lo, exec_lo, s11
	s_cbranch_execz .LBB99_186
; %bb.185:                              ;   in Loop: Header=BB99_2 Depth=1
	ds_load_u8 v70, v68 offset:1
	s_wait_dscnt 0x1
	v_mov_b32_e32 v69, v65
.LBB99_186:                             ;   in Loop: Header=BB99_2 Depth=1
	s_or_b32 exec_lo, exec_lo, s11
	v_add_nc_u32_e32 v71, 1, v67
	v_add_nc_u32_e32 v72, 1, v68
	s_wait_dscnt 0x0
	v_and_b32_e32 v73, 0xff, v69
	v_and_b32_e32 v74, 0xff, v70
	v_cndmask_b32_e64 v71, v71, v67, s10
	v_cndmask_b32_e64 v72, v68, v72, s10
	s_delay_alu instid0(VALU_DEP_3) | instskip(NEXT) | instid1(VALU_DEP_3)
	v_cmp_lt_u16_e64 s12, v74, v73
                                        ; implicit-def: $vgpr74
	v_cmp_ge_i32_e64 s11, v71, v25
	s_delay_alu instid0(VALU_DEP_3)
	v_cmp_lt_i32_e64 s13, v72, v26
	s_or_b32 s11, s11, s12
	s_wait_alu 0xfffe
	s_and_b32 s11, s13, s11
	s_wait_alu 0xfffe
	s_xor_b32 s12, s11, -1
	s_wait_alu 0xfffe
	s_and_saveexec_b32 s13, s12
	s_wait_alu 0xfffe
	s_xor_b32 s12, exec_lo, s13
; %bb.187:                              ;   in Loop: Header=BB99_2 Depth=1
	ds_load_u8 v74, v71 offset:1
; %bb.188:                              ;   in Loop: Header=BB99_2 Depth=1
	s_wait_alu 0xfffe
	s_or_saveexec_b32 s12, s12
	v_mov_b32_e32 v76, v70
	s_wait_alu 0xfffe
	s_xor_b32 exec_lo, exec_lo, s12
	s_cbranch_execz .LBB99_190
; %bb.189:                              ;   in Loop: Header=BB99_2 Depth=1
	ds_load_u8 v76, v72 offset:1
	s_wait_dscnt 0x1
	v_mov_b32_e32 v74, v69
.LBB99_190:                             ;   in Loop: Header=BB99_2 Depth=1
	s_or_b32 exec_lo, exec_lo, s12
	v_add_nc_u32_e32 v73, 1, v71
	v_add_nc_u32_e32 v75, 1, v72
	s_wait_dscnt 0x0
	v_and_b32_e32 v79, 0xff, v74
	s_delay_alu instid0(VALU_DEP_3) | instskip(SKIP_2) | instid1(VALU_DEP_3)
	v_cndmask_b32_e64 v77, v73, v71, s11
	v_and_b32_e32 v73, 0xff, v76
	v_cndmask_b32_e64 v78, v72, v75, s11
	v_cmp_ge_i32_e64 s12, v77, v25
	s_delay_alu instid0(VALU_DEP_3) | instskip(NEXT) | instid1(VALU_DEP_3)
	v_cmp_lt_u16_e64 s13, v73, v79
	v_cmp_lt_i32_e64 s14, v78, v26
                                        ; implicit-def: $vgpr73
	s_or_b32 s12, s12, s13
	s_wait_alu 0xfffe
	s_and_b32 s12, s14, s12
	s_wait_alu 0xfffe
	s_xor_b32 s13, s12, -1
	s_wait_alu 0xfffe
	s_and_saveexec_b32 s14, s13
	s_wait_alu 0xfffe
	s_xor_b32 s13, exec_lo, s14
; %bb.191:                              ;   in Loop: Header=BB99_2 Depth=1
	ds_load_u8 v73, v77 offset:1
; %bb.192:                              ;   in Loop: Header=BB99_2 Depth=1
	s_wait_alu 0xfffe
	s_or_saveexec_b32 s13, s13
	v_mov_b32_e32 v75, v76
	s_wait_alu 0xfffe
	s_xor_b32 exec_lo, exec_lo, s13
	s_cbranch_execz .LBB99_194
; %bb.193:                              ;   in Loop: Header=BB99_2 Depth=1
	ds_load_u8 v75, v78 offset:1
	s_wait_dscnt 0x1
	v_mov_b32_e32 v73, v74
.LBB99_194:                             ;   in Loop: Header=BB99_2 Depth=1
	s_or_b32 exec_lo, exec_lo, s13
	v_add_nc_u32_e32 v80, 1, v77
	v_add_nc_u32_e32 v79, 1, v78
	v_cndmask_b32_e64 v74, v74, v76, s12
	v_cndmask_b32_e64 v76, v77, v78, s12
	;; [unrolled: 1-line block ×5, first 2 shown]
	s_wait_dscnt 0x0
	v_and_b32_e32 v63, 0xff, v73
	v_and_b32_e32 v64, 0xff, v75
	v_cndmask_b32_e64 v78, v78, v79, s12
	v_cndmask_b32_e64 v57, v57, v58, s8
	;; [unrolled: 1-line block ×3, first 2 shown]
	v_cmp_ge_i32_e64 s8, v77, v25
	v_cmp_lt_u16_e64 s9, v64, v63
	v_cndmask_b32_e64 v51, v51, v52, s6
	v_cndmask_b32_e64 v49, v49, v50, s6
	v_cmp_lt_i32_e64 s6, v78, v26
	v_perm_b32 v46, v46, v47, 0xc0c0004
	v_perm_b32 v45, v48, v45, 0xc0c0004
	;; [unrolled: 1-line block ×4, first 2 shown]
	v_cndmask_b32_e64 v53, v53, v54, s7
	v_cndmask_b32_e64 v54, v55, v56, s7
	s_or_b32 s7, s8, s9
	v_cndmask_b32_e64 v69, v69, v70, s11
	s_wait_alu 0xfffe
	s_and_b32 s6, s6, s7
	v_cndmask_b32_e64 v65, v65, v66, s10
	s_wait_alu 0xfffe
	v_cndmask_b32_e64 v4, v73, v75, s6
	v_lshl_or_b32 v2, v45, 16, v46
	v_lshl_or_b32 v1, v3, 16, v1
	s_wait_loadcnt 0x0
	s_barrier_signal -1
	s_barrier_wait -1
	global_inv scope:SCOPE_SE
	ds_store_b64 v5, v[1:2]
	v_lshlrev_b16 v1, 8, v53
	v_and_b32_e32 v2, 0xff, v51
	v_lshlrev_b16 v3, 8, v61
	v_and_b32_e32 v45, 0xff, v57
	;; [unrolled: 2-line block ×3, first 2 shown]
	v_and_b32_e32 v50, 0xff, v74
	v_lshlrev_b16 v4, 8, v4
	v_cndmask_b32_e64 v47, v77, v78, s6
	v_cndmask_b32_e64 v70, v71, v72, s11
	;; [unrolled: 1-line block ×3, first 2 shown]
	s_wait_loadcnt_dscnt 0x0
	s_barrier_signal -1
	s_barrier_wait -1
	global_inv scope:SCOPE_SE
	v_or_b32_e32 v51, v2, v1
	v_or_b32_e32 v52, v45, v3
	;; [unrolled: 1-line block ×4, first 2 shown]
	ds_load_u8 v1, v49
	ds_load_u8 v45, v47
	;; [unrolled: 1-line block ×8, first 2 shown]
	v_and_b32_e32 v49, 0xffff, v51
	v_lshlrev_b32_e32 v51, 16, v52
	v_and_b32_e32 v52, 0xffff, v53
	v_lshlrev_b32_e32 v50, 16, v50
	s_wait_loadcnt_dscnt 0x0
	s_barrier_signal -1
	v_or_b32_e32 v49, v49, v51
	s_barrier_wait -1
	v_or_b32_e32 v50, v52, v50
	global_inv scope:SCOPE_SE
	ds_store_b64 v5, v[49:50]
	v_mov_b32_e32 v49, v12
	s_wait_loadcnt_dscnt 0x0
	s_barrier_signal -1
	s_barrier_wait -1
	global_inv scope:SCOPE_SE
	s_and_saveexec_b32 s7, vcc_lo
	s_cbranch_execz .LBB99_198
; %bb.195:                              ;   in Loop: Header=BB99_2 Depth=1
	v_dual_mov_b32 v49, v12 :: v_dual_mov_b32 v50, v13
	s_mov_b32 s8, 0
.LBB99_196:                             ;   Parent Loop BB99_2 Depth=1
                                        ; =>  This Inner Loop Header: Depth=2
	s_delay_alu instid0(VALU_DEP_1) | instskip(NEXT) | instid1(VALU_DEP_1)
	v_sub_nc_u32_e32 v51, v50, v49
	v_lshrrev_b32_e32 v51, 1, v51
	s_delay_alu instid0(VALU_DEP_1) | instskip(NEXT) | instid1(VALU_DEP_1)
	v_add_nc_u32_e32 v51, v51, v49
	v_xad_u32 v52, v51, -1, v14
	v_add_nc_u32_e32 v54, 1, v51
	ds_load_u8 v53, v51
	ds_load_u8 v52, v52
	s_wait_dscnt 0x0
	v_cmp_lt_u16_e64 s6, v52, v53
	s_wait_alu 0xf1ff
	s_delay_alu instid0(VALU_DEP_1) | instskip(SKIP_1) | instid1(VALU_DEP_1)
	v_cndmask_b32_e64 v50, v50, v51, s6
	v_cndmask_b32_e64 v49, v54, v49, s6
	v_cmp_ge_i32_e64 s6, v49, v50
	s_wait_alu 0xfffe
	s_or_b32 s8, s6, s8
	s_wait_alu 0xfffe
	s_and_not1_b32 exec_lo, exec_lo, s8
	s_cbranch_execnz .LBB99_196
; %bb.197:                              ;   in Loop: Header=BB99_2 Depth=1
	s_or_b32 exec_lo, exec_lo, s8
.LBB99_198:                             ;   in Loop: Header=BB99_2 Depth=1
	s_wait_alu 0xfffe
	s_or_b32 exec_lo, exec_lo, s7
	v_sub_nc_u32_e32 v50, v14, v49
	v_cmp_le_i32_e64 s6, 0x200, v49
	ds_load_u8 v51, v49
	ds_load_u8 v52, v50
	v_cmp_gt_i32_e64 s8, 0x400, v50
	s_wait_dscnt 0x1
	v_and_b32_e32 v53, 0xff, v51
	s_wait_dscnt 0x0
	v_and_b32_e32 v54, 0xff, v52
	s_delay_alu instid0(VALU_DEP_1)
	v_cmp_lt_u16_e64 s7, v54, v53
                                        ; implicit-def: $vgpr53
	s_or_b32 s6, s6, s7
	s_wait_alu 0xfffe
	s_and_b32 s6, s8, s6
	s_wait_alu 0xfffe
	s_xor_b32 s7, s6, -1
	s_wait_alu 0xfffe
	s_and_saveexec_b32 s8, s7
	s_wait_alu 0xfffe
	s_xor_b32 s7, exec_lo, s8
; %bb.199:                              ;   in Loop: Header=BB99_2 Depth=1
	ds_load_u8 v53, v49 offset:1
; %bb.200:                              ;   in Loop: Header=BB99_2 Depth=1
	s_wait_alu 0xfffe
	s_or_saveexec_b32 s7, s7
	v_mov_b32_e32 v56, v52
	s_wait_alu 0xfffe
	s_xor_b32 exec_lo, exec_lo, s7
	s_cbranch_execz .LBB99_202
; %bb.201:                              ;   in Loop: Header=BB99_2 Depth=1
	ds_load_u8 v56, v50 offset:1
	s_wait_dscnt 0x1
	v_mov_b32_e32 v53, v51
.LBB99_202:                             ;   in Loop: Header=BB99_2 Depth=1
	s_or_b32 exec_lo, exec_lo, s7
	v_add_nc_u32_e32 v54, 1, v49
	v_add_nc_u32_e32 v55, 1, v50
	s_wait_dscnt 0x0
	v_and_b32_e32 v57, 0xff, v53
	v_and_b32_e32 v58, 0xff, v56
	v_cndmask_b32_e64 v54, v54, v49, s6
	v_cndmask_b32_e64 v55, v50, v55, s6
	s_delay_alu instid0(VALU_DEP_3) | instskip(NEXT) | instid1(VALU_DEP_3)
	v_cmp_lt_u16_e64 s8, v58, v57
                                        ; implicit-def: $vgpr57
	v_cmp_le_i32_e64 s7, 0x200, v54
	s_delay_alu instid0(VALU_DEP_3)
	v_cmp_gt_i32_e64 s9, 0x400, v55
	s_or_b32 s7, s7, s8
	s_wait_alu 0xfffe
	s_and_b32 s7, s9, s7
	s_wait_alu 0xfffe
	s_xor_b32 s8, s7, -1
	s_wait_alu 0xfffe
	s_and_saveexec_b32 s9, s8
	s_wait_alu 0xfffe
	s_xor_b32 s8, exec_lo, s9
; %bb.203:                              ;   in Loop: Header=BB99_2 Depth=1
	ds_load_u8 v57, v54 offset:1
; %bb.204:                              ;   in Loop: Header=BB99_2 Depth=1
	s_wait_alu 0xfffe
	s_or_saveexec_b32 s8, s8
	v_mov_b32_e32 v59, v56
	s_wait_alu 0xfffe
	s_xor_b32 exec_lo, exec_lo, s8
	s_cbranch_execz .LBB99_206
; %bb.205:                              ;   in Loop: Header=BB99_2 Depth=1
	ds_load_u8 v59, v55 offset:1
	s_wait_dscnt 0x1
	v_mov_b32_e32 v57, v53
.LBB99_206:                             ;   in Loop: Header=BB99_2 Depth=1
	s_or_b32 exec_lo, exec_lo, s8
	v_add_nc_u32_e32 v58, 1, v54
	v_add_nc_u32_e32 v60, 1, v55
	s_wait_dscnt 0x0
	v_and_b32_e32 v61, 0xff, v57
	v_and_b32_e32 v62, 0xff, v59
	v_cndmask_b32_e64 v58, v58, v54, s7
	v_cndmask_b32_e64 v60, v55, v60, s7
	s_delay_alu instid0(VALU_DEP_3) | instskip(NEXT) | instid1(VALU_DEP_3)
	v_cmp_lt_u16_e64 s9, v62, v61
                                        ; implicit-def: $vgpr61
	v_cmp_le_i32_e64 s8, 0x200, v58
	s_delay_alu instid0(VALU_DEP_3)
	v_cmp_gt_i32_e64 s10, 0x400, v60
	s_or_b32 s8, s8, s9
	s_wait_alu 0xfffe
	s_and_b32 s8, s10, s8
	s_wait_alu 0xfffe
	s_xor_b32 s9, s8, -1
	s_wait_alu 0xfffe
	s_and_saveexec_b32 s10, s9
	s_wait_alu 0xfffe
	s_xor_b32 s9, exec_lo, s10
; %bb.207:                              ;   in Loop: Header=BB99_2 Depth=1
	ds_load_u8 v61, v58 offset:1
; %bb.208:                              ;   in Loop: Header=BB99_2 Depth=1
	s_wait_alu 0xfffe
	s_or_saveexec_b32 s9, s9
	v_mov_b32_e32 v62, v59
	s_wait_alu 0xfffe
	s_xor_b32 exec_lo, exec_lo, s9
	s_cbranch_execz .LBB99_210
; %bb.209:                              ;   in Loop: Header=BB99_2 Depth=1
	ds_load_u8 v62, v60 offset:1
	s_wait_dscnt 0x1
	v_mov_b32_e32 v61, v57
.LBB99_210:                             ;   in Loop: Header=BB99_2 Depth=1
	s_or_b32 exec_lo, exec_lo, s9
	v_add_nc_u32_e32 v63, 1, v58
	v_add_nc_u32_e32 v64, 1, v60
	s_wait_dscnt 0x0
	v_and_b32_e32 v65, 0xff, v61
	v_and_b32_e32 v66, 0xff, v62
	v_cndmask_b32_e64 v63, v63, v58, s8
	v_cndmask_b32_e64 v64, v60, v64, s8
	s_delay_alu instid0(VALU_DEP_3) | instskip(NEXT) | instid1(VALU_DEP_3)
	v_cmp_lt_u16_e64 s10, v66, v65
                                        ; implicit-def: $vgpr65
	v_cmp_le_i32_e64 s9, 0x200, v63
	s_delay_alu instid0(VALU_DEP_3)
	v_cmp_gt_i32_e64 s11, 0x400, v64
	s_or_b32 s9, s9, s10
	s_wait_alu 0xfffe
	s_and_b32 s9, s11, s9
	s_wait_alu 0xfffe
	s_xor_b32 s10, s9, -1
	s_wait_alu 0xfffe
	s_and_saveexec_b32 s11, s10
	s_wait_alu 0xfffe
	s_xor_b32 s10, exec_lo, s11
; %bb.211:                              ;   in Loop: Header=BB99_2 Depth=1
	ds_load_u8 v65, v63 offset:1
; %bb.212:                              ;   in Loop: Header=BB99_2 Depth=1
	s_wait_alu 0xfffe
	s_or_saveexec_b32 s10, s10
	v_mov_b32_e32 v66, v62
	s_wait_alu 0xfffe
	s_xor_b32 exec_lo, exec_lo, s10
	s_cbranch_execz .LBB99_214
; %bb.213:                              ;   in Loop: Header=BB99_2 Depth=1
	ds_load_u8 v66, v64 offset:1
	s_wait_dscnt 0x1
	v_mov_b32_e32 v65, v61
.LBB99_214:                             ;   in Loop: Header=BB99_2 Depth=1
	s_or_b32 exec_lo, exec_lo, s10
	v_add_nc_u32_e32 v67, 1, v63
	v_add_nc_u32_e32 v68, 1, v64
	s_wait_dscnt 0x0
	v_and_b32_e32 v69, 0xff, v65
	v_and_b32_e32 v70, 0xff, v66
	v_cndmask_b32_e64 v67, v67, v63, s9
	v_cndmask_b32_e64 v68, v64, v68, s9
	s_delay_alu instid0(VALU_DEP_3) | instskip(NEXT) | instid1(VALU_DEP_3)
	v_cmp_lt_u16_e64 s11, v70, v69
                                        ; implicit-def: $vgpr69
	v_cmp_le_i32_e64 s10, 0x200, v67
	s_delay_alu instid0(VALU_DEP_3)
	v_cmp_gt_i32_e64 s12, 0x400, v68
	s_or_b32 s10, s10, s11
	s_wait_alu 0xfffe
	s_and_b32 s10, s12, s10
	s_wait_alu 0xfffe
	s_xor_b32 s11, s10, -1
	s_wait_alu 0xfffe
	s_and_saveexec_b32 s12, s11
	s_wait_alu 0xfffe
	s_xor_b32 s11, exec_lo, s12
; %bb.215:                              ;   in Loop: Header=BB99_2 Depth=1
	ds_load_u8 v69, v67 offset:1
; %bb.216:                              ;   in Loop: Header=BB99_2 Depth=1
	s_wait_alu 0xfffe
	s_or_saveexec_b32 s11, s11
	v_mov_b32_e32 v70, v66
	s_wait_alu 0xfffe
	s_xor_b32 exec_lo, exec_lo, s11
	s_cbranch_execz .LBB99_218
; %bb.217:                              ;   in Loop: Header=BB99_2 Depth=1
	ds_load_u8 v70, v68 offset:1
	s_wait_dscnt 0x1
	v_mov_b32_e32 v69, v65
.LBB99_218:                             ;   in Loop: Header=BB99_2 Depth=1
	s_or_b32 exec_lo, exec_lo, s11
	v_add_nc_u32_e32 v71, 1, v67
	v_add_nc_u32_e32 v73, 1, v68
	s_wait_dscnt 0x0
	v_and_b32_e32 v74, 0xff, v69
	s_delay_alu instid0(VALU_DEP_3) | instskip(SKIP_2) | instid1(VALU_DEP_3)
	v_cndmask_b32_e64 v72, v71, v67, s10
	v_and_b32_e32 v71, 0xff, v70
	v_cndmask_b32_e64 v73, v68, v73, s10
	v_cmp_le_i32_e64 s11, 0x200, v72
	s_delay_alu instid0(VALU_DEP_3) | instskip(NEXT) | instid1(VALU_DEP_3)
	v_cmp_lt_u16_e64 s12, v71, v74
	v_cmp_gt_i32_e64 s13, 0x400, v73
                                        ; implicit-def: $vgpr74
	s_or_b32 s11, s11, s12
	s_wait_alu 0xfffe
	s_and_b32 s11, s13, s11
	s_wait_alu 0xfffe
	s_xor_b32 s12, s11, -1
	s_wait_alu 0xfffe
	s_and_saveexec_b32 s13, s12
	s_wait_alu 0xfffe
	s_xor_b32 s12, exec_lo, s13
; %bb.219:                              ;   in Loop: Header=BB99_2 Depth=1
	ds_load_u8 v74, v72 offset:1
; %bb.220:                              ;   in Loop: Header=BB99_2 Depth=1
	s_wait_alu 0xfffe
	s_or_saveexec_b32 s12, s12
	v_mov_b32_e32 v77, v70
	s_wait_alu 0xfffe
	s_xor_b32 exec_lo, exec_lo, s12
	s_cbranch_execz .LBB99_222
; %bb.221:                              ;   in Loop: Header=BB99_2 Depth=1
	ds_load_u8 v77, v73 offset:1
	s_wait_dscnt 0x1
	v_mov_b32_e32 v74, v69
.LBB99_222:                             ;   in Loop: Header=BB99_2 Depth=1
	s_or_b32 exec_lo, exec_lo, s12
	v_add_nc_u32_e32 v71, 1, v72
	v_add_nc_u32_e32 v75, 1, v73
	s_wait_dscnt 0x0
	v_and_b32_e32 v76, 0xff, v74
	v_and_b32_e32 v78, 0xff, v77
                                        ; implicit-def: $vgpr79
	v_cndmask_b32_e64 v71, v71, v72, s11
	v_cndmask_b32_e64 v75, v73, v75, s11
	s_delay_alu instid0(VALU_DEP_3) | instskip(NEXT) | instid1(VALU_DEP_3)
	v_cmp_lt_u16_e64 s13, v78, v76
                                        ; implicit-def: $vgpr78
	v_cmp_le_i32_e64 s12, 0x200, v71
	s_delay_alu instid0(VALU_DEP_3)
	v_cmp_gt_i32_e64 s14, 0x400, v75
	s_or_b32 s12, s12, s13
	s_wait_alu 0xfffe
	s_and_b32 s12, s14, s12
	s_wait_alu 0xfffe
	s_xor_b32 s13, s12, -1
	s_wait_alu 0xfffe
	s_and_saveexec_b32 s14, s13
	s_wait_alu 0xfffe
	s_xor_b32 s13, exec_lo, s14
; %bb.223:                              ;   in Loop: Header=BB99_2 Depth=1
	ds_load_u8 v79, v71 offset:1
	v_add_nc_u32_e32 v78, 1, v71
; %bb.224:                              ;   in Loop: Header=BB99_2 Depth=1
	s_wait_alu 0xfffe
	s_or_saveexec_b32 s13, s13
	v_mov_b32_e32 v76, v71
	v_mov_b32_e32 v80, v77
	s_wait_alu 0xfffe
	s_xor_b32 exec_lo, exec_lo, s13
	s_cbranch_execz .LBB99_1
; %bb.225:                              ;   in Loop: Header=BB99_2 Depth=1
	ds_load_u8 v80, v75 offset:1
	s_wait_dscnt 0x1
	v_dual_mov_b32 v76, v75 :: v_dual_add_nc_u32 v79, 1, v75
	s_delay_alu instid0(VALU_DEP_1)
	v_dual_mov_b32 v78, v71 :: v_dual_mov_b32 v75, v79
	v_mov_b32_e32 v79, v74
	s_branch .LBB99_1
.LBB99_226:
	s_add_nc_u64 s[0:1], s[46:47], s[48:49]
	v_add_nc_u16 v2, v71, v46
	s_wait_alu 0xfffe
	v_add_co_u32 v0, s0, s0, v0
	s_wait_alu 0xf1ff
	v_add_co_ci_u32_e64 v1, null, s1, 0, s0
	v_add_nc_u16 v5, v56, v50
	v_add_nc_u16 v6, v57, v54
	;; [unrolled: 1-line block ×7, first 2 shown]
	s_clause 0x7
	global_store_b8 v[0:1], v2, off
	global_store_b8 v[0:1], v5, off offset:128
	global_store_b8 v[0:1], v6, off offset:256
	global_store_b8 v[0:1], v7, off offset:384
	global_store_b8 v[0:1], v8, off offset:512
	global_store_b8 v[0:1], v9, off offset:640
	global_store_b8 v[0:1], v4, off offset:768
	global_store_b8 v[0:1], v3, off offset:896
	s_endpgm
	.section	.rodata,"a",@progbits
	.p2align	6, 0x0
	.amdhsa_kernel _Z17sort_pairs_kernelIhLj128ELj8EN10test_utils4lessELj10EEvPKT_PS2_T2_
		.amdhsa_group_segment_fixed_size 1025
		.amdhsa_private_segment_fixed_size 0
		.amdhsa_kernarg_size 20
		.amdhsa_user_sgpr_count 2
		.amdhsa_user_sgpr_dispatch_ptr 0
		.amdhsa_user_sgpr_queue_ptr 0
		.amdhsa_user_sgpr_kernarg_segment_ptr 1
		.amdhsa_user_sgpr_dispatch_id 0
		.amdhsa_user_sgpr_private_segment_size 0
		.amdhsa_wavefront_size32 1
		.amdhsa_uses_dynamic_stack 0
		.amdhsa_enable_private_segment 0
		.amdhsa_system_sgpr_workgroup_id_x 1
		.amdhsa_system_sgpr_workgroup_id_y 0
		.amdhsa_system_sgpr_workgroup_id_z 0
		.amdhsa_system_sgpr_workgroup_info 0
		.amdhsa_system_vgpr_workitem_id 0
		.amdhsa_next_free_vgpr 81
		.amdhsa_next_free_sgpr 50
		.amdhsa_reserve_vcc 1
		.amdhsa_float_round_mode_32 0
		.amdhsa_float_round_mode_16_64 0
		.amdhsa_float_denorm_mode_32 3
		.amdhsa_float_denorm_mode_16_64 3
		.amdhsa_fp16_overflow 0
		.amdhsa_workgroup_processor_mode 1
		.amdhsa_memory_ordered 1
		.amdhsa_forward_progress 1
		.amdhsa_inst_pref_size 135
		.amdhsa_round_robin_scheduling 0
		.amdhsa_exception_fp_ieee_invalid_op 0
		.amdhsa_exception_fp_denorm_src 0
		.amdhsa_exception_fp_ieee_div_zero 0
		.amdhsa_exception_fp_ieee_overflow 0
		.amdhsa_exception_fp_ieee_underflow 0
		.amdhsa_exception_fp_ieee_inexact 0
		.amdhsa_exception_int_div_zero 0
	.end_amdhsa_kernel
	.section	.text._Z17sort_pairs_kernelIhLj128ELj8EN10test_utils4lessELj10EEvPKT_PS2_T2_,"axG",@progbits,_Z17sort_pairs_kernelIhLj128ELj8EN10test_utils4lessELj10EEvPKT_PS2_T2_,comdat
.Lfunc_end99:
	.size	_Z17sort_pairs_kernelIhLj128ELj8EN10test_utils4lessELj10EEvPKT_PS2_T2_, .Lfunc_end99-_Z17sort_pairs_kernelIhLj128ELj8EN10test_utils4lessELj10EEvPKT_PS2_T2_
                                        ; -- End function
	.set _Z17sort_pairs_kernelIhLj128ELj8EN10test_utils4lessELj10EEvPKT_PS2_T2_.num_vgpr, 81
	.set _Z17sort_pairs_kernelIhLj128ELj8EN10test_utils4lessELj10EEvPKT_PS2_T2_.num_agpr, 0
	.set _Z17sort_pairs_kernelIhLj128ELj8EN10test_utils4lessELj10EEvPKT_PS2_T2_.numbered_sgpr, 50
	.set _Z17sort_pairs_kernelIhLj128ELj8EN10test_utils4lessELj10EEvPKT_PS2_T2_.num_named_barrier, 0
	.set _Z17sort_pairs_kernelIhLj128ELj8EN10test_utils4lessELj10EEvPKT_PS2_T2_.private_seg_size, 0
	.set _Z17sort_pairs_kernelIhLj128ELj8EN10test_utils4lessELj10EEvPKT_PS2_T2_.uses_vcc, 1
	.set _Z17sort_pairs_kernelIhLj128ELj8EN10test_utils4lessELj10EEvPKT_PS2_T2_.uses_flat_scratch, 0
	.set _Z17sort_pairs_kernelIhLj128ELj8EN10test_utils4lessELj10EEvPKT_PS2_T2_.has_dyn_sized_stack, 0
	.set _Z17sort_pairs_kernelIhLj128ELj8EN10test_utils4lessELj10EEvPKT_PS2_T2_.has_recursion, 0
	.set _Z17sort_pairs_kernelIhLj128ELj8EN10test_utils4lessELj10EEvPKT_PS2_T2_.has_indirect_call, 0
	.section	.AMDGPU.csdata,"",@progbits
; Kernel info:
; codeLenInByte = 17272
; TotalNumSgprs: 52
; NumVgprs: 81
; ScratchSize: 0
; MemoryBound: 0
; FloatMode: 240
; IeeeMode: 1
; LDSByteSize: 1025 bytes/workgroup (compile time only)
; SGPRBlocks: 0
; VGPRBlocks: 10
; NumSGPRsForWavesPerEU: 52
; NumVGPRsForWavesPerEU: 81
; Occupancy: 16
; WaveLimiterHint : 1
; COMPUTE_PGM_RSRC2:SCRATCH_EN: 0
; COMPUTE_PGM_RSRC2:USER_SGPR: 2
; COMPUTE_PGM_RSRC2:TRAP_HANDLER: 0
; COMPUTE_PGM_RSRC2:TGID_X_EN: 1
; COMPUTE_PGM_RSRC2:TGID_Y_EN: 0
; COMPUTE_PGM_RSRC2:TGID_Z_EN: 0
; COMPUTE_PGM_RSRC2:TIDIG_COMP_CNT: 0
	.section	.text._Z16sort_keys_kernelIhLj256ELj1EN10test_utils4lessELj10EEvPKT_PS2_T2_,"axG",@progbits,_Z16sort_keys_kernelIhLj256ELj1EN10test_utils4lessELj10EEvPKT_PS2_T2_,comdat
	.protected	_Z16sort_keys_kernelIhLj256ELj1EN10test_utils4lessELj10EEvPKT_PS2_T2_ ; -- Begin function _Z16sort_keys_kernelIhLj256ELj1EN10test_utils4lessELj10EEvPKT_PS2_T2_
	.globl	_Z16sort_keys_kernelIhLj256ELj1EN10test_utils4lessELj10EEvPKT_PS2_T2_
	.p2align	8
	.type	_Z16sort_keys_kernelIhLj256ELj1EN10test_utils4lessELj10EEvPKT_PS2_T2_,@function
_Z16sort_keys_kernelIhLj256ELj1EN10test_utils4lessELj10EEvPKT_PS2_T2_: ; @_Z16sort_keys_kernelIhLj256ELj1EN10test_utils4lessELj10EEvPKT_PS2_T2_
; %bb.0:
	s_load_b128 s[8:11], s[0:1], 0x0
	s_lshl_b32 s12, ttmp9, 8
	s_mov_b32 s13, 0
	v_and_b32_e32 v2, 0xfc, v0
	v_and_b32_e32 v9, 0xf8, v0
	;; [unrolled: 1-line block ×5, first 2 shown]
	v_or_b32_e32 v16, 2, v2
	v_add_nc_u32_e32 v4, 4, v2
	v_or_b32_e32 v25, 4, v9
	v_add_nc_u32_e32 v12, 8, v9
	v_and_b32_e32 v26, 7, v0
	v_sub_nc_u32_e32 v8, v16, v2
	v_sub_nc_u32_e32 v10, v4, v16
	v_or_b32_e32 v34, 16, v18
	v_sub_nc_u32_e32 v19, v12, v25
	v_add_nc_u32_e32 v22, 32, v18
	v_or_b32_e32 v27, 8, v13
	v_sub_nc_u32_e32 v11, v17, v10
	s_wait_kmcnt 0x0
	s_add_nc_u64 s[0:1], s[8:9], s[12:13]
	v_add_nc_u32_e32 v15, 16, v13
	global_load_u8 v46, v0, s[0:1]
	v_cmp_ge_i32_e64 s0, v17, v10
	v_add_nc_u32_e32 v16, v16, v17
	v_sub_nc_u32_e32 v20, v26, v19
	v_and_b32_e32 v28, 15, v0
	v_cmp_ge_i32_e64 s1, v26, v19
	v_cndmask_b32_e64 v10, 0, v11, s0
	v_min_i32_e32 v11, v17, v8
	v_sub_nc_u32_e32 v17, v25, v9
	v_and_b32_e32 v35, 31, v0
	v_sub_nc_u32_e32 v30, v22, v34
	v_sub_nc_u32_e32 v23, v15, v27
	v_cndmask_b32_e64 v19, 0, v20, s1
	v_min_i32_e32 v20, v26, v17
	v_sub_nc_u32_e32 v21, v27, v13
	v_add_nc_u32_e32 v25, v25, v26
	v_add_nc_u32_e32 v26, v27, v28
	v_sub_nc_u32_e32 v31, v35, v30
	v_and_b32_e32 v27, 0xc0, v0
	v_cmp_ge_i32_e64 s3, v35, v30
	v_and_b32_e32 v29, 0x80, v0
	v_and_b32_e32 v14, 1, v0
	v_sub_nc_u32_e32 v24, v28, v23
	v_or_b32_e32 v43, 32, v27
	v_cndmask_b32_e64 v30, 0, v31, s3
	v_add_nc_u32_e32 v31, 64, v27
	v_cmp_ge_i32_e64 s1, v28, v23
	v_or_b32_e32 v44, 64, v29
	v_add_nc_u32_e32 v33, 0x80, v29
	v_and_b32_e32 v45, 63, v0
	v_sub_nc_u32_e32 v37, v31, v43
	v_add_nc_u32_e32 v6, -1, v14
	v_cmp_lt_i32_e32 vcc_lo, 0, v14
	v_and_b32_e32 v1, 0xfe, v0
	s_wait_alu 0xf1ff
	v_cndmask_b32_e64 v23, 0, v24, s1
	v_min_i32_e32 v24, v28, v21
	v_sub_nc_u32_e32 v28, v34, v18
	v_and_b32_e32 v47, 0x7f, v0
	v_sub_nc_u32_e32 v39, v33, v44
	v_sub_nc_u32_e32 v38, v45, v37
	v_cmp_ge_i32_e64 s4, v45, v37
	v_cndmask_b32_e32 v6, 0, v6, vcc_lo
	v_or_b32_e32 v3, 1, v1
	v_min_i32_e32 v32, v35, v28
	v_add_nc_u32_e32 v34, v34, v35
	v_sub_nc_u32_e32 v35, v43, v27
	v_sub_nc_u32_e32 v36, v44, v29
	;; [unrolled: 1-line block ×3, first 2 shown]
	v_cndmask_b32_e64 v37, 0, v38, s4
	v_cmp_ge_i32_e64 s4, v47, v39
	v_sub_nc_u32_e32 v5, v3, v1
	v_min_i32_e32 v38, v45, v35
	v_subrev_nc_u32_e64 v41, 0x80, v0 clamp
	v_min_i32_e32 v42, 0x80, v0
	s_wait_alu 0xf1ff
	v_cndmask_b32_e64 v39, 0, v40, s4
	v_min_i32_e32 v40, v47, v36
	v_min_i32_e32 v7, v14, v5
	v_add_nc_u32_e32 v14, v3, v14
	v_cmp_lt_i32_e64 s0, v10, v11
	v_cmp_lt_i32_e64 s1, v19, v20
	;; [unrolled: 1-line block ×5, first 2 shown]
	v_add_nc_u32_e32 v43, v43, v45
	v_cmp_lt_i32_e64 s5, v39, v40
	v_add_nc_u32_e32 v44, v44, v47
	v_cmp_lt_i32_e64 s6, v41, v42
	v_add_nc_u32_e32 v45, 0x80, v0
	s_mov_b32 s14, s13
	v_cmp_lt_i32_e32 vcc_lo, v6, v7
	s_branch .LBB100_2
.LBB100_1:                              ;   in Loop: Header=BB100_2 Depth=1
	s_or_b32 exec_lo, exec_lo, s8
	v_sub_nc_u32_e32 v47, v45, v46
	v_cmp_le_i32_e64 s7, 0x80, v46
	s_add_co_i32 s14, s14, 1
	ds_load_u8 v48, v46
	ds_load_u8 v49, v47
	v_cmp_gt_i32_e64 s9, 0x100, v47
	s_wait_dscnt 0x1
	v_and_b32_e32 v50, 0xff, v48
	s_wait_dscnt 0x0
	v_and_b32_e32 v51, 0xff, v49
	s_delay_alu instid0(VALU_DEP_1)
	v_cmp_lt_u16_e64 s8, v51, v50
	s_or_b32 s7, s7, s8
	s_wait_alu 0xfffe
	s_and_b32 s7, s9, s7
	s_cmp_eq_u32 s14, 10
	s_wait_alu 0xfffe
	v_cndmask_b32_e64 v46, v48, v49, s7
	s_cbranch_scc1 .LBB100_34
.LBB100_2:                              ; =>This Loop Header: Depth=1
                                        ;     Child Loop BB100_4 Depth 2
                                        ;     Child Loop BB100_8 Depth 2
	;; [unrolled: 1-line block ×8, first 2 shown]
	s_wait_loadcnt 0x0
	s_barrier_signal -1
	s_barrier_wait -1
	global_inv scope:SCOPE_SE
	ds_store_b8 v0, v46
	v_mov_b32_e32 v46, v6
	s_wait_loadcnt_dscnt 0x0
	s_barrier_signal -1
	s_barrier_wait -1
	global_inv scope:SCOPE_SE
	s_and_saveexec_b32 s8, vcc_lo
	s_cbranch_execz .LBB100_6
; %bb.3:                                ;   in Loop: Header=BB100_2 Depth=1
	v_dual_mov_b32 v46, v6 :: v_dual_mov_b32 v47, v7
	s_mov_b32 s9, 0
.LBB100_4:                              ;   Parent Loop BB100_2 Depth=1
                                        ; =>  This Inner Loop Header: Depth=2
	s_delay_alu instid0(VALU_DEP_1) | instskip(NEXT) | instid1(VALU_DEP_1)
	v_sub_nc_u32_e32 v48, v47, v46
	v_lshrrev_b32_e32 v48, 1, v48
	s_delay_alu instid0(VALU_DEP_1) | instskip(NEXT) | instid1(VALU_DEP_1)
	v_add_nc_u32_e32 v48, v48, v46
	v_add_nc_u32_e32 v49, v1, v48
	v_xad_u32 v50, v48, -1, v14
	v_add_nc_u32_e32 v51, 1, v48
	ds_load_u8 v49, v49
	ds_load_u8 v50, v50
	s_wait_dscnt 0x0
	v_cmp_lt_u16_e64 s7, v50, v49
	s_wait_alu 0xf1ff
	s_delay_alu instid0(VALU_DEP_1) | instskip(SKIP_1) | instid1(VALU_DEP_1)
	v_cndmask_b32_e64 v47, v47, v48, s7
	v_cndmask_b32_e64 v46, v51, v46, s7
	v_cmp_ge_i32_e64 s7, v46, v47
	s_or_b32 s9, s7, s9
	s_delay_alu instid0(SALU_CYCLE_1)
	s_and_not1_b32 exec_lo, exec_lo, s9
	s_cbranch_execnz .LBB100_4
; %bb.5:                                ;   in Loop: Header=BB100_2 Depth=1
	s_or_b32 exec_lo, exec_lo, s9
.LBB100_6:                              ;   in Loop: Header=BB100_2 Depth=1
	s_delay_alu instid0(SALU_CYCLE_1)
	s_or_b32 exec_lo, exec_lo, s8
	v_add_nc_u32_e32 v47, v1, v46
	v_sub_nc_u32_e32 v48, v14, v46
	v_cmp_ge_i32_e64 s7, v46, v5
	v_mov_b32_e32 v46, v10
	ds_load_u8 v47, v47
	ds_load_u8 v49, v48
	v_cmp_ge_i32_e64 s9, v3, v48
	s_wait_loadcnt_dscnt 0x0
	s_barrier_signal -1
	s_barrier_wait -1
	global_inv scope:SCOPE_SE
	v_and_b32_e32 v50, 0xff, v47
	v_and_b32_e32 v51, 0xff, v49
	s_delay_alu instid0(VALU_DEP_1)
	v_cmp_lt_u16_e64 s8, v51, v50
	s_or_b32 s7, s7, s8
	s_wait_alu 0xfffe
	s_and_b32 s7, s9, s7
	s_wait_alu 0xfffe
	v_cndmask_b32_e64 v47, v47, v49, s7
	ds_store_b8 v0, v47
	s_wait_loadcnt_dscnt 0x0
	s_barrier_signal -1
	s_barrier_wait -1
	global_inv scope:SCOPE_SE
	s_and_saveexec_b32 s8, s0
	s_cbranch_execz .LBB100_10
; %bb.7:                                ;   in Loop: Header=BB100_2 Depth=1
	v_dual_mov_b32 v46, v10 :: v_dual_mov_b32 v47, v11
	s_mov_b32 s9, 0
.LBB100_8:                              ;   Parent Loop BB100_2 Depth=1
                                        ; =>  This Inner Loop Header: Depth=2
	s_delay_alu instid0(VALU_DEP_1) | instskip(NEXT) | instid1(VALU_DEP_1)
	v_sub_nc_u32_e32 v48, v47, v46
	v_lshrrev_b32_e32 v48, 1, v48
	s_delay_alu instid0(VALU_DEP_1) | instskip(NEXT) | instid1(VALU_DEP_1)
	v_add_nc_u32_e32 v48, v48, v46
	v_add_nc_u32_e32 v49, v2, v48
	v_xad_u32 v50, v48, -1, v16
	v_add_nc_u32_e32 v51, 1, v48
	ds_load_u8 v49, v49
	ds_load_u8 v50, v50
	s_wait_dscnt 0x0
	v_cmp_lt_u16_e64 s7, v50, v49
	s_wait_alu 0xf1ff
	s_delay_alu instid0(VALU_DEP_1) | instskip(SKIP_1) | instid1(VALU_DEP_1)
	v_cndmask_b32_e64 v47, v47, v48, s7
	v_cndmask_b32_e64 v46, v51, v46, s7
	v_cmp_ge_i32_e64 s7, v46, v47
	s_or_b32 s9, s7, s9
	s_delay_alu instid0(SALU_CYCLE_1)
	s_and_not1_b32 exec_lo, exec_lo, s9
	s_cbranch_execnz .LBB100_8
; %bb.9:                                ;   in Loop: Header=BB100_2 Depth=1
	s_or_b32 exec_lo, exec_lo, s9
.LBB100_10:                             ;   in Loop: Header=BB100_2 Depth=1
	s_delay_alu instid0(SALU_CYCLE_1)
	s_or_b32 exec_lo, exec_lo, s8
	v_add_nc_u32_e32 v47, v2, v46
	v_sub_nc_u32_e32 v48, v16, v46
	v_cmp_ge_i32_e64 s7, v46, v8
	v_mov_b32_e32 v46, v19
	ds_load_u8 v47, v47
	ds_load_u8 v49, v48
	v_cmp_gt_i32_e64 s9, v4, v48
	s_wait_loadcnt_dscnt 0x0
	s_barrier_signal -1
	s_barrier_wait -1
	global_inv scope:SCOPE_SE
	v_and_b32_e32 v50, 0xff, v47
	v_and_b32_e32 v51, 0xff, v49
	s_delay_alu instid0(VALU_DEP_1)
	v_cmp_lt_u16_e64 s8, v51, v50
	s_or_b32 s7, s7, s8
	s_wait_alu 0xfffe
	s_and_b32 s7, s9, s7
	s_wait_alu 0xfffe
	v_cndmask_b32_e64 v47, v47, v49, s7
	ds_store_b8 v0, v47
	s_wait_loadcnt_dscnt 0x0
	s_barrier_signal -1
	s_barrier_wait -1
	global_inv scope:SCOPE_SE
	s_and_saveexec_b32 s8, s1
	s_cbranch_execz .LBB100_14
; %bb.11:                               ;   in Loop: Header=BB100_2 Depth=1
	v_dual_mov_b32 v46, v19 :: v_dual_mov_b32 v47, v20
	s_mov_b32 s9, 0
.LBB100_12:                             ;   Parent Loop BB100_2 Depth=1
                                        ; =>  This Inner Loop Header: Depth=2
	s_delay_alu instid0(VALU_DEP_1) | instskip(NEXT) | instid1(VALU_DEP_1)
	v_sub_nc_u32_e32 v48, v47, v46
	v_lshrrev_b32_e32 v48, 1, v48
	s_delay_alu instid0(VALU_DEP_1) | instskip(NEXT) | instid1(VALU_DEP_1)
	v_add_nc_u32_e32 v48, v48, v46
	v_add_nc_u32_e32 v49, v9, v48
	v_xad_u32 v50, v48, -1, v25
	v_add_nc_u32_e32 v51, 1, v48
	ds_load_u8 v49, v49
	ds_load_u8 v50, v50
	s_wait_dscnt 0x0
	v_cmp_lt_u16_e64 s7, v50, v49
	s_wait_alu 0xf1ff
	s_delay_alu instid0(VALU_DEP_1) | instskip(SKIP_1) | instid1(VALU_DEP_1)
	v_cndmask_b32_e64 v47, v47, v48, s7
	v_cndmask_b32_e64 v46, v51, v46, s7
	v_cmp_ge_i32_e64 s7, v46, v47
	s_or_b32 s9, s7, s9
	s_delay_alu instid0(SALU_CYCLE_1)
	s_and_not1_b32 exec_lo, exec_lo, s9
	s_cbranch_execnz .LBB100_12
; %bb.13:                               ;   in Loop: Header=BB100_2 Depth=1
	s_or_b32 exec_lo, exec_lo, s9
.LBB100_14:                             ;   in Loop: Header=BB100_2 Depth=1
	s_delay_alu instid0(SALU_CYCLE_1)
	s_or_b32 exec_lo, exec_lo, s8
	v_add_nc_u32_e32 v47, v9, v46
	v_sub_nc_u32_e32 v48, v25, v46
	v_cmp_ge_i32_e64 s7, v46, v17
	v_mov_b32_e32 v46, v23
	ds_load_u8 v47, v47
	ds_load_u8 v49, v48
	v_cmp_gt_i32_e64 s9, v12, v48
	s_wait_loadcnt_dscnt 0x0
	s_barrier_signal -1
	s_barrier_wait -1
	global_inv scope:SCOPE_SE
	v_and_b32_e32 v50, 0xff, v47
	v_and_b32_e32 v51, 0xff, v49
	s_delay_alu instid0(VALU_DEP_1)
	v_cmp_lt_u16_e64 s8, v51, v50
	s_or_b32 s7, s7, s8
	s_wait_alu 0xfffe
	s_and_b32 s7, s9, s7
	s_wait_alu 0xfffe
	v_cndmask_b32_e64 v47, v47, v49, s7
	ds_store_b8 v0, v47
	s_wait_loadcnt_dscnt 0x0
	s_barrier_signal -1
	s_barrier_wait -1
	global_inv scope:SCOPE_SE
	s_and_saveexec_b32 s8, s2
	s_cbranch_execz .LBB100_18
; %bb.15:                               ;   in Loop: Header=BB100_2 Depth=1
	v_dual_mov_b32 v46, v23 :: v_dual_mov_b32 v47, v24
	s_mov_b32 s9, 0
.LBB100_16:                             ;   Parent Loop BB100_2 Depth=1
                                        ; =>  This Inner Loop Header: Depth=2
	s_delay_alu instid0(VALU_DEP_1) | instskip(NEXT) | instid1(VALU_DEP_1)
	v_sub_nc_u32_e32 v48, v47, v46
	v_lshrrev_b32_e32 v48, 1, v48
	s_delay_alu instid0(VALU_DEP_1) | instskip(NEXT) | instid1(VALU_DEP_1)
	v_add_nc_u32_e32 v48, v48, v46
	v_add_nc_u32_e32 v49, v13, v48
	v_xad_u32 v50, v48, -1, v26
	v_add_nc_u32_e32 v51, 1, v48
	ds_load_u8 v49, v49
	ds_load_u8 v50, v50
	s_wait_dscnt 0x0
	v_cmp_lt_u16_e64 s7, v50, v49
	s_wait_alu 0xf1ff
	s_delay_alu instid0(VALU_DEP_1) | instskip(SKIP_1) | instid1(VALU_DEP_1)
	v_cndmask_b32_e64 v47, v47, v48, s7
	v_cndmask_b32_e64 v46, v51, v46, s7
	v_cmp_ge_i32_e64 s7, v46, v47
	s_or_b32 s9, s7, s9
	s_delay_alu instid0(SALU_CYCLE_1)
	s_and_not1_b32 exec_lo, exec_lo, s9
	s_cbranch_execnz .LBB100_16
; %bb.17:                               ;   in Loop: Header=BB100_2 Depth=1
	s_or_b32 exec_lo, exec_lo, s9
.LBB100_18:                             ;   in Loop: Header=BB100_2 Depth=1
	;; [unrolled: 58-line block ×4, first 2 shown]
	s_delay_alu instid0(SALU_CYCLE_1)
	s_or_b32 exec_lo, exec_lo, s8
	v_add_nc_u32_e32 v47, v27, v46
	v_sub_nc_u32_e32 v48, v43, v46
	v_cmp_ge_i32_e64 s7, v46, v35
	ds_load_u8 v47, v47
	ds_load_u8 v49, v48
	v_cmp_gt_i32_e64 s9, v31, v48
	s_wait_loadcnt_dscnt 0x0
	s_barrier_signal -1
	s_barrier_wait -1
	global_inv scope:SCOPE_SE
	v_mov_b32_e32 v46, v39
	v_and_b32_e32 v50, 0xff, v47
	v_and_b32_e32 v51, 0xff, v49
	s_delay_alu instid0(VALU_DEP_1)
	v_cmp_lt_u16_e64 s8, v51, v50
	s_or_b32 s7, s7, s8
	s_wait_alu 0xfffe
	s_and_b32 s7, s9, s7
	s_wait_alu 0xfffe
	v_cndmask_b32_e64 v47, v47, v49, s7
	ds_store_b8 v0, v47
	s_wait_loadcnt_dscnt 0x0
	s_barrier_signal -1
	s_barrier_wait -1
	global_inv scope:SCOPE_SE
	s_and_saveexec_b32 s8, s5
	s_cbranch_execz .LBB100_30
; %bb.27:                               ;   in Loop: Header=BB100_2 Depth=1
	v_dual_mov_b32 v46, v39 :: v_dual_mov_b32 v47, v40
	s_mov_b32 s9, 0
.LBB100_28:                             ;   Parent Loop BB100_2 Depth=1
                                        ; =>  This Inner Loop Header: Depth=2
	s_delay_alu instid0(VALU_DEP_1) | instskip(NEXT) | instid1(VALU_DEP_1)
	v_sub_nc_u32_e32 v48, v47, v46
	v_lshrrev_b32_e32 v48, 1, v48
	s_delay_alu instid0(VALU_DEP_1) | instskip(NEXT) | instid1(VALU_DEP_1)
	v_add_nc_u32_e32 v48, v48, v46
	v_add_nc_u32_e32 v49, v29, v48
	v_xad_u32 v50, v48, -1, v44
	v_add_nc_u32_e32 v51, 1, v48
	ds_load_u8 v49, v49
	ds_load_u8 v50, v50
	s_wait_dscnt 0x0
	v_cmp_lt_u16_e64 s7, v50, v49
	s_wait_alu 0xf1ff
	s_delay_alu instid0(VALU_DEP_1) | instskip(SKIP_1) | instid1(VALU_DEP_1)
	v_cndmask_b32_e64 v47, v47, v48, s7
	v_cndmask_b32_e64 v46, v51, v46, s7
	v_cmp_ge_i32_e64 s7, v46, v47
	s_or_b32 s9, s7, s9
	s_delay_alu instid0(SALU_CYCLE_1)
	s_and_not1_b32 exec_lo, exec_lo, s9
	s_cbranch_execnz .LBB100_28
; %bb.29:                               ;   in Loop: Header=BB100_2 Depth=1
	s_or_b32 exec_lo, exec_lo, s9
.LBB100_30:                             ;   in Loop: Header=BB100_2 Depth=1
	s_delay_alu instid0(SALU_CYCLE_1)
	s_or_b32 exec_lo, exec_lo, s8
	v_add_nc_u32_e32 v47, v29, v46
	v_sub_nc_u32_e32 v48, v44, v46
	v_cmp_ge_i32_e64 s7, v46, v36
	ds_load_u8 v47, v47
	ds_load_u8 v49, v48
	v_cmp_gt_i32_e64 s9, v33, v48
	s_wait_loadcnt_dscnt 0x0
	s_barrier_signal -1
	s_barrier_wait -1
	global_inv scope:SCOPE_SE
	v_mov_b32_e32 v46, v41
	v_and_b32_e32 v50, 0xff, v47
	v_and_b32_e32 v51, 0xff, v49
	s_delay_alu instid0(VALU_DEP_1)
	v_cmp_lt_u16_e64 s8, v51, v50
	s_or_b32 s7, s7, s8
	s_wait_alu 0xfffe
	s_and_b32 s7, s9, s7
	s_wait_alu 0xfffe
	v_cndmask_b32_e64 v47, v47, v49, s7
	ds_store_b8 v0, v47
	s_wait_loadcnt_dscnt 0x0
	s_barrier_signal -1
	s_barrier_wait -1
	global_inv scope:SCOPE_SE
	s_and_saveexec_b32 s8, s6
	s_cbranch_execz .LBB100_1
; %bb.31:                               ;   in Loop: Header=BB100_2 Depth=1
	v_dual_mov_b32 v46, v41 :: v_dual_mov_b32 v47, v42
	s_mov_b32 s9, 0
.LBB100_32:                             ;   Parent Loop BB100_2 Depth=1
                                        ; =>  This Inner Loop Header: Depth=2
	s_delay_alu instid0(VALU_DEP_1) | instskip(NEXT) | instid1(VALU_DEP_1)
	v_sub_nc_u32_e32 v48, v47, v46
	v_lshrrev_b32_e32 v48, 1, v48
	s_delay_alu instid0(VALU_DEP_1) | instskip(NEXT) | instid1(VALU_DEP_1)
	v_add_nc_u32_e32 v48, v48, v46
	v_xad_u32 v49, v48, -1, v45
	v_add_nc_u32_e32 v51, 1, v48
	ds_load_u8 v50, v48
	ds_load_u8 v49, v49
	s_wait_dscnt 0x0
	v_cmp_lt_u16_e64 s7, v49, v50
	s_wait_alu 0xf1ff
	s_delay_alu instid0(VALU_DEP_1) | instskip(SKIP_1) | instid1(VALU_DEP_1)
	v_cndmask_b32_e64 v47, v47, v48, s7
	v_cndmask_b32_e64 v46, v51, v46, s7
	v_cmp_ge_i32_e64 s7, v46, v47
	s_or_b32 s9, s7, s9
	s_delay_alu instid0(SALU_CYCLE_1)
	s_and_not1_b32 exec_lo, exec_lo, s9
	s_cbranch_execnz .LBB100_32
; %bb.33:                               ;   in Loop: Header=BB100_2 Depth=1
	s_or_b32 exec_lo, exec_lo, s9
	s_branch .LBB100_1
.LBB100_34:
	s_add_nc_u64 s[0:1], s[10:11], s[12:13]
	s_wait_alu 0xfffe
	v_add_co_u32 v0, s0, s0, v0
	s_wait_alu 0xf1ff
	v_add_co_ci_u32_e64 v1, null, s1, 0, s0
	global_store_b8 v[0:1], v46, off
	s_endpgm
	.section	.rodata,"a",@progbits
	.p2align	6, 0x0
	.amdhsa_kernel _Z16sort_keys_kernelIhLj256ELj1EN10test_utils4lessELj10EEvPKT_PS2_T2_
		.amdhsa_group_segment_fixed_size 257
		.amdhsa_private_segment_fixed_size 0
		.amdhsa_kernarg_size 20
		.amdhsa_user_sgpr_count 2
		.amdhsa_user_sgpr_dispatch_ptr 0
		.amdhsa_user_sgpr_queue_ptr 0
		.amdhsa_user_sgpr_kernarg_segment_ptr 1
		.amdhsa_user_sgpr_dispatch_id 0
		.amdhsa_user_sgpr_private_segment_size 0
		.amdhsa_wavefront_size32 1
		.amdhsa_uses_dynamic_stack 0
		.amdhsa_enable_private_segment 0
		.amdhsa_system_sgpr_workgroup_id_x 1
		.amdhsa_system_sgpr_workgroup_id_y 0
		.amdhsa_system_sgpr_workgroup_id_z 0
		.amdhsa_system_sgpr_workgroup_info 0
		.amdhsa_system_vgpr_workitem_id 0
		.amdhsa_next_free_vgpr 52
		.amdhsa_next_free_sgpr 15
		.amdhsa_reserve_vcc 1
		.amdhsa_float_round_mode_32 0
		.amdhsa_float_round_mode_16_64 0
		.amdhsa_float_denorm_mode_32 3
		.amdhsa_float_denorm_mode_16_64 3
		.amdhsa_fp16_overflow 0
		.amdhsa_workgroup_processor_mode 1
		.amdhsa_memory_ordered 1
		.amdhsa_forward_progress 1
		.amdhsa_inst_pref_size 24
		.amdhsa_round_robin_scheduling 0
		.amdhsa_exception_fp_ieee_invalid_op 0
		.amdhsa_exception_fp_denorm_src 0
		.amdhsa_exception_fp_ieee_div_zero 0
		.amdhsa_exception_fp_ieee_overflow 0
		.amdhsa_exception_fp_ieee_underflow 0
		.amdhsa_exception_fp_ieee_inexact 0
		.amdhsa_exception_int_div_zero 0
	.end_amdhsa_kernel
	.section	.text._Z16sort_keys_kernelIhLj256ELj1EN10test_utils4lessELj10EEvPKT_PS2_T2_,"axG",@progbits,_Z16sort_keys_kernelIhLj256ELj1EN10test_utils4lessELj10EEvPKT_PS2_T2_,comdat
.Lfunc_end100:
	.size	_Z16sort_keys_kernelIhLj256ELj1EN10test_utils4lessELj10EEvPKT_PS2_T2_, .Lfunc_end100-_Z16sort_keys_kernelIhLj256ELj1EN10test_utils4lessELj10EEvPKT_PS2_T2_
                                        ; -- End function
	.set _Z16sort_keys_kernelIhLj256ELj1EN10test_utils4lessELj10EEvPKT_PS2_T2_.num_vgpr, 52
	.set _Z16sort_keys_kernelIhLj256ELj1EN10test_utils4lessELj10EEvPKT_PS2_T2_.num_agpr, 0
	.set _Z16sort_keys_kernelIhLj256ELj1EN10test_utils4lessELj10EEvPKT_PS2_T2_.numbered_sgpr, 15
	.set _Z16sort_keys_kernelIhLj256ELj1EN10test_utils4lessELj10EEvPKT_PS2_T2_.num_named_barrier, 0
	.set _Z16sort_keys_kernelIhLj256ELj1EN10test_utils4lessELj10EEvPKT_PS2_T2_.private_seg_size, 0
	.set _Z16sort_keys_kernelIhLj256ELj1EN10test_utils4lessELj10EEvPKT_PS2_T2_.uses_vcc, 1
	.set _Z16sort_keys_kernelIhLj256ELj1EN10test_utils4lessELj10EEvPKT_PS2_T2_.uses_flat_scratch, 0
	.set _Z16sort_keys_kernelIhLj256ELj1EN10test_utils4lessELj10EEvPKT_PS2_T2_.has_dyn_sized_stack, 0
	.set _Z16sort_keys_kernelIhLj256ELj1EN10test_utils4lessELj10EEvPKT_PS2_T2_.has_recursion, 0
	.set _Z16sort_keys_kernelIhLj256ELj1EN10test_utils4lessELj10EEvPKT_PS2_T2_.has_indirect_call, 0
	.section	.AMDGPU.csdata,"",@progbits
; Kernel info:
; codeLenInByte = 2956
; TotalNumSgprs: 17
; NumVgprs: 52
; ScratchSize: 0
; MemoryBound: 0
; FloatMode: 240
; IeeeMode: 1
; LDSByteSize: 257 bytes/workgroup (compile time only)
; SGPRBlocks: 0
; VGPRBlocks: 6
; NumSGPRsForWavesPerEU: 17
; NumVGPRsForWavesPerEU: 52
; Occupancy: 16
; WaveLimiterHint : 0
; COMPUTE_PGM_RSRC2:SCRATCH_EN: 0
; COMPUTE_PGM_RSRC2:USER_SGPR: 2
; COMPUTE_PGM_RSRC2:TRAP_HANDLER: 0
; COMPUTE_PGM_RSRC2:TGID_X_EN: 1
; COMPUTE_PGM_RSRC2:TGID_Y_EN: 0
; COMPUTE_PGM_RSRC2:TGID_Z_EN: 0
; COMPUTE_PGM_RSRC2:TIDIG_COMP_CNT: 0
	.section	.text._Z17sort_pairs_kernelIhLj256ELj1EN10test_utils4lessELj10EEvPKT_PS2_T2_,"axG",@progbits,_Z17sort_pairs_kernelIhLj256ELj1EN10test_utils4lessELj10EEvPKT_PS2_T2_,comdat
	.protected	_Z17sort_pairs_kernelIhLj256ELj1EN10test_utils4lessELj10EEvPKT_PS2_T2_ ; -- Begin function _Z17sort_pairs_kernelIhLj256ELj1EN10test_utils4lessELj10EEvPKT_PS2_T2_
	.globl	_Z17sort_pairs_kernelIhLj256ELj1EN10test_utils4lessELj10EEvPKT_PS2_T2_
	.p2align	8
	.type	_Z17sort_pairs_kernelIhLj256ELj1EN10test_utils4lessELj10EEvPKT_PS2_T2_,@function
_Z17sort_pairs_kernelIhLj256ELj1EN10test_utils4lessELj10EEvPKT_PS2_T2_: ; @_Z17sort_pairs_kernelIhLj256ELj1EN10test_utils4lessELj10EEvPKT_PS2_T2_
; %bb.0:
	s_load_b128 s[8:11], s[0:1], 0x0
	s_lshl_b32 s12, ttmp9, 8
	s_mov_b32 s13, 0
	v_and_b32_e32 v2, 0xfc, v0
	v_and_b32_e32 v1, 0xfe, v0
	;; [unrolled: 1-line block ×5, first 2 shown]
	v_or_b32_e32 v11, 2, v2
	v_add_nc_u32_e32 v12, 4, v2
	v_or_b32_e32 v10, 1, v1
	v_or_b32_e32 v13, 4, v3
	v_add_nc_u32_e32 v14, 8, v3
	v_and_b32_e32 v31, 1, v0
	v_sub_nc_u32_e32 v44, v12, v11
	v_and_b32_e32 v39, 7, v0
	v_and_b32_e32 v5, 0xe0, v0
	v_or_b32_e32 v15, 8, v4
	v_add_nc_u32_e32 v16, 16, v4
	v_sub_nc_u32_e32 v32, v10, v1
	s_wait_kmcnt 0x0
	s_add_nc_u64 s[0:1], s[8:9], s[12:13]
	v_sub_nc_u32_e32 v33, v11, v2
	global_load_u8 v45, v0, s[0:1]
	v_sub_nc_u32_e32 v46, v14, v13
	v_sub_nc_u32_e32 v52, v38, v44
	v_cmp_ge_i32_e64 s1, v38, v44
	v_and_b32_e32 v40, 15, v0
	v_and_b32_e32 v6, 0xc0, v0
	v_add_nc_u32_e32 v23, -1, v31
	v_or_b32_e32 v17, 16, v5
	v_add_nc_u32_e32 v18, 32, v5
	v_cmp_lt_i32_e64 s0, 0, v31
	v_add_nc_u32_e32 v24, v10, v31
	v_add_nc_u32_e32 v25, v11, v38
	v_sub_nc_u32_e32 v34, v13, v3
	v_sub_nc_u32_e32 v47, v16, v15
	v_min_i32_e32 v31, v31, v32
	v_min_i32_e32 v32, v38, v33
	v_sub_nc_u32_e32 v53, v39, v46
	v_cndmask_b32_e64 v38, 0, v52, s1
	v_cmp_ge_i32_e64 s1, v39, v46
	v_and_b32_e32 v41, 31, v0
	v_and_b32_e32 v7, 0x80, v0
	v_or_b32_e32 v19, 32, v6
	v_add_nc_u32_e32 v20, 64, v6
	v_add_nc_u32_e32 v26, v13, v39
	v_sub_nc_u32_e32 v35, v15, v4
	v_sub_nc_u32_e32 v48, v18, v17
	v_min_i32_e32 v33, v39, v34
	v_sub_nc_u32_e32 v54, v40, v47
	s_wait_alu 0xf1ff
	v_cndmask_b32_e64 v39, 0, v53, s1
	v_cmp_ge_i32_e64 s1, v40, v47
	v_and_b32_e32 v42, 63, v0
	v_or_b32_e32 v21, 64, v7
	v_add_nc_u32_e32 v22, 0x80, v7
	v_add_nc_u32_e32 v27, v15, v40
	v_sub_nc_u32_e32 v36, v17, v5
	v_sub_nc_u32_e32 v49, v20, v19
	v_min_i32_e32 v34, v40, v35
	v_sub_nc_u32_e32 v55, v41, v48
	s_wait_alu 0xf1ff
	v_cndmask_b32_e64 v40, 0, v54, s1
	v_cmp_ge_i32_e64 s1, v41, v48
	v_and_b32_e32 v43, 0x7f, v0
	v_add_nc_u32_e32 v28, v17, v41
	v_sub_nc_u32_e32 v37, v19, v6
	v_sub_nc_u32_e32 v51, v22, v21
	v_min_i32_e32 v35, v41, v36
	v_sub_nc_u32_e32 v56, v42, v49
	s_wait_alu 0xf1ff
	v_cndmask_b32_e64 v41, 0, v55, s1
	v_cmp_ge_i32_e64 s1, v42, v49
	v_add_nc_u32_e32 v29, v19, v42
	v_sub_nc_u32_e32 v50, v21, v7
	v_min_i32_e32 v36, v42, v37
	v_sub_nc_u32_e32 v57, v43, v51
	s_wait_alu 0xf1ff
	v_cndmask_b32_e64 v42, 0, v56, s1
	v_cmp_ge_i32_e64 s1, v43, v51
	v_cndmask_b32_e64 v23, 0, v23, s0
	v_add_nc_u32_e32 v30, v21, v43
	v_min_i32_e32 v37, v43, v50
	v_subrev_nc_u32_e64 v8, 0x80, v0 clamp
	s_wait_alu 0xf1ff
	v_cndmask_b32_e64 v43, 0, v57, s1
	v_min_i32_e32 v9, 0x80, v0
	v_cmp_lt_i32_e64 s0, v23, v31
	v_cmp_lt_i32_e64 s1, v38, v32
	;; [unrolled: 1-line block ×7, first 2 shown]
	v_add_nc_u32_e32 v44, 0x80, v0
	s_mov_b32 s14, s13
	v_cmp_lt_i32_e32 vcc_lo, v8, v9
	s_wait_loadcnt 0x0
	v_add_nc_u16 v46, v45, 1
	s_branch .LBB101_2
.LBB101_1:                              ;   in Loop: Header=BB101_2 Depth=1
	s_or_b32 exec_lo, exec_lo, s8
	v_sub_nc_u32_e32 v48, v44, v47
	v_cmp_le_i32_e64 s7, 0x80, v47
	s_add_co_i32 s14, s14, 1
	ds_load_u8 v45, v47
	ds_load_u8 v49, v48
	v_cmp_gt_i32_e64 s9, 0x100, v48
	s_wait_loadcnt_dscnt 0x0
	s_barrier_signal -1
	s_barrier_wait -1
	global_inv scope:SCOPE_SE
	ds_store_b8 v0, v46
	s_wait_loadcnt_dscnt 0x0
	s_barrier_signal -1
	s_barrier_wait -1
	global_inv scope:SCOPE_SE
	v_and_b32_e32 v50, 0xff, v45
	v_and_b32_e32 v51, 0xff, v49
	s_delay_alu instid0(VALU_DEP_1)
	v_cmp_lt_u16_e64 s8, v51, v50
	s_or_b32 s7, s7, s8
	s_wait_alu 0xfffe
	s_and_b32 s7, s9, s7
	s_cmp_eq_u32 s14, 10
	s_wait_alu 0xfffe
	v_cndmask_b32_e64 v47, v47, v48, s7
	v_cndmask_b32_e64 v45, v45, v49, s7
	ds_load_u8 v46, v47
	s_cbranch_scc1 .LBB101_34
.LBB101_2:                              ; =>This Loop Header: Depth=1
                                        ;     Child Loop BB101_4 Depth 2
                                        ;     Child Loop BB101_8 Depth 2
	;; [unrolled: 1-line block ×8, first 2 shown]
	s_barrier_signal -1
	s_barrier_wait -1
	global_inv scope:SCOPE_SE
	ds_store_b8 v0, v45
	v_mov_b32_e32 v45, v23
	s_wait_loadcnt_dscnt 0x0
	s_barrier_signal -1
	s_barrier_wait -1
	global_inv scope:SCOPE_SE
	s_and_saveexec_b32 s8, s0
	s_cbranch_execz .LBB101_6
; %bb.3:                                ;   in Loop: Header=BB101_2 Depth=1
	v_mov_b32_e32 v45, v23
	v_mov_b32_e32 v47, v31
	s_mov_b32 s9, 0
.LBB101_4:                              ;   Parent Loop BB101_2 Depth=1
                                        ; =>  This Inner Loop Header: Depth=2
	s_delay_alu instid0(VALU_DEP_1) | instskip(NEXT) | instid1(VALU_DEP_1)
	v_sub_nc_u32_e32 v48, v47, v45
	v_lshrrev_b32_e32 v48, 1, v48
	s_delay_alu instid0(VALU_DEP_1) | instskip(NEXT) | instid1(VALU_DEP_1)
	v_add_nc_u32_e32 v48, v48, v45
	v_add_nc_u32_e32 v49, v1, v48
	v_xad_u32 v50, v48, -1, v24
	v_add_nc_u32_e32 v51, 1, v48
	ds_load_u8 v49, v49
	ds_load_u8 v50, v50
	s_wait_dscnt 0x0
	v_cmp_lt_u16_e64 s7, v50, v49
	s_wait_alu 0xf1ff
	s_delay_alu instid0(VALU_DEP_1) | instskip(SKIP_1) | instid1(VALU_DEP_1)
	v_cndmask_b32_e64 v47, v47, v48, s7
	v_cndmask_b32_e64 v45, v51, v45, s7
	v_cmp_ge_i32_e64 s7, v45, v47
	s_or_b32 s9, s7, s9
	s_delay_alu instid0(SALU_CYCLE_1)
	s_and_not1_b32 exec_lo, exec_lo, s9
	s_cbranch_execnz .LBB101_4
; %bb.5:                                ;   in Loop: Header=BB101_2 Depth=1
	s_or_b32 exec_lo, exec_lo, s9
.LBB101_6:                              ;   in Loop: Header=BB101_2 Depth=1
	s_delay_alu instid0(SALU_CYCLE_1)
	s_or_b32 exec_lo, exec_lo, s8
	v_add_nc_u32_e32 v47, v45, v1
	v_sub_nc_u32_e32 v45, v24, v45
	ds_load_u8 v48, v47
	ds_load_u8 v49, v45
	s_wait_loadcnt_dscnt 0x0
	s_barrier_signal -1
	s_barrier_wait -1
	global_inv scope:SCOPE_SE
	ds_store_b8 v0, v46
	v_mov_b32_e32 v46, v38
	v_cmp_le_i32_e64 s7, v10, v47
	v_cmp_ge_i32_e64 s9, v10, v45
	s_wait_loadcnt_dscnt 0x0
	s_barrier_signal -1
	s_barrier_wait -1
	global_inv scope:SCOPE_SE
	v_and_b32_e32 v50, 0xff, v48
	v_and_b32_e32 v51, 0xff, v49
	s_delay_alu instid0(VALU_DEP_1)
	v_cmp_lt_u16_e64 s8, v51, v50
	s_or_b32 s7, s7, s8
	s_wait_alu 0xfffe
	s_and_b32 s7, s9, s7
	s_wait_alu 0xfffe
	v_cndmask_b32_e64 v45, v47, v45, s7
	v_cndmask_b32_e64 v48, v48, v49, s7
	ds_load_u8 v45, v45
	s_wait_loadcnt_dscnt 0x0
	s_barrier_signal -1
	s_barrier_wait -1
	global_inv scope:SCOPE_SE
	ds_store_b8 v0, v48
	s_wait_loadcnt_dscnt 0x0
	s_barrier_signal -1
	s_barrier_wait -1
	global_inv scope:SCOPE_SE
	s_and_saveexec_b32 s8, s1
	s_cbranch_execz .LBB101_10
; %bb.7:                                ;   in Loop: Header=BB101_2 Depth=1
	v_dual_mov_b32 v46, v38 :: v_dual_mov_b32 v47, v32
	s_mov_b32 s9, 0
.LBB101_8:                              ;   Parent Loop BB101_2 Depth=1
                                        ; =>  This Inner Loop Header: Depth=2
	s_delay_alu instid0(VALU_DEP_1) | instskip(NEXT) | instid1(VALU_DEP_1)
	v_sub_nc_u32_e32 v48, v47, v46
	v_lshrrev_b32_e32 v48, 1, v48
	s_delay_alu instid0(VALU_DEP_1) | instskip(NEXT) | instid1(VALU_DEP_1)
	v_add_nc_u32_e32 v48, v48, v46
	v_add_nc_u32_e32 v49, v2, v48
	v_xad_u32 v50, v48, -1, v25
	v_add_nc_u32_e32 v51, 1, v48
	ds_load_u8 v49, v49
	ds_load_u8 v50, v50
	s_wait_dscnt 0x0
	v_cmp_lt_u16_e64 s7, v50, v49
	s_wait_alu 0xf1ff
	s_delay_alu instid0(VALU_DEP_1) | instskip(SKIP_1) | instid1(VALU_DEP_1)
	v_cndmask_b32_e64 v47, v47, v48, s7
	v_cndmask_b32_e64 v46, v51, v46, s7
	v_cmp_ge_i32_e64 s7, v46, v47
	s_or_b32 s9, s7, s9
	s_delay_alu instid0(SALU_CYCLE_1)
	s_and_not1_b32 exec_lo, exec_lo, s9
	s_cbranch_execnz .LBB101_8
; %bb.9:                                ;   in Loop: Header=BB101_2 Depth=1
	s_or_b32 exec_lo, exec_lo, s9
.LBB101_10:                             ;   in Loop: Header=BB101_2 Depth=1
	s_delay_alu instid0(SALU_CYCLE_1)
	s_or_b32 exec_lo, exec_lo, s8
	v_add_nc_u32_e32 v47, v46, v2
	v_sub_nc_u32_e32 v46, v25, v46
	ds_load_u8 v48, v47
	ds_load_u8 v49, v46
	v_cmp_le_i32_e64 s7, v11, v47
	v_cmp_gt_i32_e64 s9, v12, v46
	s_wait_loadcnt_dscnt 0x0
	s_barrier_signal -1
	s_barrier_wait -1
	global_inv scope:SCOPE_SE
	ds_store_b8 v0, v45
	s_wait_loadcnt_dscnt 0x0
	s_barrier_signal -1
	s_barrier_wait -1
	global_inv scope:SCOPE_SE
	v_and_b32_e32 v50, 0xff, v48
	v_and_b32_e32 v51, 0xff, v49
	s_delay_alu instid0(VALU_DEP_1)
	v_cmp_lt_u16_e64 s8, v51, v50
	s_or_b32 s7, s7, s8
	s_wait_alu 0xfffe
	s_and_b32 s7, s9, s7
	s_wait_alu 0xfffe
	v_cndmask_b32_e64 v46, v47, v46, s7
	v_cndmask_b32_e64 v48, v48, v49, s7
	ds_load_u8 v45, v46
	v_mov_b32_e32 v46, v39
	s_wait_loadcnt_dscnt 0x0
	s_barrier_signal -1
	s_barrier_wait -1
	global_inv scope:SCOPE_SE
	ds_store_b8 v0, v48
	s_wait_loadcnt_dscnt 0x0
	s_barrier_signal -1
	s_barrier_wait -1
	global_inv scope:SCOPE_SE
	s_and_saveexec_b32 s8, s2
	s_cbranch_execz .LBB101_14
; %bb.11:                               ;   in Loop: Header=BB101_2 Depth=1
	v_dual_mov_b32 v46, v39 :: v_dual_mov_b32 v47, v33
	s_mov_b32 s9, 0
.LBB101_12:                             ;   Parent Loop BB101_2 Depth=1
                                        ; =>  This Inner Loop Header: Depth=2
	s_delay_alu instid0(VALU_DEP_1) | instskip(NEXT) | instid1(VALU_DEP_1)
	v_sub_nc_u32_e32 v48, v47, v46
	v_lshrrev_b32_e32 v48, 1, v48
	s_delay_alu instid0(VALU_DEP_1) | instskip(NEXT) | instid1(VALU_DEP_1)
	v_add_nc_u32_e32 v48, v48, v46
	v_add_nc_u32_e32 v49, v3, v48
	v_xad_u32 v50, v48, -1, v26
	v_add_nc_u32_e32 v51, 1, v48
	ds_load_u8 v49, v49
	ds_load_u8 v50, v50
	s_wait_dscnt 0x0
	v_cmp_lt_u16_e64 s7, v50, v49
	s_wait_alu 0xf1ff
	s_delay_alu instid0(VALU_DEP_1) | instskip(SKIP_1) | instid1(VALU_DEP_1)
	v_cndmask_b32_e64 v47, v47, v48, s7
	v_cndmask_b32_e64 v46, v51, v46, s7
	v_cmp_ge_i32_e64 s7, v46, v47
	s_or_b32 s9, s7, s9
	s_delay_alu instid0(SALU_CYCLE_1)
	s_and_not1_b32 exec_lo, exec_lo, s9
	s_cbranch_execnz .LBB101_12
; %bb.13:                               ;   in Loop: Header=BB101_2 Depth=1
	s_or_b32 exec_lo, exec_lo, s9
.LBB101_14:                             ;   in Loop: Header=BB101_2 Depth=1
	s_delay_alu instid0(SALU_CYCLE_1)
	s_or_b32 exec_lo, exec_lo, s8
	v_add_nc_u32_e32 v47, v46, v3
	v_sub_nc_u32_e32 v46, v26, v46
	ds_load_u8 v48, v47
	ds_load_u8 v49, v46
	v_cmp_le_i32_e64 s7, v13, v47
	v_cmp_gt_i32_e64 s9, v14, v46
	s_wait_loadcnt_dscnt 0x0
	s_barrier_signal -1
	s_barrier_wait -1
	global_inv scope:SCOPE_SE
	ds_store_b8 v0, v45
	s_wait_loadcnt_dscnt 0x0
	s_barrier_signal -1
	s_barrier_wait -1
	global_inv scope:SCOPE_SE
	v_and_b32_e32 v50, 0xff, v48
	v_and_b32_e32 v51, 0xff, v49
	s_delay_alu instid0(VALU_DEP_1)
	v_cmp_lt_u16_e64 s8, v51, v50
	s_or_b32 s7, s7, s8
	s_wait_alu 0xfffe
	s_and_b32 s7, s9, s7
	s_wait_alu 0xfffe
	v_cndmask_b32_e64 v46, v47, v46, s7
	v_cndmask_b32_e64 v48, v48, v49, s7
	ds_load_u8 v45, v46
	v_mov_b32_e32 v46, v40
	s_wait_loadcnt_dscnt 0x0
	s_barrier_signal -1
	s_barrier_wait -1
	global_inv scope:SCOPE_SE
	ds_store_b8 v0, v48
	s_wait_loadcnt_dscnt 0x0
	s_barrier_signal -1
	s_barrier_wait -1
	global_inv scope:SCOPE_SE
	s_and_saveexec_b32 s8, s3
	s_cbranch_execz .LBB101_18
; %bb.15:                               ;   in Loop: Header=BB101_2 Depth=1
	v_dual_mov_b32 v46, v40 :: v_dual_mov_b32 v47, v34
	s_mov_b32 s9, 0
.LBB101_16:                             ;   Parent Loop BB101_2 Depth=1
                                        ; =>  This Inner Loop Header: Depth=2
	s_delay_alu instid0(VALU_DEP_1) | instskip(NEXT) | instid1(VALU_DEP_1)
	v_sub_nc_u32_e32 v48, v47, v46
	v_lshrrev_b32_e32 v48, 1, v48
	s_delay_alu instid0(VALU_DEP_1) | instskip(NEXT) | instid1(VALU_DEP_1)
	v_add_nc_u32_e32 v48, v48, v46
	v_add_nc_u32_e32 v49, v4, v48
	v_xad_u32 v50, v48, -1, v27
	v_add_nc_u32_e32 v51, 1, v48
	ds_load_u8 v49, v49
	ds_load_u8 v50, v50
	s_wait_dscnt 0x0
	v_cmp_lt_u16_e64 s7, v50, v49
	s_wait_alu 0xf1ff
	s_delay_alu instid0(VALU_DEP_1) | instskip(SKIP_1) | instid1(VALU_DEP_1)
	v_cndmask_b32_e64 v47, v47, v48, s7
	v_cndmask_b32_e64 v46, v51, v46, s7
	v_cmp_ge_i32_e64 s7, v46, v47
	s_or_b32 s9, s7, s9
	s_delay_alu instid0(SALU_CYCLE_1)
	s_and_not1_b32 exec_lo, exec_lo, s9
	s_cbranch_execnz .LBB101_16
; %bb.17:                               ;   in Loop: Header=BB101_2 Depth=1
	s_or_b32 exec_lo, exec_lo, s9
.LBB101_18:                             ;   in Loop: Header=BB101_2 Depth=1
	s_delay_alu instid0(SALU_CYCLE_1)
	s_or_b32 exec_lo, exec_lo, s8
	v_add_nc_u32_e32 v47, v46, v4
	v_sub_nc_u32_e32 v46, v27, v46
	ds_load_u8 v48, v47
	ds_load_u8 v49, v46
	v_cmp_le_i32_e64 s7, v15, v47
	v_cmp_gt_i32_e64 s9, v16, v46
	s_wait_loadcnt_dscnt 0x0
	s_barrier_signal -1
	s_barrier_wait -1
	global_inv scope:SCOPE_SE
	ds_store_b8 v0, v45
	s_wait_loadcnt_dscnt 0x0
	s_barrier_signal -1
	s_barrier_wait -1
	global_inv scope:SCOPE_SE
	v_and_b32_e32 v50, 0xff, v48
	v_and_b32_e32 v51, 0xff, v49
	s_delay_alu instid0(VALU_DEP_1)
	v_cmp_lt_u16_e64 s8, v51, v50
	s_or_b32 s7, s7, s8
	s_wait_alu 0xfffe
	s_and_b32 s7, s9, s7
	s_wait_alu 0xfffe
	v_cndmask_b32_e64 v46, v47, v46, s7
	v_cndmask_b32_e64 v48, v48, v49, s7
	ds_load_u8 v45, v46
	v_mov_b32_e32 v46, v41
	s_wait_loadcnt_dscnt 0x0
	s_barrier_signal -1
	s_barrier_wait -1
	global_inv scope:SCOPE_SE
	ds_store_b8 v0, v48
	s_wait_loadcnt_dscnt 0x0
	s_barrier_signal -1
	s_barrier_wait -1
	global_inv scope:SCOPE_SE
	s_and_saveexec_b32 s8, s4
	s_cbranch_execz .LBB101_22
; %bb.19:                               ;   in Loop: Header=BB101_2 Depth=1
	v_dual_mov_b32 v46, v41 :: v_dual_mov_b32 v47, v35
	s_mov_b32 s9, 0
.LBB101_20:                             ;   Parent Loop BB101_2 Depth=1
                                        ; =>  This Inner Loop Header: Depth=2
	s_delay_alu instid0(VALU_DEP_1) | instskip(NEXT) | instid1(VALU_DEP_1)
	v_sub_nc_u32_e32 v48, v47, v46
	v_lshrrev_b32_e32 v48, 1, v48
	s_delay_alu instid0(VALU_DEP_1) | instskip(NEXT) | instid1(VALU_DEP_1)
	v_add_nc_u32_e32 v48, v48, v46
	v_add_nc_u32_e32 v49, v5, v48
	v_xad_u32 v50, v48, -1, v28
	v_add_nc_u32_e32 v51, 1, v48
	ds_load_u8 v49, v49
	ds_load_u8 v50, v50
	s_wait_dscnt 0x0
	v_cmp_lt_u16_e64 s7, v50, v49
	s_wait_alu 0xf1ff
	s_delay_alu instid0(VALU_DEP_1) | instskip(SKIP_1) | instid1(VALU_DEP_1)
	v_cndmask_b32_e64 v47, v47, v48, s7
	v_cndmask_b32_e64 v46, v51, v46, s7
	v_cmp_ge_i32_e64 s7, v46, v47
	s_or_b32 s9, s7, s9
	s_delay_alu instid0(SALU_CYCLE_1)
	s_and_not1_b32 exec_lo, exec_lo, s9
	s_cbranch_execnz .LBB101_20
; %bb.21:                               ;   in Loop: Header=BB101_2 Depth=1
	s_or_b32 exec_lo, exec_lo, s9
.LBB101_22:                             ;   in Loop: Header=BB101_2 Depth=1
	s_delay_alu instid0(SALU_CYCLE_1)
	s_or_b32 exec_lo, exec_lo, s8
	v_add_nc_u32_e32 v47, v46, v5
	v_sub_nc_u32_e32 v46, v28, v46
	ds_load_u8 v48, v47
	ds_load_u8 v49, v46
	v_cmp_le_i32_e64 s7, v17, v47
	v_cmp_gt_i32_e64 s9, v18, v46
	s_wait_loadcnt_dscnt 0x0
	s_barrier_signal -1
	s_barrier_wait -1
	global_inv scope:SCOPE_SE
	ds_store_b8 v0, v45
	s_wait_loadcnt_dscnt 0x0
	s_barrier_signal -1
	s_barrier_wait -1
	global_inv scope:SCOPE_SE
	v_and_b32_e32 v50, 0xff, v48
	v_and_b32_e32 v51, 0xff, v49
	s_delay_alu instid0(VALU_DEP_1)
	v_cmp_lt_u16_e64 s8, v51, v50
	s_or_b32 s7, s7, s8
	s_wait_alu 0xfffe
	s_and_b32 s7, s9, s7
	s_wait_alu 0xfffe
	v_cndmask_b32_e64 v46, v47, v46, s7
	v_cndmask_b32_e64 v48, v48, v49, s7
	ds_load_u8 v45, v46
	v_mov_b32_e32 v46, v42
	s_wait_loadcnt_dscnt 0x0
	s_barrier_signal -1
	s_barrier_wait -1
	global_inv scope:SCOPE_SE
	ds_store_b8 v0, v48
	s_wait_loadcnt_dscnt 0x0
	s_barrier_signal -1
	s_barrier_wait -1
	global_inv scope:SCOPE_SE
	s_and_saveexec_b32 s8, s5
	s_cbranch_execz .LBB101_26
; %bb.23:                               ;   in Loop: Header=BB101_2 Depth=1
	v_dual_mov_b32 v46, v42 :: v_dual_mov_b32 v47, v36
	s_mov_b32 s9, 0
.LBB101_24:                             ;   Parent Loop BB101_2 Depth=1
                                        ; =>  This Inner Loop Header: Depth=2
	s_delay_alu instid0(VALU_DEP_1) | instskip(NEXT) | instid1(VALU_DEP_1)
	v_sub_nc_u32_e32 v48, v47, v46
	v_lshrrev_b32_e32 v48, 1, v48
	s_delay_alu instid0(VALU_DEP_1) | instskip(NEXT) | instid1(VALU_DEP_1)
	v_add_nc_u32_e32 v48, v48, v46
	v_add_nc_u32_e32 v49, v6, v48
	v_xad_u32 v50, v48, -1, v29
	v_add_nc_u32_e32 v51, 1, v48
	ds_load_u8 v49, v49
	ds_load_u8 v50, v50
	s_wait_dscnt 0x0
	v_cmp_lt_u16_e64 s7, v50, v49
	s_wait_alu 0xf1ff
	s_delay_alu instid0(VALU_DEP_1) | instskip(SKIP_1) | instid1(VALU_DEP_1)
	v_cndmask_b32_e64 v47, v47, v48, s7
	v_cndmask_b32_e64 v46, v51, v46, s7
	v_cmp_ge_i32_e64 s7, v46, v47
	s_or_b32 s9, s7, s9
	s_delay_alu instid0(SALU_CYCLE_1)
	s_and_not1_b32 exec_lo, exec_lo, s9
	s_cbranch_execnz .LBB101_24
; %bb.25:                               ;   in Loop: Header=BB101_2 Depth=1
	s_or_b32 exec_lo, exec_lo, s9
.LBB101_26:                             ;   in Loop: Header=BB101_2 Depth=1
	s_delay_alu instid0(SALU_CYCLE_1)
	s_or_b32 exec_lo, exec_lo, s8
	v_add_nc_u32_e32 v47, v46, v6
	v_sub_nc_u32_e32 v46, v29, v46
	ds_load_u8 v48, v47
	ds_load_u8 v49, v46
	v_cmp_le_i32_e64 s7, v19, v47
	v_cmp_gt_i32_e64 s9, v20, v46
	s_wait_loadcnt_dscnt 0x0
	s_barrier_signal -1
	s_barrier_wait -1
	global_inv scope:SCOPE_SE
	ds_store_b8 v0, v45
	s_wait_loadcnt_dscnt 0x0
	s_barrier_signal -1
	s_barrier_wait -1
	global_inv scope:SCOPE_SE
	v_and_b32_e32 v50, 0xff, v48
	v_and_b32_e32 v51, 0xff, v49
	s_delay_alu instid0(VALU_DEP_1)
	v_cmp_lt_u16_e64 s8, v51, v50
	s_or_b32 s7, s7, s8
	s_wait_alu 0xfffe
	s_and_b32 s7, s9, s7
	s_wait_alu 0xfffe
	v_cndmask_b32_e64 v46, v47, v46, s7
	v_cndmask_b32_e64 v48, v48, v49, s7
	ds_load_u8 v45, v46
	v_mov_b32_e32 v46, v43
	s_wait_loadcnt_dscnt 0x0
	s_barrier_signal -1
	s_barrier_wait -1
	global_inv scope:SCOPE_SE
	ds_store_b8 v0, v48
	s_wait_loadcnt_dscnt 0x0
	s_barrier_signal -1
	s_barrier_wait -1
	global_inv scope:SCOPE_SE
	s_and_saveexec_b32 s8, s6
	s_cbranch_execz .LBB101_30
; %bb.27:                               ;   in Loop: Header=BB101_2 Depth=1
	v_dual_mov_b32 v46, v43 :: v_dual_mov_b32 v47, v37
	s_mov_b32 s9, 0
.LBB101_28:                             ;   Parent Loop BB101_2 Depth=1
                                        ; =>  This Inner Loop Header: Depth=2
	s_delay_alu instid0(VALU_DEP_1) | instskip(NEXT) | instid1(VALU_DEP_1)
	v_sub_nc_u32_e32 v48, v47, v46
	v_lshrrev_b32_e32 v48, 1, v48
	s_delay_alu instid0(VALU_DEP_1) | instskip(NEXT) | instid1(VALU_DEP_1)
	v_add_nc_u32_e32 v48, v48, v46
	v_add_nc_u32_e32 v49, v7, v48
	v_xad_u32 v50, v48, -1, v30
	v_add_nc_u32_e32 v51, 1, v48
	ds_load_u8 v49, v49
	ds_load_u8 v50, v50
	s_wait_dscnt 0x0
	v_cmp_lt_u16_e64 s7, v50, v49
	s_wait_alu 0xf1ff
	s_delay_alu instid0(VALU_DEP_1) | instskip(SKIP_1) | instid1(VALU_DEP_1)
	v_cndmask_b32_e64 v47, v47, v48, s7
	v_cndmask_b32_e64 v46, v51, v46, s7
	v_cmp_ge_i32_e64 s7, v46, v47
	s_or_b32 s9, s7, s9
	s_delay_alu instid0(SALU_CYCLE_1)
	s_and_not1_b32 exec_lo, exec_lo, s9
	s_cbranch_execnz .LBB101_28
; %bb.29:                               ;   in Loop: Header=BB101_2 Depth=1
	s_or_b32 exec_lo, exec_lo, s9
.LBB101_30:                             ;   in Loop: Header=BB101_2 Depth=1
	s_delay_alu instid0(SALU_CYCLE_1)
	s_or_b32 exec_lo, exec_lo, s8
	v_add_nc_u32_e32 v47, v46, v7
	v_sub_nc_u32_e32 v46, v30, v46
	ds_load_u8 v48, v47
	ds_load_u8 v49, v46
	v_cmp_le_i32_e64 s7, v21, v47
	v_cmp_gt_i32_e64 s9, v22, v46
	s_wait_loadcnt_dscnt 0x0
	s_barrier_signal -1
	s_barrier_wait -1
	global_inv scope:SCOPE_SE
	ds_store_b8 v0, v45
	s_wait_loadcnt_dscnt 0x0
	s_barrier_signal -1
	s_barrier_wait -1
	global_inv scope:SCOPE_SE
	v_and_b32_e32 v50, 0xff, v48
	v_and_b32_e32 v51, 0xff, v49
	s_delay_alu instid0(VALU_DEP_1)
	v_cmp_lt_u16_e64 s8, v51, v50
	s_or_b32 s7, s7, s8
	s_wait_alu 0xfffe
	s_and_b32 s7, s9, s7
	s_wait_alu 0xfffe
	v_cndmask_b32_e64 v46, v47, v46, s7
	v_cndmask_b32_e64 v48, v48, v49, s7
	v_mov_b32_e32 v47, v8
	ds_load_u8 v46, v46
	s_wait_loadcnt_dscnt 0x0
	s_barrier_signal -1
	s_barrier_wait -1
	global_inv scope:SCOPE_SE
	ds_store_b8 v0, v48
	s_wait_loadcnt_dscnt 0x0
	s_barrier_signal -1
	s_barrier_wait -1
	global_inv scope:SCOPE_SE
	s_and_saveexec_b32 s8, vcc_lo
	s_cbranch_execz .LBB101_1
; %bb.31:                               ;   in Loop: Header=BB101_2 Depth=1
	v_mov_b32_e32 v47, v8
	v_mov_b32_e32 v45, v9
	s_mov_b32 s9, 0
.LBB101_32:                             ;   Parent Loop BB101_2 Depth=1
                                        ; =>  This Inner Loop Header: Depth=2
	s_delay_alu instid0(VALU_DEP_1) | instskip(NEXT) | instid1(VALU_DEP_1)
	v_sub_nc_u32_e32 v48, v45, v47
	v_lshrrev_b32_e32 v48, 1, v48
	s_delay_alu instid0(VALU_DEP_1) | instskip(NEXT) | instid1(VALU_DEP_1)
	v_add_nc_u32_e32 v48, v48, v47
	v_xad_u32 v49, v48, -1, v44
	v_add_nc_u32_e32 v51, 1, v48
	ds_load_u8 v50, v48
	ds_load_u8 v49, v49
	s_wait_dscnt 0x0
	v_cmp_lt_u16_e64 s7, v49, v50
	s_wait_alu 0xf1ff
	s_delay_alu instid0(VALU_DEP_1) | instskip(SKIP_1) | instid1(VALU_DEP_1)
	v_cndmask_b32_e64 v45, v45, v48, s7
	v_cndmask_b32_e64 v47, v51, v47, s7
	v_cmp_ge_i32_e64 s7, v47, v45
	s_or_b32 s9, s7, s9
	s_delay_alu instid0(SALU_CYCLE_1)
	s_and_not1_b32 exec_lo, exec_lo, s9
	s_cbranch_execnz .LBB101_32
; %bb.33:                               ;   in Loop: Header=BB101_2 Depth=1
	s_or_b32 exec_lo, exec_lo, s9
	s_branch .LBB101_1
.LBB101_34:
	s_add_nc_u64 s[0:1], s[10:11], s[12:13]
	s_wait_dscnt 0x0
	v_add_nc_u16 v2, v45, v46
	s_wait_alu 0xfffe
	v_add_co_u32 v0, s0, s0, v0
	s_wait_alu 0xf1ff
	v_add_co_ci_u32_e64 v1, null, s1, 0, s0
	global_store_b8 v[0:1], v2, off
	s_endpgm
	.section	.rodata,"a",@progbits
	.p2align	6, 0x0
	.amdhsa_kernel _Z17sort_pairs_kernelIhLj256ELj1EN10test_utils4lessELj10EEvPKT_PS2_T2_
		.amdhsa_group_segment_fixed_size 257
		.amdhsa_private_segment_fixed_size 0
		.amdhsa_kernarg_size 20
		.amdhsa_user_sgpr_count 2
		.amdhsa_user_sgpr_dispatch_ptr 0
		.amdhsa_user_sgpr_queue_ptr 0
		.amdhsa_user_sgpr_kernarg_segment_ptr 1
		.amdhsa_user_sgpr_dispatch_id 0
		.amdhsa_user_sgpr_private_segment_size 0
		.amdhsa_wavefront_size32 1
		.amdhsa_uses_dynamic_stack 0
		.amdhsa_enable_private_segment 0
		.amdhsa_system_sgpr_workgroup_id_x 1
		.amdhsa_system_sgpr_workgroup_id_y 0
		.amdhsa_system_sgpr_workgroup_id_z 0
		.amdhsa_system_sgpr_workgroup_info 0
		.amdhsa_system_vgpr_workitem_id 0
		.amdhsa_next_free_vgpr 58
		.amdhsa_next_free_sgpr 15
		.amdhsa_reserve_vcc 1
		.amdhsa_float_round_mode_32 0
		.amdhsa_float_round_mode_16_64 0
		.amdhsa_float_denorm_mode_32 3
		.amdhsa_float_denorm_mode_16_64 3
		.amdhsa_fp16_overflow 0
		.amdhsa_workgroup_processor_mode 1
		.amdhsa_memory_ordered 1
		.amdhsa_forward_progress 1
		.amdhsa_inst_pref_size 28
		.amdhsa_round_robin_scheduling 0
		.amdhsa_exception_fp_ieee_invalid_op 0
		.amdhsa_exception_fp_denorm_src 0
		.amdhsa_exception_fp_ieee_div_zero 0
		.amdhsa_exception_fp_ieee_overflow 0
		.amdhsa_exception_fp_ieee_underflow 0
		.amdhsa_exception_fp_ieee_inexact 0
		.amdhsa_exception_int_div_zero 0
	.end_amdhsa_kernel
	.section	.text._Z17sort_pairs_kernelIhLj256ELj1EN10test_utils4lessELj10EEvPKT_PS2_T2_,"axG",@progbits,_Z17sort_pairs_kernelIhLj256ELj1EN10test_utils4lessELj10EEvPKT_PS2_T2_,comdat
.Lfunc_end101:
	.size	_Z17sort_pairs_kernelIhLj256ELj1EN10test_utils4lessELj10EEvPKT_PS2_T2_, .Lfunc_end101-_Z17sort_pairs_kernelIhLj256ELj1EN10test_utils4lessELj10EEvPKT_PS2_T2_
                                        ; -- End function
	.set _Z17sort_pairs_kernelIhLj256ELj1EN10test_utils4lessELj10EEvPKT_PS2_T2_.num_vgpr, 58
	.set _Z17sort_pairs_kernelIhLj256ELj1EN10test_utils4lessELj10EEvPKT_PS2_T2_.num_agpr, 0
	.set _Z17sort_pairs_kernelIhLj256ELj1EN10test_utils4lessELj10EEvPKT_PS2_T2_.numbered_sgpr, 15
	.set _Z17sort_pairs_kernelIhLj256ELj1EN10test_utils4lessELj10EEvPKT_PS2_T2_.num_named_barrier, 0
	.set _Z17sort_pairs_kernelIhLj256ELj1EN10test_utils4lessELj10EEvPKT_PS2_T2_.private_seg_size, 0
	.set _Z17sort_pairs_kernelIhLj256ELj1EN10test_utils4lessELj10EEvPKT_PS2_T2_.uses_vcc, 1
	.set _Z17sort_pairs_kernelIhLj256ELj1EN10test_utils4lessELj10EEvPKT_PS2_T2_.uses_flat_scratch, 0
	.set _Z17sort_pairs_kernelIhLj256ELj1EN10test_utils4lessELj10EEvPKT_PS2_T2_.has_dyn_sized_stack, 0
	.set _Z17sort_pairs_kernelIhLj256ELj1EN10test_utils4lessELj10EEvPKT_PS2_T2_.has_recursion, 0
	.set _Z17sort_pairs_kernelIhLj256ELj1EN10test_utils4lessELj10EEvPKT_PS2_T2_.has_indirect_call, 0
	.section	.AMDGPU.csdata,"",@progbits
; Kernel info:
; codeLenInByte = 3564
; TotalNumSgprs: 17
; NumVgprs: 58
; ScratchSize: 0
; MemoryBound: 0
; FloatMode: 240
; IeeeMode: 1
; LDSByteSize: 257 bytes/workgroup (compile time only)
; SGPRBlocks: 0
; VGPRBlocks: 7
; NumSGPRsForWavesPerEU: 17
; NumVGPRsForWavesPerEU: 58
; Occupancy: 16
; WaveLimiterHint : 0
; COMPUTE_PGM_RSRC2:SCRATCH_EN: 0
; COMPUTE_PGM_RSRC2:USER_SGPR: 2
; COMPUTE_PGM_RSRC2:TRAP_HANDLER: 0
; COMPUTE_PGM_RSRC2:TGID_X_EN: 1
; COMPUTE_PGM_RSRC2:TGID_Y_EN: 0
; COMPUTE_PGM_RSRC2:TGID_Z_EN: 0
; COMPUTE_PGM_RSRC2:TIDIG_COMP_CNT: 0
	.section	.text._Z16sort_keys_kernelIhLj256ELj2EN10test_utils4lessELj10EEvPKT_PS2_T2_,"axG",@progbits,_Z16sort_keys_kernelIhLj256ELj2EN10test_utils4lessELj10EEvPKT_PS2_T2_,comdat
	.protected	_Z16sort_keys_kernelIhLj256ELj2EN10test_utils4lessELj10EEvPKT_PS2_T2_ ; -- Begin function _Z16sort_keys_kernelIhLj256ELj2EN10test_utils4lessELj10EEvPKT_PS2_T2_
	.globl	_Z16sort_keys_kernelIhLj256ELj2EN10test_utils4lessELj10EEvPKT_PS2_T2_
	.p2align	8
	.type	_Z16sort_keys_kernelIhLj256ELj2EN10test_utils4lessELj10EEvPKT_PS2_T2_,@function
_Z16sort_keys_kernelIhLj256ELj2EN10test_utils4lessELj10EEvPKT_PS2_T2_: ; @_Z16sort_keys_kernelIhLj256ELj2EN10test_utils4lessELj10EEvPKT_PS2_T2_
; %bb.0:
	s_load_b128 s[12:15], s[0:1], 0x0
	s_lshl_b32 s16, ttmp9, 9
	s_mov_b32 s17, 0
	v_lshlrev_b32_e32 v1, 1, v0
	s_mov_b32 s11, s17
	s_delay_alu instid0(VALU_DEP_1) | instskip(SKIP_1) | instid1(VALU_DEP_2)
	v_and_b32_e32 v2, 0x1fc, v1
	v_and_b32_e32 v16, 2, v1
	v_or_b32_e32 v3, 2, v2
	v_add_nc_u32_e32 v4, 4, v2
	s_delay_alu instid0(VALU_DEP_2) | instskip(NEXT) | instid1(VALU_DEP_2)
	v_sub_nc_u32_e32 v10, v3, v2
	v_sub_nc_u32_e32 v8, v4, v3
	s_wait_kmcnt 0x0
	s_add_nc_u64 s[0:1], s[12:13], s[16:17]
	s_clause 0x1
	global_load_u8 v48, v0, s[0:1] offset:256
	global_load_u8 v47, v0, s[0:1]
	v_sub_nc_u32_e32 v9, v16, v8
	v_cmp_ge_i32_e32 vcc_lo, v16, v8
	s_delay_alu instid0(VALU_DEP_2)
	v_cndmask_b32_e32 v8, 0, v9, vcc_lo
	v_and_b32_e32 v5, 0x1f8, v1
	v_and_b32_e32 v19, 6, v1
	v_min_i32_e32 v9, v16, v10
	v_and_b32_e32 v10, 0x1f0, v1
	v_and_b32_e32 v15, 0x1e0, v1
	v_or_b32_e32 v6, 4, v5
	v_add_nc_u32_e32 v7, 8, v5
	v_and_b32_e32 v27, 14, v1
	v_add_nc_u32_e32 v14, 16, v10
	v_or_b32_e32 v17, 16, v15
	v_sub_nc_u32_e32 v13, v6, v5
	v_sub_nc_u32_e32 v11, v7, v6
	v_add_nc_u32_e32 v18, 32, v15
	v_and_b32_e32 v20, 0x1c0, v1
	v_and_b32_e32 v28, 30, v1
	v_sub_nc_u32_e32 v29, v17, v15
	v_sub_nc_u32_e32 v12, v19, v11
	v_cmp_ge_i32_e64 s0, v19, v11
	v_sub_nc_u32_e32 v25, v18, v17
	v_add_nc_u32_e32 v24, 64, v20
	v_and_b32_e32 v37, 62, v1
	v_and_b32_e32 v30, 0x100, v1
	v_cndmask_b32_e64 v11, 0, v12, s0
	v_min_i32_e32 v12, v19, v13
	v_or_b32_e32 v13, 8, v10
	v_sub_nc_u32_e32 v26, v28, v25
	v_or_b32_e32 v35, 0x80, v30
	v_add_nc_u32_e32 v36, 0x100, v30
	v_and_b32_e32 v44, 0x7e, v1
	v_sub_nc_u32_e32 v21, v14, v13
	v_and_b32_e32 v45, 0xfe, v1
	v_sub_nc_u32_e32 v22, v13, v10
	v_sub_nc_u32_e32 v40, v36, v35
	;; [unrolled: 1-line block ×4, first 2 shown]
	v_cmp_ge_i32_e64 s1, v27, v21
	v_min_i32_e32 v22, v27, v22
	v_sub_nc_u32_e32 v43, v45, v40
	v_add_nc_u32_e32 v16, v3, v16
	v_cmp_lt_i32_e64 s0, v11, v12
	s_wait_alu 0xf1ff
	v_cndmask_b32_e64 v21, 0, v23, s1
	v_or_b32_e32 v23, 32, v20
	v_cmp_ge_i32_e64 s1, v28, v25
	v_add_nc_u32_e32 v19, v6, v19
	v_add_nc_u32_e32 v27, v13, v27
	;; [unrolled: 1-line block ×3, first 2 shown]
	v_sub_nc_u32_e32 v31, v24, v23
	s_wait_alu 0xf1ff
	v_cndmask_b32_e64 v25, 0, v26, s1
	v_min_i32_e32 v26, v28, v29
	v_and_b32_e32 v29, 0x180, v1
	v_sub_nc_u32_e32 v34, v23, v20
	v_sub_nc_u32_e32 v32, v37, v31
	v_cmp_ge_i32_e64 s3, v37, v31
	v_cmp_lt_i32_e64 s1, v21, v22
	v_add_nc_u32_e32 v33, 0x80, v29
	v_min_i32_e32 v34, v37, v34
	v_cmp_lt_i32_e64 s2, v25, v26
	v_cndmask_b32_e64 v31, 0, v32, s3
	v_or_b32_e32 v32, 64, v29
	v_add_nc_u32_e32 v28, v17, v28
	v_add_nc_u32_e32 v37, v23, v37
	v_cmp_lt_i32_e32 vcc_lo, v8, v9
	v_cmp_lt_i32_e64 s3, v31, v34
	v_sub_nc_u32_e32 v38, v33, v32
	v_sub_nc_u32_e32 v41, v32, v29
	s_delay_alu instid0(VALU_DEP_2) | instskip(SKIP_1) | instid1(VALU_DEP_1)
	v_sub_nc_u32_e32 v39, v44, v38
	v_cmp_ge_i32_e64 s4, v44, v38
	v_cndmask_b32_e64 v38, 0, v39, s4
	v_cmp_ge_i32_e64 s4, v45, v40
	v_min_i32_e32 v39, v44, v41
	v_min_i32_e32 v41, v45, v42
	v_subrev_nc_u32_e64 v42, 0x100, v1 clamp
	v_add_nc_u32_e32 v44, v32, v44
	s_wait_alu 0xf1ff
	v_cndmask_b32_e64 v40, 0, v43, s4
	v_min_i32_e32 v43, 0x100, v1
	v_cmp_lt_i32_e64 s4, v38, v39
	v_add_nc_u32_e32 v45, v35, v45
	s_delay_alu instid0(VALU_DEP_4) | instskip(NEXT) | instid1(VALU_DEP_4)
	v_cmp_lt_i32_e64 s5, v40, v41
	v_cmp_lt_i32_e64 s6, v42, v43
	s_branch .LBB102_2
.LBB102_1:                              ;   in Loop: Header=BB102_2 Depth=1
	s_or_b32 exec_lo, exec_lo, s8
	s_wait_dscnt 0x0
	v_and_b32_e32 v47, 0xff, v51
	v_and_b32_e32 v54, 0xff, v53
	v_cmp_le_i32_e64 s8, 0x100, v52
	v_cmp_gt_i32_e64 s10, 0x200, v50
	s_add_co_i32 s11, s11, 1
	v_cmp_lt_u16_e64 s9, v54, v47
	v_cndmask_b32_e64 v47, v48, v49, s7
	s_or_b32 s8, s8, s9
	s_delay_alu instid0(SALU_CYCLE_1)
	s_and_b32 s7, s10, s8
	s_cmp_eq_u32 s11, 10
	s_wait_alu 0xfffe
	v_cndmask_b32_e64 v48, v51, v53, s7
	s_cbranch_scc1 .LBB102_66
.LBB102_2:                              ; =>This Loop Header: Depth=1
                                        ;     Child Loop BB102_4 Depth 2
                                        ;     Child Loop BB102_12 Depth 2
	;; [unrolled: 1-line block ×8, first 2 shown]
	s_wait_loadcnt 0x0
	v_and_b32_e32 v49, 0xff, v47
	s_delay_alu instid0(VALU_DEP_2) | instskip(SKIP_3) | instid1(VALU_DEP_3)
	v_and_b32_e32 v50, 0xff, v48
	v_perm_b32 v51, v48, v47, 0xc0c0004
	v_perm_b32 v47, v47, v48, 0xc0c0004
	s_barrier_signal -1
	v_cmp_lt_u16_e64 s7, v50, v49
	s_barrier_wait -1
	global_inv scope:SCOPE_SE
	s_wait_alu 0xf1ff
	v_cndmask_b32_e64 v48, v47, v51, s7
	v_mov_b32_e32 v47, v8
	s_delay_alu instid0(VALU_DEP_2)
	v_lshrrev_b16 v49, 8, v48
	ds_store_b8 v1, v48
	ds_store_b8 v1, v49 offset:1
	s_wait_loadcnt_dscnt 0x0
	s_barrier_signal -1
	s_barrier_wait -1
	global_inv scope:SCOPE_SE
	s_and_saveexec_b32 s8, vcc_lo
	s_cbranch_execz .LBB102_6
; %bb.3:                                ;   in Loop: Header=BB102_2 Depth=1
	v_dual_mov_b32 v47, v8 :: v_dual_mov_b32 v48, v9
	s_mov_b32 s9, 0
.LBB102_4:                              ;   Parent Loop BB102_2 Depth=1
                                        ; =>  This Inner Loop Header: Depth=2
	s_delay_alu instid0(VALU_DEP_1) | instskip(NEXT) | instid1(VALU_DEP_1)
	v_sub_nc_u32_e32 v49, v48, v47
	v_lshrrev_b32_e32 v49, 1, v49
	s_delay_alu instid0(VALU_DEP_1) | instskip(NEXT) | instid1(VALU_DEP_1)
	v_add_nc_u32_e32 v49, v49, v47
	v_add_nc_u32_e32 v50, v2, v49
	v_xad_u32 v51, v49, -1, v16
	v_add_nc_u32_e32 v52, 1, v49
	ds_load_u8 v50, v50
	ds_load_u8 v51, v51
	s_wait_dscnt 0x0
	v_cmp_lt_u16_e64 s7, v51, v50
	s_wait_alu 0xf1ff
	s_delay_alu instid0(VALU_DEP_1) | instskip(SKIP_1) | instid1(VALU_DEP_1)
	v_cndmask_b32_e64 v48, v48, v49, s7
	v_cndmask_b32_e64 v47, v52, v47, s7
	v_cmp_ge_i32_e64 s7, v47, v48
	s_or_b32 s9, s7, s9
	s_delay_alu instid0(SALU_CYCLE_1)
	s_and_not1_b32 exec_lo, exec_lo, s9
	s_cbranch_execnz .LBB102_4
; %bb.5:                                ;   in Loop: Header=BB102_2 Depth=1
	s_or_b32 exec_lo, exec_lo, s9
.LBB102_6:                              ;   in Loop: Header=BB102_2 Depth=1
	s_delay_alu instid0(SALU_CYCLE_1)
	s_or_b32 exec_lo, exec_lo, s8
	v_add_nc_u32_e32 v49, v47, v2
	v_sub_nc_u32_e32 v50, v16, v47
	ds_load_u8 v47, v49
	ds_load_u8 v48, v50
	v_cmp_le_i32_e64 s7, v3, v49
	v_cmp_gt_i32_e64 s9, v4, v50
	s_wait_dscnt 0x1
	v_and_b32_e32 v51, 0xff, v47
	s_wait_dscnt 0x0
	v_and_b32_e32 v52, 0xff, v48
	s_delay_alu instid0(VALU_DEP_1)
	v_cmp_lt_u16_e64 s8, v52, v51
                                        ; implicit-def: $vgpr51
	s_or_b32 s7, s7, s8
	s_wait_alu 0xfffe
	s_and_b32 s7, s9, s7
	s_wait_alu 0xfffe
	s_xor_b32 s8, s7, -1
	s_delay_alu instid0(SALU_CYCLE_1) | instskip(NEXT) | instid1(SALU_CYCLE_1)
	s_and_saveexec_b32 s9, s8
	s_xor_b32 s8, exec_lo, s9
; %bb.7:                                ;   in Loop: Header=BB102_2 Depth=1
	ds_load_u8 v51, v49 offset:1
; %bb.8:                                ;   in Loop: Header=BB102_2 Depth=1
	s_or_saveexec_b32 s8, s8
	v_mov_b32_e32 v52, v48
	s_xor_b32 exec_lo, exec_lo, s8
	s_cbranch_execz .LBB102_10
; %bb.9:                                ;   in Loop: Header=BB102_2 Depth=1
	ds_load_u8 v52, v50 offset:1
	s_wait_dscnt 0x1
	v_mov_b32_e32 v51, v47
.LBB102_10:                             ;   in Loop: Header=BB102_2 Depth=1
	s_or_b32 exec_lo, exec_lo, s8
	v_add_nc_u32_e32 v53, 1, v49
	v_add_nc_u32_e32 v54, 1, v50
	s_wait_dscnt 0x0
	v_and_b32_e32 v55, 0xff, v51
	v_and_b32_e32 v56, 0xff, v52
	v_cndmask_b32_e64 v48, v47, v48, s7
	v_cndmask_b32_e64 v49, v53, v49, s7
	v_mov_b32_e32 v47, v11
	v_cndmask_b32_e64 v50, v50, v54, s7
	v_cmp_lt_u16_e64 s8, v56, v55
	s_wait_loadcnt 0x0
	v_cmp_ge_i32_e64 s9, v49, v3
	s_barrier_signal -1
	v_cmp_lt_i32_e64 s10, v50, v4
	s_barrier_wait -1
	global_inv scope:SCOPE_SE
	s_or_b32 s7, s9, s8
	s_wait_alu 0xfffe
	s_and_b32 s7, s10, s7
	s_wait_alu 0xfffe
	v_cndmask_b32_e64 v49, v51, v52, s7
	ds_store_b8 v1, v48
	ds_store_b8 v1, v49 offset:1
	s_wait_loadcnt_dscnt 0x0
	s_barrier_signal -1
	s_barrier_wait -1
	global_inv scope:SCOPE_SE
	s_and_saveexec_b32 s8, s0
	s_cbranch_execz .LBB102_14
; %bb.11:                               ;   in Loop: Header=BB102_2 Depth=1
	v_dual_mov_b32 v47, v11 :: v_dual_mov_b32 v48, v12
	s_mov_b32 s9, 0
.LBB102_12:                             ;   Parent Loop BB102_2 Depth=1
                                        ; =>  This Inner Loop Header: Depth=2
	s_delay_alu instid0(VALU_DEP_1) | instskip(NEXT) | instid1(VALU_DEP_1)
	v_sub_nc_u32_e32 v49, v48, v47
	v_lshrrev_b32_e32 v49, 1, v49
	s_delay_alu instid0(VALU_DEP_1) | instskip(NEXT) | instid1(VALU_DEP_1)
	v_add_nc_u32_e32 v49, v49, v47
	v_add_nc_u32_e32 v50, v5, v49
	v_xad_u32 v51, v49, -1, v19
	v_add_nc_u32_e32 v52, 1, v49
	ds_load_u8 v50, v50
	ds_load_u8 v51, v51
	s_wait_dscnt 0x0
	v_cmp_lt_u16_e64 s7, v51, v50
	s_wait_alu 0xf1ff
	s_delay_alu instid0(VALU_DEP_1) | instskip(SKIP_1) | instid1(VALU_DEP_1)
	v_cndmask_b32_e64 v48, v48, v49, s7
	v_cndmask_b32_e64 v47, v52, v47, s7
	v_cmp_ge_i32_e64 s7, v47, v48
	s_or_b32 s9, s7, s9
	s_delay_alu instid0(SALU_CYCLE_1)
	s_and_not1_b32 exec_lo, exec_lo, s9
	s_cbranch_execnz .LBB102_12
; %bb.13:                               ;   in Loop: Header=BB102_2 Depth=1
	s_or_b32 exec_lo, exec_lo, s9
.LBB102_14:                             ;   in Loop: Header=BB102_2 Depth=1
	s_delay_alu instid0(SALU_CYCLE_1)
	s_or_b32 exec_lo, exec_lo, s8
	v_add_nc_u32_e32 v49, v47, v5
	v_sub_nc_u32_e32 v50, v19, v47
	ds_load_u8 v47, v49
	ds_load_u8 v48, v50
	v_cmp_le_i32_e64 s7, v6, v49
	v_cmp_gt_i32_e64 s9, v7, v50
	s_wait_dscnt 0x1
	v_and_b32_e32 v51, 0xff, v47
	s_wait_dscnt 0x0
	v_and_b32_e32 v52, 0xff, v48
	s_delay_alu instid0(VALU_DEP_1)
	v_cmp_lt_u16_e64 s8, v52, v51
                                        ; implicit-def: $vgpr51
	s_or_b32 s7, s7, s8
	s_wait_alu 0xfffe
	s_and_b32 s7, s9, s7
	s_wait_alu 0xfffe
	s_xor_b32 s8, s7, -1
	s_delay_alu instid0(SALU_CYCLE_1) | instskip(NEXT) | instid1(SALU_CYCLE_1)
	s_and_saveexec_b32 s9, s8
	s_xor_b32 s8, exec_lo, s9
; %bb.15:                               ;   in Loop: Header=BB102_2 Depth=1
	ds_load_u8 v51, v49 offset:1
; %bb.16:                               ;   in Loop: Header=BB102_2 Depth=1
	s_or_saveexec_b32 s8, s8
	v_mov_b32_e32 v52, v48
	s_xor_b32 exec_lo, exec_lo, s8
	s_cbranch_execz .LBB102_18
; %bb.17:                               ;   in Loop: Header=BB102_2 Depth=1
	ds_load_u8 v52, v50 offset:1
	s_wait_dscnt 0x1
	v_mov_b32_e32 v51, v47
.LBB102_18:                             ;   in Loop: Header=BB102_2 Depth=1
	s_or_b32 exec_lo, exec_lo, s8
	v_add_nc_u32_e32 v53, 1, v49
	v_add_nc_u32_e32 v54, 1, v50
	s_wait_dscnt 0x0
	v_and_b32_e32 v55, 0xff, v51
	v_and_b32_e32 v56, 0xff, v52
	v_cndmask_b32_e64 v48, v47, v48, s7
	v_cndmask_b32_e64 v49, v53, v49, s7
	v_mov_b32_e32 v47, v21
	v_cndmask_b32_e64 v50, v50, v54, s7
	v_cmp_lt_u16_e64 s8, v56, v55
	s_wait_loadcnt 0x0
	v_cmp_ge_i32_e64 s9, v49, v6
	s_barrier_signal -1
	v_cmp_lt_i32_e64 s10, v50, v7
	s_barrier_wait -1
	global_inv scope:SCOPE_SE
	s_or_b32 s7, s9, s8
	s_wait_alu 0xfffe
	s_and_b32 s7, s10, s7
	s_wait_alu 0xfffe
	v_cndmask_b32_e64 v49, v51, v52, s7
	ds_store_b8 v1, v48
	ds_store_b8 v1, v49 offset:1
	s_wait_loadcnt_dscnt 0x0
	s_barrier_signal -1
	s_barrier_wait -1
	global_inv scope:SCOPE_SE
	s_and_saveexec_b32 s8, s1
	s_cbranch_execz .LBB102_22
; %bb.19:                               ;   in Loop: Header=BB102_2 Depth=1
	v_dual_mov_b32 v47, v21 :: v_dual_mov_b32 v48, v22
	s_mov_b32 s9, 0
.LBB102_20:                             ;   Parent Loop BB102_2 Depth=1
                                        ; =>  This Inner Loop Header: Depth=2
	s_delay_alu instid0(VALU_DEP_1) | instskip(NEXT) | instid1(VALU_DEP_1)
	v_sub_nc_u32_e32 v49, v48, v47
	v_lshrrev_b32_e32 v49, 1, v49
	s_delay_alu instid0(VALU_DEP_1) | instskip(NEXT) | instid1(VALU_DEP_1)
	v_add_nc_u32_e32 v49, v49, v47
	v_add_nc_u32_e32 v50, v10, v49
	v_xad_u32 v51, v49, -1, v27
	v_add_nc_u32_e32 v52, 1, v49
	ds_load_u8 v50, v50
	ds_load_u8 v51, v51
	s_wait_dscnt 0x0
	v_cmp_lt_u16_e64 s7, v51, v50
	s_wait_alu 0xf1ff
	s_delay_alu instid0(VALU_DEP_1) | instskip(SKIP_1) | instid1(VALU_DEP_1)
	v_cndmask_b32_e64 v48, v48, v49, s7
	v_cndmask_b32_e64 v47, v52, v47, s7
	v_cmp_ge_i32_e64 s7, v47, v48
	s_or_b32 s9, s7, s9
	s_delay_alu instid0(SALU_CYCLE_1)
	s_and_not1_b32 exec_lo, exec_lo, s9
	s_cbranch_execnz .LBB102_20
; %bb.21:                               ;   in Loop: Header=BB102_2 Depth=1
	s_or_b32 exec_lo, exec_lo, s9
.LBB102_22:                             ;   in Loop: Header=BB102_2 Depth=1
	s_delay_alu instid0(SALU_CYCLE_1)
	s_or_b32 exec_lo, exec_lo, s8
	v_add_nc_u32_e32 v49, v47, v10
	v_sub_nc_u32_e32 v50, v27, v47
	ds_load_u8 v47, v49
	ds_load_u8 v48, v50
	v_cmp_le_i32_e64 s7, v13, v49
	v_cmp_gt_i32_e64 s9, v14, v50
	s_wait_dscnt 0x1
	v_and_b32_e32 v51, 0xff, v47
	s_wait_dscnt 0x0
	v_and_b32_e32 v52, 0xff, v48
	s_delay_alu instid0(VALU_DEP_1)
	v_cmp_lt_u16_e64 s8, v52, v51
                                        ; implicit-def: $vgpr51
	s_or_b32 s7, s7, s8
	s_wait_alu 0xfffe
	s_and_b32 s7, s9, s7
	s_wait_alu 0xfffe
	s_xor_b32 s8, s7, -1
	s_delay_alu instid0(SALU_CYCLE_1) | instskip(NEXT) | instid1(SALU_CYCLE_1)
	s_and_saveexec_b32 s9, s8
	s_xor_b32 s8, exec_lo, s9
; %bb.23:                               ;   in Loop: Header=BB102_2 Depth=1
	ds_load_u8 v51, v49 offset:1
; %bb.24:                               ;   in Loop: Header=BB102_2 Depth=1
	s_or_saveexec_b32 s8, s8
	v_mov_b32_e32 v52, v48
	s_xor_b32 exec_lo, exec_lo, s8
	s_cbranch_execz .LBB102_26
; %bb.25:                               ;   in Loop: Header=BB102_2 Depth=1
	ds_load_u8 v52, v50 offset:1
	s_wait_dscnt 0x1
	v_mov_b32_e32 v51, v47
.LBB102_26:                             ;   in Loop: Header=BB102_2 Depth=1
	s_or_b32 exec_lo, exec_lo, s8
	v_add_nc_u32_e32 v53, 1, v49
	v_add_nc_u32_e32 v54, 1, v50
	s_wait_dscnt 0x0
	v_and_b32_e32 v55, 0xff, v51
	v_and_b32_e32 v56, 0xff, v52
	v_cndmask_b32_e64 v48, v47, v48, s7
	v_cndmask_b32_e64 v49, v53, v49, s7
	v_mov_b32_e32 v47, v25
	v_cndmask_b32_e64 v50, v50, v54, s7
	v_cmp_lt_u16_e64 s8, v56, v55
	s_wait_loadcnt 0x0
	v_cmp_ge_i32_e64 s9, v49, v13
	s_barrier_signal -1
	v_cmp_lt_i32_e64 s10, v50, v14
	s_barrier_wait -1
	global_inv scope:SCOPE_SE
	s_or_b32 s7, s9, s8
	s_wait_alu 0xfffe
	s_and_b32 s7, s10, s7
	s_wait_alu 0xfffe
	v_cndmask_b32_e64 v49, v51, v52, s7
	ds_store_b8 v1, v48
	ds_store_b8 v1, v49 offset:1
	s_wait_loadcnt_dscnt 0x0
	s_barrier_signal -1
	s_barrier_wait -1
	global_inv scope:SCOPE_SE
	s_and_saveexec_b32 s8, s2
	s_cbranch_execz .LBB102_30
; %bb.27:                               ;   in Loop: Header=BB102_2 Depth=1
	v_dual_mov_b32 v47, v25 :: v_dual_mov_b32 v48, v26
	s_mov_b32 s9, 0
.LBB102_28:                             ;   Parent Loop BB102_2 Depth=1
                                        ; =>  This Inner Loop Header: Depth=2
	s_delay_alu instid0(VALU_DEP_1) | instskip(NEXT) | instid1(VALU_DEP_1)
	v_sub_nc_u32_e32 v49, v48, v47
	v_lshrrev_b32_e32 v49, 1, v49
	s_delay_alu instid0(VALU_DEP_1) | instskip(NEXT) | instid1(VALU_DEP_1)
	v_add_nc_u32_e32 v49, v49, v47
	v_add_nc_u32_e32 v50, v15, v49
	v_xad_u32 v51, v49, -1, v28
	v_add_nc_u32_e32 v52, 1, v49
	ds_load_u8 v50, v50
	ds_load_u8 v51, v51
	s_wait_dscnt 0x0
	v_cmp_lt_u16_e64 s7, v51, v50
	s_wait_alu 0xf1ff
	s_delay_alu instid0(VALU_DEP_1) | instskip(SKIP_1) | instid1(VALU_DEP_1)
	v_cndmask_b32_e64 v48, v48, v49, s7
	v_cndmask_b32_e64 v47, v52, v47, s7
	v_cmp_ge_i32_e64 s7, v47, v48
	s_or_b32 s9, s7, s9
	s_delay_alu instid0(SALU_CYCLE_1)
	s_and_not1_b32 exec_lo, exec_lo, s9
	s_cbranch_execnz .LBB102_28
; %bb.29:                               ;   in Loop: Header=BB102_2 Depth=1
	s_or_b32 exec_lo, exec_lo, s9
.LBB102_30:                             ;   in Loop: Header=BB102_2 Depth=1
	s_delay_alu instid0(SALU_CYCLE_1)
	s_or_b32 exec_lo, exec_lo, s8
	v_add_nc_u32_e32 v49, v47, v15
	v_sub_nc_u32_e32 v50, v28, v47
	ds_load_u8 v47, v49
	ds_load_u8 v48, v50
	v_cmp_le_i32_e64 s7, v17, v49
	v_cmp_gt_i32_e64 s9, v18, v50
	s_wait_dscnt 0x1
	v_and_b32_e32 v51, 0xff, v47
	s_wait_dscnt 0x0
	v_and_b32_e32 v52, 0xff, v48
	s_delay_alu instid0(VALU_DEP_1)
	v_cmp_lt_u16_e64 s8, v52, v51
                                        ; implicit-def: $vgpr51
	s_or_b32 s7, s7, s8
	s_wait_alu 0xfffe
	s_and_b32 s7, s9, s7
	s_wait_alu 0xfffe
	s_xor_b32 s8, s7, -1
	s_delay_alu instid0(SALU_CYCLE_1) | instskip(NEXT) | instid1(SALU_CYCLE_1)
	s_and_saveexec_b32 s9, s8
	s_xor_b32 s8, exec_lo, s9
; %bb.31:                               ;   in Loop: Header=BB102_2 Depth=1
	ds_load_u8 v51, v49 offset:1
; %bb.32:                               ;   in Loop: Header=BB102_2 Depth=1
	s_or_saveexec_b32 s8, s8
	v_mov_b32_e32 v52, v48
	s_xor_b32 exec_lo, exec_lo, s8
	s_cbranch_execz .LBB102_34
; %bb.33:                               ;   in Loop: Header=BB102_2 Depth=1
	ds_load_u8 v52, v50 offset:1
	s_wait_dscnt 0x1
	v_mov_b32_e32 v51, v47
.LBB102_34:                             ;   in Loop: Header=BB102_2 Depth=1
	s_or_b32 exec_lo, exec_lo, s8
	v_add_nc_u32_e32 v53, 1, v49
	v_add_nc_u32_e32 v54, 1, v50
	s_wait_dscnt 0x0
	v_and_b32_e32 v55, 0xff, v51
	v_and_b32_e32 v56, 0xff, v52
	v_cndmask_b32_e64 v48, v47, v48, s7
	v_cndmask_b32_e64 v49, v53, v49, s7
	v_mov_b32_e32 v47, v31
	v_cndmask_b32_e64 v50, v50, v54, s7
	v_cmp_lt_u16_e64 s8, v56, v55
	s_wait_loadcnt 0x0
	v_cmp_ge_i32_e64 s9, v49, v17
	s_barrier_signal -1
	v_cmp_lt_i32_e64 s10, v50, v18
	s_barrier_wait -1
	global_inv scope:SCOPE_SE
	s_or_b32 s7, s9, s8
	s_wait_alu 0xfffe
	s_and_b32 s7, s10, s7
	s_wait_alu 0xfffe
	v_cndmask_b32_e64 v49, v51, v52, s7
	ds_store_b8 v1, v48
	ds_store_b8 v1, v49 offset:1
	s_wait_loadcnt_dscnt 0x0
	s_barrier_signal -1
	s_barrier_wait -1
	global_inv scope:SCOPE_SE
	s_and_saveexec_b32 s8, s3
	s_cbranch_execz .LBB102_38
; %bb.35:                               ;   in Loop: Header=BB102_2 Depth=1
	v_dual_mov_b32 v47, v31 :: v_dual_mov_b32 v48, v34
	s_mov_b32 s9, 0
.LBB102_36:                             ;   Parent Loop BB102_2 Depth=1
                                        ; =>  This Inner Loop Header: Depth=2
	s_delay_alu instid0(VALU_DEP_1) | instskip(NEXT) | instid1(VALU_DEP_1)
	v_sub_nc_u32_e32 v49, v48, v47
	v_lshrrev_b32_e32 v49, 1, v49
	s_delay_alu instid0(VALU_DEP_1) | instskip(NEXT) | instid1(VALU_DEP_1)
	v_add_nc_u32_e32 v49, v49, v47
	v_add_nc_u32_e32 v50, v20, v49
	v_xad_u32 v51, v49, -1, v37
	v_add_nc_u32_e32 v52, 1, v49
	ds_load_u8 v50, v50
	ds_load_u8 v51, v51
	s_wait_dscnt 0x0
	v_cmp_lt_u16_e64 s7, v51, v50
	s_wait_alu 0xf1ff
	s_delay_alu instid0(VALU_DEP_1) | instskip(SKIP_1) | instid1(VALU_DEP_1)
	v_cndmask_b32_e64 v48, v48, v49, s7
	v_cndmask_b32_e64 v47, v52, v47, s7
	v_cmp_ge_i32_e64 s7, v47, v48
	s_or_b32 s9, s7, s9
	s_delay_alu instid0(SALU_CYCLE_1)
	s_and_not1_b32 exec_lo, exec_lo, s9
	s_cbranch_execnz .LBB102_36
; %bb.37:                               ;   in Loop: Header=BB102_2 Depth=1
	s_or_b32 exec_lo, exec_lo, s9
.LBB102_38:                             ;   in Loop: Header=BB102_2 Depth=1
	s_delay_alu instid0(SALU_CYCLE_1)
	s_or_b32 exec_lo, exec_lo, s8
	v_add_nc_u32_e32 v49, v47, v20
	v_sub_nc_u32_e32 v50, v37, v47
	ds_load_u8 v47, v49
	ds_load_u8 v48, v50
	v_cmp_le_i32_e64 s7, v23, v49
	v_cmp_gt_i32_e64 s9, v24, v50
	s_wait_dscnt 0x1
	v_and_b32_e32 v51, 0xff, v47
	s_wait_dscnt 0x0
	v_and_b32_e32 v52, 0xff, v48
	s_delay_alu instid0(VALU_DEP_1)
	v_cmp_lt_u16_e64 s8, v52, v51
                                        ; implicit-def: $vgpr51
	s_or_b32 s7, s7, s8
	s_wait_alu 0xfffe
	s_and_b32 s7, s9, s7
	s_wait_alu 0xfffe
	s_xor_b32 s8, s7, -1
	s_delay_alu instid0(SALU_CYCLE_1) | instskip(NEXT) | instid1(SALU_CYCLE_1)
	s_and_saveexec_b32 s9, s8
	s_xor_b32 s8, exec_lo, s9
; %bb.39:                               ;   in Loop: Header=BB102_2 Depth=1
	ds_load_u8 v51, v49 offset:1
; %bb.40:                               ;   in Loop: Header=BB102_2 Depth=1
	s_or_saveexec_b32 s8, s8
	v_mov_b32_e32 v52, v48
	s_xor_b32 exec_lo, exec_lo, s8
	s_cbranch_execz .LBB102_42
; %bb.41:                               ;   in Loop: Header=BB102_2 Depth=1
	ds_load_u8 v52, v50 offset:1
	s_wait_dscnt 0x1
	v_mov_b32_e32 v51, v47
.LBB102_42:                             ;   in Loop: Header=BB102_2 Depth=1
	s_or_b32 exec_lo, exec_lo, s8
	v_add_nc_u32_e32 v53, 1, v49
	v_add_nc_u32_e32 v54, 1, v50
	s_wait_dscnt 0x0
	v_and_b32_e32 v55, 0xff, v51
	v_and_b32_e32 v56, 0xff, v52
	v_cndmask_b32_e64 v48, v47, v48, s7
	v_cndmask_b32_e64 v49, v53, v49, s7
	v_mov_b32_e32 v47, v38
	v_cndmask_b32_e64 v50, v50, v54, s7
	v_cmp_lt_u16_e64 s8, v56, v55
	s_wait_loadcnt 0x0
	v_cmp_ge_i32_e64 s9, v49, v23
	s_barrier_signal -1
	v_cmp_lt_i32_e64 s10, v50, v24
	s_barrier_wait -1
	global_inv scope:SCOPE_SE
	s_or_b32 s7, s9, s8
	s_wait_alu 0xfffe
	s_and_b32 s7, s10, s7
	s_wait_alu 0xfffe
	v_cndmask_b32_e64 v49, v51, v52, s7
	ds_store_b8 v1, v48
	ds_store_b8 v1, v49 offset:1
	s_wait_loadcnt_dscnt 0x0
	s_barrier_signal -1
	s_barrier_wait -1
	global_inv scope:SCOPE_SE
	s_and_saveexec_b32 s8, s4
	s_cbranch_execz .LBB102_46
; %bb.43:                               ;   in Loop: Header=BB102_2 Depth=1
	v_dual_mov_b32 v47, v38 :: v_dual_mov_b32 v48, v39
	s_mov_b32 s9, 0
.LBB102_44:                             ;   Parent Loop BB102_2 Depth=1
                                        ; =>  This Inner Loop Header: Depth=2
	s_delay_alu instid0(VALU_DEP_1) | instskip(NEXT) | instid1(VALU_DEP_1)
	v_sub_nc_u32_e32 v49, v48, v47
	v_lshrrev_b32_e32 v49, 1, v49
	s_delay_alu instid0(VALU_DEP_1) | instskip(NEXT) | instid1(VALU_DEP_1)
	v_add_nc_u32_e32 v49, v49, v47
	v_add_nc_u32_e32 v50, v29, v49
	v_xad_u32 v51, v49, -1, v44
	v_add_nc_u32_e32 v52, 1, v49
	ds_load_u8 v50, v50
	ds_load_u8 v51, v51
	s_wait_dscnt 0x0
	v_cmp_lt_u16_e64 s7, v51, v50
	s_wait_alu 0xf1ff
	s_delay_alu instid0(VALU_DEP_1) | instskip(SKIP_1) | instid1(VALU_DEP_1)
	v_cndmask_b32_e64 v48, v48, v49, s7
	v_cndmask_b32_e64 v47, v52, v47, s7
	v_cmp_ge_i32_e64 s7, v47, v48
	s_or_b32 s9, s7, s9
	s_delay_alu instid0(SALU_CYCLE_1)
	s_and_not1_b32 exec_lo, exec_lo, s9
	s_cbranch_execnz .LBB102_44
; %bb.45:                               ;   in Loop: Header=BB102_2 Depth=1
	s_or_b32 exec_lo, exec_lo, s9
.LBB102_46:                             ;   in Loop: Header=BB102_2 Depth=1
	s_delay_alu instid0(SALU_CYCLE_1)
	s_or_b32 exec_lo, exec_lo, s8
	v_add_nc_u32_e32 v49, v47, v29
	v_sub_nc_u32_e32 v50, v44, v47
	ds_load_u8 v47, v49
	ds_load_u8 v48, v50
	v_cmp_le_i32_e64 s7, v32, v49
	v_cmp_gt_i32_e64 s9, v33, v50
	s_wait_dscnt 0x1
	v_and_b32_e32 v51, 0xff, v47
	s_wait_dscnt 0x0
	v_and_b32_e32 v52, 0xff, v48
	s_delay_alu instid0(VALU_DEP_1)
	v_cmp_lt_u16_e64 s8, v52, v51
                                        ; implicit-def: $vgpr51
	s_or_b32 s7, s7, s8
	s_wait_alu 0xfffe
	s_and_b32 s7, s9, s7
	s_wait_alu 0xfffe
	s_xor_b32 s8, s7, -1
	s_delay_alu instid0(SALU_CYCLE_1) | instskip(NEXT) | instid1(SALU_CYCLE_1)
	s_and_saveexec_b32 s9, s8
	s_xor_b32 s8, exec_lo, s9
; %bb.47:                               ;   in Loop: Header=BB102_2 Depth=1
	ds_load_u8 v51, v49 offset:1
; %bb.48:                               ;   in Loop: Header=BB102_2 Depth=1
	s_or_saveexec_b32 s8, s8
	v_mov_b32_e32 v52, v48
	s_xor_b32 exec_lo, exec_lo, s8
	s_cbranch_execz .LBB102_50
; %bb.49:                               ;   in Loop: Header=BB102_2 Depth=1
	ds_load_u8 v52, v50 offset:1
	s_wait_dscnt 0x1
	v_mov_b32_e32 v51, v47
.LBB102_50:                             ;   in Loop: Header=BB102_2 Depth=1
	s_or_b32 exec_lo, exec_lo, s8
	v_add_nc_u32_e32 v53, 1, v49
	v_add_nc_u32_e32 v54, 1, v50
	s_wait_dscnt 0x0
	v_and_b32_e32 v55, 0xff, v51
	v_and_b32_e32 v56, 0xff, v52
	v_cndmask_b32_e64 v48, v47, v48, s7
	v_cndmask_b32_e64 v49, v53, v49, s7
	v_mov_b32_e32 v47, v40
	v_cndmask_b32_e64 v50, v50, v54, s7
	v_cmp_lt_u16_e64 s8, v56, v55
	s_wait_loadcnt 0x0
	v_cmp_ge_i32_e64 s9, v49, v32
	s_barrier_signal -1
	v_cmp_lt_i32_e64 s10, v50, v33
	s_barrier_wait -1
	global_inv scope:SCOPE_SE
	s_or_b32 s7, s9, s8
	s_wait_alu 0xfffe
	s_and_b32 s7, s10, s7
	s_wait_alu 0xfffe
	v_cndmask_b32_e64 v49, v51, v52, s7
	ds_store_b8 v1, v48
	ds_store_b8 v1, v49 offset:1
	s_wait_loadcnt_dscnt 0x0
	s_barrier_signal -1
	s_barrier_wait -1
	global_inv scope:SCOPE_SE
	s_and_saveexec_b32 s8, s5
	s_cbranch_execz .LBB102_54
; %bb.51:                               ;   in Loop: Header=BB102_2 Depth=1
	v_dual_mov_b32 v47, v40 :: v_dual_mov_b32 v48, v41
	s_mov_b32 s9, 0
.LBB102_52:                             ;   Parent Loop BB102_2 Depth=1
                                        ; =>  This Inner Loop Header: Depth=2
	s_delay_alu instid0(VALU_DEP_1) | instskip(NEXT) | instid1(VALU_DEP_1)
	v_sub_nc_u32_e32 v49, v48, v47
	v_lshrrev_b32_e32 v49, 1, v49
	s_delay_alu instid0(VALU_DEP_1) | instskip(NEXT) | instid1(VALU_DEP_1)
	v_add_nc_u32_e32 v49, v49, v47
	v_add_nc_u32_e32 v50, v30, v49
	v_xad_u32 v51, v49, -1, v45
	v_add_nc_u32_e32 v52, 1, v49
	ds_load_u8 v50, v50
	ds_load_u8 v51, v51
	s_wait_dscnt 0x0
	v_cmp_lt_u16_e64 s7, v51, v50
	s_wait_alu 0xf1ff
	s_delay_alu instid0(VALU_DEP_1) | instskip(SKIP_1) | instid1(VALU_DEP_1)
	v_cndmask_b32_e64 v48, v48, v49, s7
	v_cndmask_b32_e64 v47, v52, v47, s7
	v_cmp_ge_i32_e64 s7, v47, v48
	s_or_b32 s9, s7, s9
	s_delay_alu instid0(SALU_CYCLE_1)
	s_and_not1_b32 exec_lo, exec_lo, s9
	s_cbranch_execnz .LBB102_52
; %bb.53:                               ;   in Loop: Header=BB102_2 Depth=1
	s_or_b32 exec_lo, exec_lo, s9
.LBB102_54:                             ;   in Loop: Header=BB102_2 Depth=1
	s_delay_alu instid0(SALU_CYCLE_1)
	s_or_b32 exec_lo, exec_lo, s8
	v_add_nc_u32_e32 v49, v47, v30
	v_sub_nc_u32_e32 v50, v45, v47
	ds_load_u8 v47, v49
	ds_load_u8 v48, v50
	v_cmp_le_i32_e64 s7, v35, v49
	v_cmp_gt_i32_e64 s9, v36, v50
	s_wait_dscnt 0x1
	v_and_b32_e32 v51, 0xff, v47
	s_wait_dscnt 0x0
	v_and_b32_e32 v52, 0xff, v48
	s_delay_alu instid0(VALU_DEP_1)
	v_cmp_lt_u16_e64 s8, v52, v51
                                        ; implicit-def: $vgpr51
	s_or_b32 s7, s7, s8
	s_wait_alu 0xfffe
	s_and_b32 s7, s9, s7
	s_wait_alu 0xfffe
	s_xor_b32 s8, s7, -1
	s_delay_alu instid0(SALU_CYCLE_1) | instskip(NEXT) | instid1(SALU_CYCLE_1)
	s_and_saveexec_b32 s9, s8
	s_xor_b32 s8, exec_lo, s9
; %bb.55:                               ;   in Loop: Header=BB102_2 Depth=1
	ds_load_u8 v51, v49 offset:1
; %bb.56:                               ;   in Loop: Header=BB102_2 Depth=1
	s_or_saveexec_b32 s8, s8
	v_mov_b32_e32 v52, v48
	s_xor_b32 exec_lo, exec_lo, s8
	s_cbranch_execz .LBB102_58
; %bb.57:                               ;   in Loop: Header=BB102_2 Depth=1
	ds_load_u8 v52, v50 offset:1
	s_wait_dscnt 0x1
	v_mov_b32_e32 v51, v47
.LBB102_58:                             ;   in Loop: Header=BB102_2 Depth=1
	s_or_b32 exec_lo, exec_lo, s8
	v_add_nc_u32_e32 v53, 1, v49
	v_add_nc_u32_e32 v54, 1, v50
	s_wait_dscnt 0x0
	v_and_b32_e32 v55, 0xff, v51
	v_and_b32_e32 v56, 0xff, v52
	v_cndmask_b32_e64 v48, v47, v48, s7
	v_cndmask_b32_e64 v49, v53, v49, s7
	v_mov_b32_e32 v47, v42
	v_cndmask_b32_e64 v50, v50, v54, s7
	v_cmp_lt_u16_e64 s8, v56, v55
	s_wait_loadcnt 0x0
	v_cmp_ge_i32_e64 s9, v49, v35
	s_barrier_signal -1
	v_cmp_lt_i32_e64 s10, v50, v36
	s_barrier_wait -1
	global_inv scope:SCOPE_SE
	s_or_b32 s7, s9, s8
	s_wait_alu 0xfffe
	s_and_b32 s7, s10, s7
	s_wait_alu 0xfffe
	v_cndmask_b32_e64 v49, v51, v52, s7
	ds_store_b8 v1, v48
	ds_store_b8 v1, v49 offset:1
	s_wait_loadcnt_dscnt 0x0
	s_barrier_signal -1
	s_barrier_wait -1
	global_inv scope:SCOPE_SE
	s_and_saveexec_b32 s8, s6
	s_cbranch_execz .LBB102_62
; %bb.59:                               ;   in Loop: Header=BB102_2 Depth=1
	v_dual_mov_b32 v47, v42 :: v_dual_mov_b32 v48, v43
	s_mov_b32 s9, 0
.LBB102_60:                             ;   Parent Loop BB102_2 Depth=1
                                        ; =>  This Inner Loop Header: Depth=2
	s_delay_alu instid0(VALU_DEP_1) | instskip(NEXT) | instid1(VALU_DEP_1)
	v_sub_nc_u32_e32 v49, v48, v47
	v_lshrrev_b32_e32 v49, 1, v49
	s_delay_alu instid0(VALU_DEP_1) | instskip(NEXT) | instid1(VALU_DEP_1)
	v_add_nc_u32_e32 v49, v49, v47
	v_xad_u32 v50, v49, -1, v46
	v_add_nc_u32_e32 v52, 1, v49
	ds_load_u8 v51, v49
	ds_load_u8 v50, v50
	s_wait_dscnt 0x0
	v_cmp_lt_u16_e64 s7, v50, v51
	s_wait_alu 0xf1ff
	s_delay_alu instid0(VALU_DEP_1) | instskip(SKIP_1) | instid1(VALU_DEP_1)
	v_cndmask_b32_e64 v48, v48, v49, s7
	v_cndmask_b32_e64 v47, v52, v47, s7
	v_cmp_ge_i32_e64 s7, v47, v48
	s_or_b32 s9, s7, s9
	s_delay_alu instid0(SALU_CYCLE_1)
	s_and_not1_b32 exec_lo, exec_lo, s9
	s_cbranch_execnz .LBB102_60
; %bb.61:                               ;   in Loop: Header=BB102_2 Depth=1
	s_or_b32 exec_lo, exec_lo, s9
.LBB102_62:                             ;   in Loop: Header=BB102_2 Depth=1
	s_delay_alu instid0(SALU_CYCLE_1)
	s_or_b32 exec_lo, exec_lo, s8
	v_sub_nc_u32_e32 v50, v46, v47
	v_cmp_le_i32_e64 s7, 0x100, v47
	ds_load_u8 v48, v47
	ds_load_u8 v49, v50
	v_cmp_gt_i32_e64 s9, 0x200, v50
	s_wait_dscnt 0x1
	v_and_b32_e32 v51, 0xff, v48
	s_wait_dscnt 0x0
	v_and_b32_e32 v52, 0xff, v49
	s_delay_alu instid0(VALU_DEP_1)
	v_cmp_lt_u16_e64 s8, v52, v51
                                        ; implicit-def: $vgpr51
                                        ; implicit-def: $vgpr52
	s_or_b32 s7, s7, s8
	s_wait_alu 0xfffe
	s_and_b32 s7, s9, s7
	s_wait_alu 0xfffe
	s_xor_b32 s8, s7, -1
	s_delay_alu instid0(SALU_CYCLE_1) | instskip(NEXT) | instid1(SALU_CYCLE_1)
	s_and_saveexec_b32 s9, s8
	s_xor_b32 s8, exec_lo, s9
; %bb.63:                               ;   in Loop: Header=BB102_2 Depth=1
	ds_load_u8 v51, v47 offset:1
	v_add_nc_u32_e32 v52, 1, v47
                                        ; implicit-def: $vgpr47
; %bb.64:                               ;   in Loop: Header=BB102_2 Depth=1
	s_or_saveexec_b32 s8, s8
	v_mov_b32_e32 v53, v49
	s_xor_b32 exec_lo, exec_lo, s8
	s_cbranch_execz .LBB102_1
; %bb.65:                               ;   in Loop: Header=BB102_2 Depth=1
	ds_load_u8 v53, v50 offset:1
	s_wait_dscnt 0x1
	v_dual_mov_b32 v51, v48 :: v_dual_add_nc_u32 v50, 1, v50
	v_mov_b32_e32 v52, v47
	s_branch .LBB102_1
.LBB102_66:
	s_add_nc_u64 s[0:1], s[14:15], s[16:17]
	s_wait_alu 0xfffe
	v_add_co_u32 v0, s0, s0, v0
	s_wait_alu 0xf1ff
	v_add_co_ci_u32_e64 v1, null, s1, 0, s0
	s_clause 0x1
	global_store_b8 v[0:1], v47, off
	global_store_b8 v[0:1], v48, off offset:256
	s_endpgm
	.section	.rodata,"a",@progbits
	.p2align	6, 0x0
	.amdhsa_kernel _Z16sort_keys_kernelIhLj256ELj2EN10test_utils4lessELj10EEvPKT_PS2_T2_
		.amdhsa_group_segment_fixed_size 513
		.amdhsa_private_segment_fixed_size 0
		.amdhsa_kernarg_size 20
		.amdhsa_user_sgpr_count 2
		.amdhsa_user_sgpr_dispatch_ptr 0
		.amdhsa_user_sgpr_queue_ptr 0
		.amdhsa_user_sgpr_kernarg_segment_ptr 1
		.amdhsa_user_sgpr_dispatch_id 0
		.amdhsa_user_sgpr_private_segment_size 0
		.amdhsa_wavefront_size32 1
		.amdhsa_uses_dynamic_stack 0
		.amdhsa_enable_private_segment 0
		.amdhsa_system_sgpr_workgroup_id_x 1
		.amdhsa_system_sgpr_workgroup_id_y 0
		.amdhsa_system_sgpr_workgroup_id_z 0
		.amdhsa_system_sgpr_workgroup_info 0
		.amdhsa_system_vgpr_workitem_id 0
		.amdhsa_next_free_vgpr 57
		.amdhsa_next_free_sgpr 18
		.amdhsa_reserve_vcc 1
		.amdhsa_float_round_mode_32 0
		.amdhsa_float_round_mode_16_64 0
		.amdhsa_float_denorm_mode_32 3
		.amdhsa_float_denorm_mode_16_64 3
		.amdhsa_fp16_overflow 0
		.amdhsa_workgroup_processor_mode 1
		.amdhsa_memory_ordered 1
		.amdhsa_forward_progress 1
		.amdhsa_inst_pref_size 35
		.amdhsa_round_robin_scheduling 0
		.amdhsa_exception_fp_ieee_invalid_op 0
		.amdhsa_exception_fp_denorm_src 0
		.amdhsa_exception_fp_ieee_div_zero 0
		.amdhsa_exception_fp_ieee_overflow 0
		.amdhsa_exception_fp_ieee_underflow 0
		.amdhsa_exception_fp_ieee_inexact 0
		.amdhsa_exception_int_div_zero 0
	.end_amdhsa_kernel
	.section	.text._Z16sort_keys_kernelIhLj256ELj2EN10test_utils4lessELj10EEvPKT_PS2_T2_,"axG",@progbits,_Z16sort_keys_kernelIhLj256ELj2EN10test_utils4lessELj10EEvPKT_PS2_T2_,comdat
.Lfunc_end102:
	.size	_Z16sort_keys_kernelIhLj256ELj2EN10test_utils4lessELj10EEvPKT_PS2_T2_, .Lfunc_end102-_Z16sort_keys_kernelIhLj256ELj2EN10test_utils4lessELj10EEvPKT_PS2_T2_
                                        ; -- End function
	.set _Z16sort_keys_kernelIhLj256ELj2EN10test_utils4lessELj10EEvPKT_PS2_T2_.num_vgpr, 57
	.set _Z16sort_keys_kernelIhLj256ELj2EN10test_utils4lessELj10EEvPKT_PS2_T2_.num_agpr, 0
	.set _Z16sort_keys_kernelIhLj256ELj2EN10test_utils4lessELj10EEvPKT_PS2_T2_.numbered_sgpr, 18
	.set _Z16sort_keys_kernelIhLj256ELj2EN10test_utils4lessELj10EEvPKT_PS2_T2_.num_named_barrier, 0
	.set _Z16sort_keys_kernelIhLj256ELj2EN10test_utils4lessELj10EEvPKT_PS2_T2_.private_seg_size, 0
	.set _Z16sort_keys_kernelIhLj256ELj2EN10test_utils4lessELj10EEvPKT_PS2_T2_.uses_vcc, 1
	.set _Z16sort_keys_kernelIhLj256ELj2EN10test_utils4lessELj10EEvPKT_PS2_T2_.uses_flat_scratch, 0
	.set _Z16sort_keys_kernelIhLj256ELj2EN10test_utils4lessELj10EEvPKT_PS2_T2_.has_dyn_sized_stack, 0
	.set _Z16sort_keys_kernelIhLj256ELj2EN10test_utils4lessELj10EEvPKT_PS2_T2_.has_recursion, 0
	.set _Z16sort_keys_kernelIhLj256ELj2EN10test_utils4lessELj10EEvPKT_PS2_T2_.has_indirect_call, 0
	.section	.AMDGPU.csdata,"",@progbits
; Kernel info:
; codeLenInByte = 4448
; TotalNumSgprs: 20
; NumVgprs: 57
; ScratchSize: 0
; MemoryBound: 0
; FloatMode: 240
; IeeeMode: 1
; LDSByteSize: 513 bytes/workgroup (compile time only)
; SGPRBlocks: 0
; VGPRBlocks: 7
; NumSGPRsForWavesPerEU: 20
; NumVGPRsForWavesPerEU: 57
; Occupancy: 16
; WaveLimiterHint : 1
; COMPUTE_PGM_RSRC2:SCRATCH_EN: 0
; COMPUTE_PGM_RSRC2:USER_SGPR: 2
; COMPUTE_PGM_RSRC2:TRAP_HANDLER: 0
; COMPUTE_PGM_RSRC2:TGID_X_EN: 1
; COMPUTE_PGM_RSRC2:TGID_Y_EN: 0
; COMPUTE_PGM_RSRC2:TGID_Z_EN: 0
; COMPUTE_PGM_RSRC2:TIDIG_COMP_CNT: 0
	.section	.text._Z17sort_pairs_kernelIhLj256ELj2EN10test_utils4lessELj10EEvPKT_PS2_T2_,"axG",@progbits,_Z17sort_pairs_kernelIhLj256ELj2EN10test_utils4lessELj10EEvPKT_PS2_T2_,comdat
	.protected	_Z17sort_pairs_kernelIhLj256ELj2EN10test_utils4lessELj10EEvPKT_PS2_T2_ ; -- Begin function _Z17sort_pairs_kernelIhLj256ELj2EN10test_utils4lessELj10EEvPKT_PS2_T2_
	.globl	_Z17sort_pairs_kernelIhLj256ELj2EN10test_utils4lessELj10EEvPKT_PS2_T2_
	.p2align	8
	.type	_Z17sort_pairs_kernelIhLj256ELj2EN10test_utils4lessELj10EEvPKT_PS2_T2_,@function
_Z17sort_pairs_kernelIhLj256ELj2EN10test_utils4lessELj10EEvPKT_PS2_T2_: ; @_Z17sort_pairs_kernelIhLj256ELj2EN10test_utils4lessELj10EEvPKT_PS2_T2_
; %bb.0:
	s_load_b128 s[12:15], s[0:1], 0x0
	s_lshl_b32 s16, ttmp9, 9
	s_mov_b32 s17, 0
	v_lshlrev_b32_e32 v1, 1, v0
	s_mov_b32 s11, s17
	s_delay_alu instid0(VALU_DEP_1)
	v_and_b32_e32 v2, 0x1fc, v1
	v_and_b32_e32 v3, 0x1f8, v1
	;; [unrolled: 1-line block ×5, first 2 shown]
	v_or_b32_e32 v11, 2, v2
	v_add_nc_u32_e32 v12, 4, v2
	v_or_b32_e32 v13, 4, v3
	v_add_nc_u32_e32 v14, 8, v3
	v_and_b32_e32 v5, 0x1e0, v1
	v_or_b32_e32 v15, 8, v4
	v_sub_nc_u32_e32 v46, v12, v11
	s_wait_kmcnt 0x0
	s_add_nc_u64 s[0:1], s[12:13], s[16:17]
	v_add_nc_u32_e32 v16, 16, v4
	s_clause 0x1
	global_load_u8 v48, v0, s[0:1]
	global_load_u8 v47, v0, s[0:1] offset:256
	v_sub_nc_u32_e32 v32, v11, v2
	v_sub_nc_u32_e32 v49, v14, v13
	;; [unrolled: 1-line block ×3, first 2 shown]
	v_cmp_ge_i32_e64 s0, v39, v46
	v_and_b32_e32 v41, 14, v1
	v_and_b32_e32 v6, 0x1c0, v1
	v_or_b32_e32 v17, 16, v5
	v_add_nc_u32_e32 v18, 32, v5
	v_add_nc_u32_e32 v25, v11, v39
	v_sub_nc_u32_e32 v33, v13, v3
	v_sub_nc_u32_e32 v50, v16, v15
	v_min_i32_e32 v32, v39, v32
	v_sub_nc_u32_e32 v56, v40, v49
	v_cndmask_b32_e64 v39, 0, v55, s0
	v_cmp_ge_i32_e64 s0, v40, v49
	v_and_b32_e32 v42, 30, v1
	v_and_b32_e32 v7, 0x180, v1
	v_or_b32_e32 v19, 32, v6
	v_add_nc_u32_e32 v20, 64, v6
	v_add_nc_u32_e32 v26, v13, v40
	v_sub_nc_u32_e32 v34, v15, v4
	v_sub_nc_u32_e32 v51, v18, v17
	v_min_i32_e32 v33, v40, v33
	v_sub_nc_u32_e32 v57, v41, v50
	s_wait_alu 0xf1ff
	v_cndmask_b32_e64 v40, 0, v56, s0
	v_cmp_ge_i32_e64 s0, v41, v50
	v_and_b32_e32 v43, 62, v1
	v_and_b32_e32 v8, 0x100, v1
	v_or_b32_e32 v21, 64, v7
	v_add_nc_u32_e32 v22, 0x80, v7
	v_add_nc_u32_e32 v27, v15, v41
	v_sub_nc_u32_e32 v35, v17, v5
	v_sub_nc_u32_e32 v52, v20, v19
	v_min_i32_e32 v34, v41, v34
	v_sub_nc_u32_e32 v58, v42, v51
	s_wait_alu 0xf1ff
	v_cndmask_b32_e64 v41, 0, v57, s0
	v_cmp_ge_i32_e64 s0, v42, v51
	v_and_b32_e32 v44, 0x7e, v1
	v_or_b32_e32 v23, 0x80, v8
	v_add_nc_u32_e32 v24, 0x100, v8
	v_add_nc_u32_e32 v28, v17, v42
	v_sub_nc_u32_e32 v36, v19, v6
	v_sub_nc_u32_e32 v53, v22, v21
	v_min_i32_e32 v35, v42, v35
	v_sub_nc_u32_e32 v59, v43, v52
	s_wait_alu 0xf1ff
	v_cndmask_b32_e64 v42, 0, v58, s0
	v_cmp_ge_i32_e64 s0, v43, v52
	v_and_b32_e32 v45, 0xfe, v1
	v_add_nc_u32_e32 v29, v19, v43
	v_sub_nc_u32_e32 v37, v21, v7
	v_sub_nc_u32_e32 v54, v24, v23
	v_min_i32_e32 v36, v43, v36
	v_sub_nc_u32_e32 v60, v44, v53
	s_wait_alu 0xf1ff
	v_cndmask_b32_e64 v43, 0, v59, s0
	v_cmp_ge_i32_e64 s0, v44, v53
	v_add_nc_u32_e32 v30, v21, v44
	v_sub_nc_u32_e32 v38, v23, v8
	v_min_i32_e32 v37, v44, v37
	v_sub_nc_u32_e32 v61, v45, v54
	s_wait_alu 0xf1ff
	v_cndmask_b32_e64 v44, 0, v60, s0
	v_cmp_ge_i32_e64 s0, v45, v54
	v_add_nc_u32_e32 v31, v23, v45
	v_min_i32_e32 v38, v45, v38
	v_subrev_nc_u32_e64 v9, 0x100, v1 clamp
	v_min_i32_e32 v10, 0x100, v1
	s_wait_alu 0xf1ff
	v_cndmask_b32_e64 v45, 0, v61, s0
	v_cmp_lt_i32_e64 s0, v39, v32
	v_cmp_lt_i32_e64 s1, v40, v33
	;; [unrolled: 1-line block ×7, first 2 shown]
	v_add_nc_u32_e32 v46, 0x100, v1
	v_cmp_lt_i32_e32 vcc_lo, v9, v10
	s_wait_loadcnt 0x1
	v_add_nc_u16 v50, v48, 1
	s_wait_loadcnt 0x0
	v_add_nc_u16 v49, v47, 1
	s_branch .LBB103_2
.LBB103_1:                              ;   in Loop: Header=BB103_2 Depth=1
	s_or_b32 exec_lo, exec_lo, s8
	s_wait_dscnt 0x0
	s_delay_alu instid0(VALU_DEP_1)
	v_and_b32_e32 v49, 0xff, v54
	v_and_b32_e32 v57, 0xff, v56
	v_cmp_le_i32_e64 s9, 0x100, v53
	v_cmp_gt_i32_e64 s8, 0x200, v50
	s_wait_loadcnt 0x0
	s_barrier_signal -1
	v_cmp_lt_u16_e64 s10, v57, v49
	s_barrier_wait -1
	global_inv scope:SCOPE_SE
	ds_store_b8 v1, v47
	ds_store_b8 v1, v48 offset:1
	s_wait_loadcnt_dscnt 0x0
	s_or_b32 s9, s9, s10
	s_barrier_signal -1
	s_wait_alu 0xfffe
	s_and_b32 s8, s8, s9
	s_barrier_wait -1
	s_wait_alu 0xfffe
	v_cndmask_b32_e64 v48, v53, v50, s8
	global_inv scope:SCOPE_SE
	v_cndmask_b32_e64 v47, v54, v56, s8
	ds_load_u8 v50, v55
	ds_load_u8 v49, v48
	v_cndmask_b32_e64 v48, v51, v52, s7
	s_add_co_i32 s11, s11, 1
	s_delay_alu instid0(SALU_CYCLE_1)
	s_cmp_eq_u32 s11, 10
	s_cbranch_scc1 .LBB103_66
.LBB103_2:                              ; =>This Loop Header: Depth=1
                                        ;     Child Loop BB103_4 Depth 2
                                        ;     Child Loop BB103_12 Depth 2
	;; [unrolled: 1-line block ×8, first 2 shown]
	s_delay_alu instid0(VALU_DEP_1) | instskip(SKIP_4) | instid1(VALU_DEP_4)
	v_and_b32_e32 v51, 0xff, v48
	v_and_b32_e32 v52, 0xff, v47
	v_perm_b32 v53, v47, v48, 0xc0c0004
	v_perm_b32 v47, v48, v47, 0xc0c0004
	v_mov_b32_e32 v48, v39
	v_cmp_lt_u16_e64 s7, v52, v51
	s_barrier_signal -1
	s_barrier_wait -1
	global_inv scope:SCOPE_SE
	s_wait_alu 0xf1ff
	v_cndmask_b32_e64 v47, v47, v53, s7
	s_delay_alu instid0(VALU_DEP_1)
	v_lshrrev_b16 v51, 8, v47
	ds_store_b8 v1, v47
	ds_store_b8 v1, v51 offset:1
	s_wait_loadcnt_dscnt 0x0
	s_barrier_signal -1
	s_barrier_wait -1
	global_inv scope:SCOPE_SE
	s_and_saveexec_b32 s9, s0
	s_cbranch_execz .LBB103_6
; %bb.3:                                ;   in Loop: Header=BB103_2 Depth=1
	v_dual_mov_b32 v48, v39 :: v_dual_mov_b32 v47, v32
	s_mov_b32 s10, 0
.LBB103_4:                              ;   Parent Loop BB103_2 Depth=1
                                        ; =>  This Inner Loop Header: Depth=2
	s_delay_alu instid0(VALU_DEP_1) | instskip(NEXT) | instid1(VALU_DEP_1)
	v_sub_nc_u32_e32 v51, v47, v48
	v_lshrrev_b32_e32 v51, 1, v51
	s_delay_alu instid0(VALU_DEP_1) | instskip(NEXT) | instid1(VALU_DEP_1)
	v_add_nc_u32_e32 v51, v51, v48
	v_add_nc_u32_e32 v52, v2, v51
	v_xad_u32 v53, v51, -1, v25
	v_add_nc_u32_e32 v54, 1, v51
	ds_load_u8 v52, v52
	ds_load_u8 v53, v53
	s_wait_dscnt 0x0
	v_cmp_lt_u16_e64 s8, v53, v52
	s_wait_alu 0xf1ff
	s_delay_alu instid0(VALU_DEP_1) | instskip(SKIP_1) | instid1(VALU_DEP_1)
	v_cndmask_b32_e64 v47, v47, v51, s8
	v_cndmask_b32_e64 v48, v54, v48, s8
	v_cmp_ge_i32_e64 s8, v48, v47
	s_or_b32 s10, s8, s10
	s_delay_alu instid0(SALU_CYCLE_1)
	s_and_not1_b32 exec_lo, exec_lo, s10
	s_cbranch_execnz .LBB103_4
; %bb.5:                                ;   in Loop: Header=BB103_2 Depth=1
	s_or_b32 exec_lo, exec_lo, s10
.LBB103_6:                              ;   in Loop: Header=BB103_2 Depth=1
	s_wait_alu 0xfffe
	s_or_b32 exec_lo, exec_lo, s9
	v_add_nc_u32_e32 v47, v48, v2
	v_sub_nc_u32_e32 v48, v25, v48
	ds_load_u8 v51, v47
	ds_load_u8 v52, v48
	v_cmp_le_i32_e64 s8, v11, v47
	v_cmp_gt_i32_e64 s10, v12, v48
	s_wait_dscnt 0x1
	v_and_b32_e32 v53, 0xff, v51
	s_wait_dscnt 0x0
	v_and_b32_e32 v54, 0xff, v52
	s_delay_alu instid0(VALU_DEP_1)
	v_cmp_lt_u16_e64 s9, v54, v53
                                        ; implicit-def: $vgpr53
	s_or_b32 s8, s8, s9
	s_wait_alu 0xfffe
	s_and_b32 s8, s10, s8
	s_wait_alu 0xfffe
	s_xor_b32 s9, s8, -1
	s_wait_alu 0xfffe
	s_and_saveexec_b32 s10, s9
	s_delay_alu instid0(SALU_CYCLE_1)
	s_xor_b32 s9, exec_lo, s10
; %bb.7:                                ;   in Loop: Header=BB103_2 Depth=1
	ds_load_u8 v53, v47 offset:1
; %bb.8:                                ;   in Loop: Header=BB103_2 Depth=1
	s_wait_alu 0xfffe
	s_or_saveexec_b32 s9, s9
	v_mov_b32_e32 v54, v52
	s_wait_alu 0xfffe
	s_xor_b32 exec_lo, exec_lo, s9
	s_cbranch_execz .LBB103_10
; %bb.9:                                ;   in Loop: Header=BB103_2 Depth=1
	ds_load_u8 v54, v48 offset:1
	s_wait_dscnt 0x1
	v_mov_b32_e32 v53, v51
.LBB103_10:                             ;   in Loop: Header=BB103_2 Depth=1
	s_or_b32 exec_lo, exec_lo, s9
	v_add_nc_u32_e32 v55, 1, v47
	v_add_nc_u32_e32 v56, 1, v48
	s_wait_dscnt 0x0
	v_and_b32_e32 v58, 0xff, v53
	v_and_b32_e32 v59, 0xff, v54
	v_perm_b32 v57, v49, v50, 0xc0c0004
	v_cndmask_b32_e64 v55, v55, v47, s8
	v_perm_b32 v49, v50, v49, 0xc0c0004
	v_cndmask_b32_e64 v50, v48, v56, s8
	v_cmp_lt_u16_e64 s9, v59, v58
	v_cndmask_b32_e64 v47, v47, v48, s8
	v_cmp_ge_i32_e64 s10, v55, v11
	v_cndmask_b32_e64 v48, v49, v57, s7
	v_cmp_lt_i32_e64 s7, v50, v12
	s_wait_loadcnt 0x0
	s_barrier_signal -1
	s_or_b32 s9, s10, s9
	v_lshrrev_b16 v49, 8, v48
	s_wait_alu 0xfffe
	s_and_b32 s7, s7, s9
	s_barrier_wait -1
	s_wait_alu 0xfffe
	v_cndmask_b32_e64 v50, v55, v50, s7
	global_inv scope:SCOPE_SE
	ds_store_b8 v1, v48
	ds_store_b8 v1, v49 offset:1
	s_wait_loadcnt_dscnt 0x0
	s_barrier_signal -1
	s_barrier_wait -1
	global_inv scope:SCOPE_SE
	ds_load_u8 v47, v47
	ds_load_u8 v48, v50
	v_cndmask_b32_e64 v49, v51, v52, s8
	v_cndmask_b32_e64 v53, v53, v54, s7
	s_wait_loadcnt_dscnt 0x0
	s_barrier_signal -1
	s_barrier_wait -1
	global_inv scope:SCOPE_SE
	ds_store_b8 v1, v49
	ds_store_b8 v1, v53 offset:1
	v_mov_b32_e32 v49, v40
	s_wait_loadcnt_dscnt 0x0
	s_barrier_signal -1
	s_barrier_wait -1
	global_inv scope:SCOPE_SE
	s_and_saveexec_b32 s8, s1
	s_cbranch_execz .LBB103_14
; %bb.11:                               ;   in Loop: Header=BB103_2 Depth=1
	v_dual_mov_b32 v49, v40 :: v_dual_mov_b32 v50, v33
	s_mov_b32 s9, 0
.LBB103_12:                             ;   Parent Loop BB103_2 Depth=1
                                        ; =>  This Inner Loop Header: Depth=2
	s_delay_alu instid0(VALU_DEP_1) | instskip(NEXT) | instid1(VALU_DEP_1)
	v_sub_nc_u32_e32 v51, v50, v49
	v_lshrrev_b32_e32 v51, 1, v51
	s_delay_alu instid0(VALU_DEP_1) | instskip(NEXT) | instid1(VALU_DEP_1)
	v_add_nc_u32_e32 v51, v51, v49
	v_add_nc_u32_e32 v52, v3, v51
	v_xad_u32 v53, v51, -1, v26
	v_add_nc_u32_e32 v54, 1, v51
	ds_load_u8 v52, v52
	ds_load_u8 v53, v53
	s_wait_dscnt 0x0
	v_cmp_lt_u16_e64 s7, v53, v52
	s_wait_alu 0xf1ff
	s_delay_alu instid0(VALU_DEP_1) | instskip(SKIP_1) | instid1(VALU_DEP_1)
	v_cndmask_b32_e64 v50, v50, v51, s7
	v_cndmask_b32_e64 v49, v54, v49, s7
	v_cmp_ge_i32_e64 s7, v49, v50
	s_wait_alu 0xfffe
	s_or_b32 s9, s7, s9
	s_wait_alu 0xfffe
	s_and_not1_b32 exec_lo, exec_lo, s9
	s_cbranch_execnz .LBB103_12
; %bb.13:                               ;   in Loop: Header=BB103_2 Depth=1
	s_or_b32 exec_lo, exec_lo, s9
.LBB103_14:                             ;   in Loop: Header=BB103_2 Depth=1
	s_wait_alu 0xfffe
	s_or_b32 exec_lo, exec_lo, s8
	v_add_nc_u32_e32 v52, v49, v3
	v_sub_nc_u32_e32 v51, v26, v49
	ds_load_u8 v49, v52
	ds_load_u8 v50, v51
	v_cmp_le_i32_e64 s7, v13, v52
	v_cmp_gt_i32_e64 s9, v14, v51
	s_wait_dscnt 0x1
	v_and_b32_e32 v53, 0xff, v49
	s_wait_dscnt 0x0
	v_and_b32_e32 v54, 0xff, v50
	s_delay_alu instid0(VALU_DEP_1)
	v_cmp_lt_u16_e64 s8, v54, v53
                                        ; implicit-def: $vgpr53
	s_or_b32 s7, s7, s8
	s_wait_alu 0xfffe
	s_and_b32 s7, s9, s7
	s_wait_alu 0xfffe
	s_xor_b32 s8, s7, -1
	s_wait_alu 0xfffe
	s_and_saveexec_b32 s9, s8
	s_wait_alu 0xfffe
	s_xor_b32 s8, exec_lo, s9
; %bb.15:                               ;   in Loop: Header=BB103_2 Depth=1
	ds_load_u8 v53, v52 offset:1
; %bb.16:                               ;   in Loop: Header=BB103_2 Depth=1
	s_wait_alu 0xfffe
	s_or_saveexec_b32 s8, s8
	v_mov_b32_e32 v54, v50
	s_wait_alu 0xfffe
	s_xor_b32 exec_lo, exec_lo, s8
	s_cbranch_execz .LBB103_18
; %bb.17:                               ;   in Loop: Header=BB103_2 Depth=1
	ds_load_u8 v54, v51 offset:1
	s_wait_dscnt 0x1
	v_mov_b32_e32 v53, v49
.LBB103_18:                             ;   in Loop: Header=BB103_2 Depth=1
	s_or_b32 exec_lo, exec_lo, s8
	v_add_nc_u32_e32 v55, 1, v52
	v_add_nc_u32_e32 v56, 1, v51
	s_wait_dscnt 0x0
	v_and_b32_e32 v57, 0xff, v53
	v_and_b32_e32 v58, 0xff, v54
	s_wait_loadcnt 0x0
	v_cndmask_b32_e64 v55, v55, v52, s7
	v_cndmask_b32_e64 v52, v52, v51, s7
	;; [unrolled: 1-line block ×3, first 2 shown]
	v_cmp_lt_u16_e64 s8, v58, v57
	s_barrier_signal -1
	v_cmp_ge_i32_e64 s9, v55, v13
	s_barrier_wait -1
	v_cmp_lt_i32_e64 s10, v51, v14
	global_inv scope:SCOPE_SE
	ds_store_b8 v1, v47
	ds_store_b8 v1, v48 offset:1
	s_or_b32 s8, s9, s8
	s_wait_loadcnt_dscnt 0x0
	s_wait_alu 0xfffe
	s_and_b32 s8, s10, s8
	s_barrier_signal -1
	s_wait_alu 0xfffe
	v_cndmask_b32_e64 v48, v55, v51, s8
	s_barrier_wait -1
	global_inv scope:SCOPE_SE
	v_cndmask_b32_e64 v49, v49, v50, s7
	ds_load_u8 v47, v52
	ds_load_u8 v48, v48
	v_cndmask_b32_e64 v53, v53, v54, s8
	s_wait_loadcnt_dscnt 0x0
	s_barrier_signal -1
	s_barrier_wait -1
	global_inv scope:SCOPE_SE
	ds_store_b8 v1, v49
	ds_store_b8 v1, v53 offset:1
	v_mov_b32_e32 v49, v41
	s_wait_loadcnt_dscnt 0x0
	s_barrier_signal -1
	s_barrier_wait -1
	global_inv scope:SCOPE_SE
	s_and_saveexec_b32 s8, s2
	s_cbranch_execz .LBB103_22
; %bb.19:                               ;   in Loop: Header=BB103_2 Depth=1
	v_dual_mov_b32 v49, v41 :: v_dual_mov_b32 v50, v34
	s_mov_b32 s9, 0
.LBB103_20:                             ;   Parent Loop BB103_2 Depth=1
                                        ; =>  This Inner Loop Header: Depth=2
	s_delay_alu instid0(VALU_DEP_1) | instskip(NEXT) | instid1(VALU_DEP_1)
	v_sub_nc_u32_e32 v51, v50, v49
	v_lshrrev_b32_e32 v51, 1, v51
	s_delay_alu instid0(VALU_DEP_1) | instskip(NEXT) | instid1(VALU_DEP_1)
	v_add_nc_u32_e32 v51, v51, v49
	v_add_nc_u32_e32 v52, v4, v51
	v_xad_u32 v53, v51, -1, v27
	v_add_nc_u32_e32 v54, 1, v51
	ds_load_u8 v52, v52
	ds_load_u8 v53, v53
	s_wait_dscnt 0x0
	v_cmp_lt_u16_e64 s7, v53, v52
	s_wait_alu 0xf1ff
	s_delay_alu instid0(VALU_DEP_1) | instskip(SKIP_1) | instid1(VALU_DEP_1)
	v_cndmask_b32_e64 v50, v50, v51, s7
	v_cndmask_b32_e64 v49, v54, v49, s7
	v_cmp_ge_i32_e64 s7, v49, v50
	s_wait_alu 0xfffe
	s_or_b32 s9, s7, s9
	s_wait_alu 0xfffe
	s_and_not1_b32 exec_lo, exec_lo, s9
	s_cbranch_execnz .LBB103_20
; %bb.21:                               ;   in Loop: Header=BB103_2 Depth=1
	s_or_b32 exec_lo, exec_lo, s9
.LBB103_22:                             ;   in Loop: Header=BB103_2 Depth=1
	s_wait_alu 0xfffe
	s_or_b32 exec_lo, exec_lo, s8
	v_add_nc_u32_e32 v52, v49, v4
	v_sub_nc_u32_e32 v51, v27, v49
	ds_load_u8 v49, v52
	ds_load_u8 v50, v51
	v_cmp_le_i32_e64 s7, v15, v52
	v_cmp_gt_i32_e64 s9, v16, v51
	s_wait_dscnt 0x1
	v_and_b32_e32 v53, 0xff, v49
	s_wait_dscnt 0x0
	v_and_b32_e32 v54, 0xff, v50
	s_delay_alu instid0(VALU_DEP_1)
	v_cmp_lt_u16_e64 s8, v54, v53
                                        ; implicit-def: $vgpr53
	s_or_b32 s7, s7, s8
	s_wait_alu 0xfffe
	s_and_b32 s7, s9, s7
	s_wait_alu 0xfffe
	s_xor_b32 s8, s7, -1
	s_wait_alu 0xfffe
	s_and_saveexec_b32 s9, s8
	s_wait_alu 0xfffe
	s_xor_b32 s8, exec_lo, s9
; %bb.23:                               ;   in Loop: Header=BB103_2 Depth=1
	ds_load_u8 v53, v52 offset:1
; %bb.24:                               ;   in Loop: Header=BB103_2 Depth=1
	s_wait_alu 0xfffe
	s_or_saveexec_b32 s8, s8
	v_mov_b32_e32 v54, v50
	s_wait_alu 0xfffe
	s_xor_b32 exec_lo, exec_lo, s8
	s_cbranch_execz .LBB103_26
; %bb.25:                               ;   in Loop: Header=BB103_2 Depth=1
	ds_load_u8 v54, v51 offset:1
	s_wait_dscnt 0x1
	v_mov_b32_e32 v53, v49
.LBB103_26:                             ;   in Loop: Header=BB103_2 Depth=1
	s_or_b32 exec_lo, exec_lo, s8
	v_add_nc_u32_e32 v55, 1, v52
	v_add_nc_u32_e32 v56, 1, v51
	s_wait_dscnt 0x0
	v_and_b32_e32 v57, 0xff, v53
	v_and_b32_e32 v58, 0xff, v54
	s_wait_loadcnt 0x0
	v_cndmask_b32_e64 v55, v55, v52, s7
	v_cndmask_b32_e64 v52, v52, v51, s7
	;; [unrolled: 1-line block ×3, first 2 shown]
	v_cmp_lt_u16_e64 s8, v58, v57
	s_barrier_signal -1
	v_cmp_ge_i32_e64 s9, v55, v15
	s_barrier_wait -1
	v_cmp_lt_i32_e64 s10, v51, v16
	global_inv scope:SCOPE_SE
	ds_store_b8 v1, v47
	ds_store_b8 v1, v48 offset:1
	s_or_b32 s8, s9, s8
	s_wait_loadcnt_dscnt 0x0
	s_wait_alu 0xfffe
	s_and_b32 s8, s10, s8
	s_barrier_signal -1
	s_wait_alu 0xfffe
	v_cndmask_b32_e64 v48, v55, v51, s8
	s_barrier_wait -1
	global_inv scope:SCOPE_SE
	v_cndmask_b32_e64 v49, v49, v50, s7
	ds_load_u8 v47, v52
	ds_load_u8 v48, v48
	v_cndmask_b32_e64 v53, v53, v54, s8
	s_wait_loadcnt_dscnt 0x0
	s_barrier_signal -1
	s_barrier_wait -1
	global_inv scope:SCOPE_SE
	ds_store_b8 v1, v49
	ds_store_b8 v1, v53 offset:1
	v_mov_b32_e32 v49, v42
	s_wait_loadcnt_dscnt 0x0
	s_barrier_signal -1
	s_barrier_wait -1
	global_inv scope:SCOPE_SE
	s_and_saveexec_b32 s8, s3
	s_cbranch_execz .LBB103_30
; %bb.27:                               ;   in Loop: Header=BB103_2 Depth=1
	v_dual_mov_b32 v49, v42 :: v_dual_mov_b32 v50, v35
	s_mov_b32 s9, 0
.LBB103_28:                             ;   Parent Loop BB103_2 Depth=1
                                        ; =>  This Inner Loop Header: Depth=2
	s_delay_alu instid0(VALU_DEP_1) | instskip(NEXT) | instid1(VALU_DEP_1)
	v_sub_nc_u32_e32 v51, v50, v49
	v_lshrrev_b32_e32 v51, 1, v51
	s_delay_alu instid0(VALU_DEP_1) | instskip(NEXT) | instid1(VALU_DEP_1)
	v_add_nc_u32_e32 v51, v51, v49
	v_add_nc_u32_e32 v52, v5, v51
	v_xad_u32 v53, v51, -1, v28
	v_add_nc_u32_e32 v54, 1, v51
	ds_load_u8 v52, v52
	ds_load_u8 v53, v53
	s_wait_dscnt 0x0
	v_cmp_lt_u16_e64 s7, v53, v52
	s_wait_alu 0xf1ff
	s_delay_alu instid0(VALU_DEP_1) | instskip(SKIP_1) | instid1(VALU_DEP_1)
	v_cndmask_b32_e64 v50, v50, v51, s7
	v_cndmask_b32_e64 v49, v54, v49, s7
	v_cmp_ge_i32_e64 s7, v49, v50
	s_wait_alu 0xfffe
	s_or_b32 s9, s7, s9
	s_wait_alu 0xfffe
	s_and_not1_b32 exec_lo, exec_lo, s9
	s_cbranch_execnz .LBB103_28
; %bb.29:                               ;   in Loop: Header=BB103_2 Depth=1
	s_or_b32 exec_lo, exec_lo, s9
.LBB103_30:                             ;   in Loop: Header=BB103_2 Depth=1
	s_wait_alu 0xfffe
	s_or_b32 exec_lo, exec_lo, s8
	v_add_nc_u32_e32 v52, v49, v5
	v_sub_nc_u32_e32 v51, v28, v49
	ds_load_u8 v49, v52
	ds_load_u8 v50, v51
	v_cmp_le_i32_e64 s7, v17, v52
	v_cmp_gt_i32_e64 s9, v18, v51
	s_wait_dscnt 0x1
	v_and_b32_e32 v53, 0xff, v49
	s_wait_dscnt 0x0
	v_and_b32_e32 v54, 0xff, v50
	s_delay_alu instid0(VALU_DEP_1)
	v_cmp_lt_u16_e64 s8, v54, v53
                                        ; implicit-def: $vgpr53
	s_or_b32 s7, s7, s8
	s_wait_alu 0xfffe
	s_and_b32 s7, s9, s7
	s_wait_alu 0xfffe
	s_xor_b32 s8, s7, -1
	s_wait_alu 0xfffe
	s_and_saveexec_b32 s9, s8
	s_wait_alu 0xfffe
	s_xor_b32 s8, exec_lo, s9
; %bb.31:                               ;   in Loop: Header=BB103_2 Depth=1
	ds_load_u8 v53, v52 offset:1
; %bb.32:                               ;   in Loop: Header=BB103_2 Depth=1
	s_wait_alu 0xfffe
	s_or_saveexec_b32 s8, s8
	v_mov_b32_e32 v54, v50
	s_wait_alu 0xfffe
	s_xor_b32 exec_lo, exec_lo, s8
	s_cbranch_execz .LBB103_34
; %bb.33:                               ;   in Loop: Header=BB103_2 Depth=1
	ds_load_u8 v54, v51 offset:1
	s_wait_dscnt 0x1
	v_mov_b32_e32 v53, v49
.LBB103_34:                             ;   in Loop: Header=BB103_2 Depth=1
	s_or_b32 exec_lo, exec_lo, s8
	v_add_nc_u32_e32 v55, 1, v52
	v_add_nc_u32_e32 v56, 1, v51
	s_wait_dscnt 0x0
	v_and_b32_e32 v57, 0xff, v53
	v_and_b32_e32 v58, 0xff, v54
	s_wait_loadcnt 0x0
	v_cndmask_b32_e64 v55, v55, v52, s7
	v_cndmask_b32_e64 v52, v52, v51, s7
	;; [unrolled: 1-line block ×3, first 2 shown]
	v_cmp_lt_u16_e64 s8, v58, v57
	s_barrier_signal -1
	v_cmp_ge_i32_e64 s9, v55, v17
	s_barrier_wait -1
	v_cmp_lt_i32_e64 s10, v51, v18
	global_inv scope:SCOPE_SE
	ds_store_b8 v1, v47
	ds_store_b8 v1, v48 offset:1
	s_or_b32 s8, s9, s8
	s_wait_loadcnt_dscnt 0x0
	s_wait_alu 0xfffe
	s_and_b32 s8, s10, s8
	s_barrier_signal -1
	s_wait_alu 0xfffe
	v_cndmask_b32_e64 v48, v55, v51, s8
	s_barrier_wait -1
	global_inv scope:SCOPE_SE
	v_cndmask_b32_e64 v49, v49, v50, s7
	ds_load_u8 v47, v52
	ds_load_u8 v48, v48
	v_cndmask_b32_e64 v53, v53, v54, s8
	s_wait_loadcnt_dscnt 0x0
	s_barrier_signal -1
	s_barrier_wait -1
	global_inv scope:SCOPE_SE
	ds_store_b8 v1, v49
	ds_store_b8 v1, v53 offset:1
	v_mov_b32_e32 v49, v43
	s_wait_loadcnt_dscnt 0x0
	s_barrier_signal -1
	s_barrier_wait -1
	global_inv scope:SCOPE_SE
	s_and_saveexec_b32 s8, s4
	s_cbranch_execz .LBB103_38
; %bb.35:                               ;   in Loop: Header=BB103_2 Depth=1
	v_dual_mov_b32 v49, v43 :: v_dual_mov_b32 v50, v36
	s_mov_b32 s9, 0
.LBB103_36:                             ;   Parent Loop BB103_2 Depth=1
                                        ; =>  This Inner Loop Header: Depth=2
	s_delay_alu instid0(VALU_DEP_1) | instskip(NEXT) | instid1(VALU_DEP_1)
	v_sub_nc_u32_e32 v51, v50, v49
	v_lshrrev_b32_e32 v51, 1, v51
	s_delay_alu instid0(VALU_DEP_1) | instskip(NEXT) | instid1(VALU_DEP_1)
	v_add_nc_u32_e32 v51, v51, v49
	v_add_nc_u32_e32 v52, v6, v51
	v_xad_u32 v53, v51, -1, v29
	v_add_nc_u32_e32 v54, 1, v51
	ds_load_u8 v52, v52
	ds_load_u8 v53, v53
	s_wait_dscnt 0x0
	v_cmp_lt_u16_e64 s7, v53, v52
	s_wait_alu 0xf1ff
	s_delay_alu instid0(VALU_DEP_1) | instskip(SKIP_1) | instid1(VALU_DEP_1)
	v_cndmask_b32_e64 v50, v50, v51, s7
	v_cndmask_b32_e64 v49, v54, v49, s7
	v_cmp_ge_i32_e64 s7, v49, v50
	s_wait_alu 0xfffe
	s_or_b32 s9, s7, s9
	s_wait_alu 0xfffe
	s_and_not1_b32 exec_lo, exec_lo, s9
	s_cbranch_execnz .LBB103_36
; %bb.37:                               ;   in Loop: Header=BB103_2 Depth=1
	s_or_b32 exec_lo, exec_lo, s9
.LBB103_38:                             ;   in Loop: Header=BB103_2 Depth=1
	s_wait_alu 0xfffe
	s_or_b32 exec_lo, exec_lo, s8
	v_add_nc_u32_e32 v52, v49, v6
	v_sub_nc_u32_e32 v51, v29, v49
	ds_load_u8 v49, v52
	ds_load_u8 v50, v51
	v_cmp_le_i32_e64 s7, v19, v52
	v_cmp_gt_i32_e64 s9, v20, v51
	s_wait_dscnt 0x1
	v_and_b32_e32 v53, 0xff, v49
	s_wait_dscnt 0x0
	v_and_b32_e32 v54, 0xff, v50
	s_delay_alu instid0(VALU_DEP_1)
	v_cmp_lt_u16_e64 s8, v54, v53
                                        ; implicit-def: $vgpr53
	s_or_b32 s7, s7, s8
	s_wait_alu 0xfffe
	s_and_b32 s7, s9, s7
	s_wait_alu 0xfffe
	s_xor_b32 s8, s7, -1
	s_wait_alu 0xfffe
	s_and_saveexec_b32 s9, s8
	s_wait_alu 0xfffe
	s_xor_b32 s8, exec_lo, s9
; %bb.39:                               ;   in Loop: Header=BB103_2 Depth=1
	ds_load_u8 v53, v52 offset:1
; %bb.40:                               ;   in Loop: Header=BB103_2 Depth=1
	s_wait_alu 0xfffe
	s_or_saveexec_b32 s8, s8
	v_mov_b32_e32 v54, v50
	s_wait_alu 0xfffe
	s_xor_b32 exec_lo, exec_lo, s8
	s_cbranch_execz .LBB103_42
; %bb.41:                               ;   in Loop: Header=BB103_2 Depth=1
	ds_load_u8 v54, v51 offset:1
	s_wait_dscnt 0x1
	v_mov_b32_e32 v53, v49
.LBB103_42:                             ;   in Loop: Header=BB103_2 Depth=1
	s_or_b32 exec_lo, exec_lo, s8
	v_add_nc_u32_e32 v55, 1, v52
	v_add_nc_u32_e32 v56, 1, v51
	s_wait_dscnt 0x0
	v_and_b32_e32 v57, 0xff, v53
	v_and_b32_e32 v58, 0xff, v54
	s_wait_loadcnt 0x0
	v_cndmask_b32_e64 v55, v55, v52, s7
	v_cndmask_b32_e64 v52, v52, v51, s7
	;; [unrolled: 1-line block ×3, first 2 shown]
	v_cmp_lt_u16_e64 s8, v58, v57
	s_barrier_signal -1
	v_cmp_ge_i32_e64 s9, v55, v19
	s_barrier_wait -1
	v_cmp_lt_i32_e64 s10, v51, v20
	global_inv scope:SCOPE_SE
	ds_store_b8 v1, v47
	ds_store_b8 v1, v48 offset:1
	s_or_b32 s8, s9, s8
	s_wait_loadcnt_dscnt 0x0
	s_wait_alu 0xfffe
	s_and_b32 s8, s10, s8
	s_barrier_signal -1
	s_wait_alu 0xfffe
	v_cndmask_b32_e64 v48, v55, v51, s8
	s_barrier_wait -1
	global_inv scope:SCOPE_SE
	v_cndmask_b32_e64 v49, v49, v50, s7
	ds_load_u8 v47, v52
	ds_load_u8 v48, v48
	v_cndmask_b32_e64 v53, v53, v54, s8
	s_wait_loadcnt_dscnt 0x0
	s_barrier_signal -1
	s_barrier_wait -1
	global_inv scope:SCOPE_SE
	ds_store_b8 v1, v49
	ds_store_b8 v1, v53 offset:1
	v_mov_b32_e32 v49, v44
	s_wait_loadcnt_dscnt 0x0
	s_barrier_signal -1
	s_barrier_wait -1
	global_inv scope:SCOPE_SE
	s_and_saveexec_b32 s8, s5
	s_cbranch_execz .LBB103_46
; %bb.43:                               ;   in Loop: Header=BB103_2 Depth=1
	v_dual_mov_b32 v49, v44 :: v_dual_mov_b32 v50, v37
	s_mov_b32 s9, 0
.LBB103_44:                             ;   Parent Loop BB103_2 Depth=1
                                        ; =>  This Inner Loop Header: Depth=2
	s_delay_alu instid0(VALU_DEP_1) | instskip(NEXT) | instid1(VALU_DEP_1)
	v_sub_nc_u32_e32 v51, v50, v49
	v_lshrrev_b32_e32 v51, 1, v51
	s_delay_alu instid0(VALU_DEP_1) | instskip(NEXT) | instid1(VALU_DEP_1)
	v_add_nc_u32_e32 v51, v51, v49
	v_add_nc_u32_e32 v52, v7, v51
	v_xad_u32 v53, v51, -1, v30
	v_add_nc_u32_e32 v54, 1, v51
	ds_load_u8 v52, v52
	ds_load_u8 v53, v53
	s_wait_dscnt 0x0
	v_cmp_lt_u16_e64 s7, v53, v52
	s_wait_alu 0xf1ff
	s_delay_alu instid0(VALU_DEP_1) | instskip(SKIP_1) | instid1(VALU_DEP_1)
	v_cndmask_b32_e64 v50, v50, v51, s7
	v_cndmask_b32_e64 v49, v54, v49, s7
	v_cmp_ge_i32_e64 s7, v49, v50
	s_wait_alu 0xfffe
	s_or_b32 s9, s7, s9
	s_wait_alu 0xfffe
	s_and_not1_b32 exec_lo, exec_lo, s9
	s_cbranch_execnz .LBB103_44
; %bb.45:                               ;   in Loop: Header=BB103_2 Depth=1
	s_or_b32 exec_lo, exec_lo, s9
.LBB103_46:                             ;   in Loop: Header=BB103_2 Depth=1
	s_wait_alu 0xfffe
	s_or_b32 exec_lo, exec_lo, s8
	v_add_nc_u32_e32 v52, v49, v7
	v_sub_nc_u32_e32 v51, v30, v49
	ds_load_u8 v49, v52
	ds_load_u8 v50, v51
	v_cmp_le_i32_e64 s7, v21, v52
	v_cmp_gt_i32_e64 s9, v22, v51
	s_wait_dscnt 0x1
	v_and_b32_e32 v53, 0xff, v49
	s_wait_dscnt 0x0
	v_and_b32_e32 v54, 0xff, v50
	s_delay_alu instid0(VALU_DEP_1)
	v_cmp_lt_u16_e64 s8, v54, v53
                                        ; implicit-def: $vgpr53
	s_or_b32 s7, s7, s8
	s_wait_alu 0xfffe
	s_and_b32 s7, s9, s7
	s_wait_alu 0xfffe
	s_xor_b32 s8, s7, -1
	s_wait_alu 0xfffe
	s_and_saveexec_b32 s9, s8
	s_wait_alu 0xfffe
	s_xor_b32 s8, exec_lo, s9
; %bb.47:                               ;   in Loop: Header=BB103_2 Depth=1
	ds_load_u8 v53, v52 offset:1
; %bb.48:                               ;   in Loop: Header=BB103_2 Depth=1
	s_wait_alu 0xfffe
	s_or_saveexec_b32 s8, s8
	v_mov_b32_e32 v54, v50
	s_wait_alu 0xfffe
	s_xor_b32 exec_lo, exec_lo, s8
	s_cbranch_execz .LBB103_50
; %bb.49:                               ;   in Loop: Header=BB103_2 Depth=1
	ds_load_u8 v54, v51 offset:1
	s_wait_dscnt 0x1
	v_mov_b32_e32 v53, v49
.LBB103_50:                             ;   in Loop: Header=BB103_2 Depth=1
	s_or_b32 exec_lo, exec_lo, s8
	v_add_nc_u32_e32 v55, 1, v52
	v_add_nc_u32_e32 v56, 1, v51
	s_wait_dscnt 0x0
	v_and_b32_e32 v57, 0xff, v53
	v_and_b32_e32 v58, 0xff, v54
	s_wait_loadcnt 0x0
	v_cndmask_b32_e64 v55, v55, v52, s7
	v_cndmask_b32_e64 v52, v52, v51, s7
	;; [unrolled: 1-line block ×3, first 2 shown]
	v_cmp_lt_u16_e64 s8, v58, v57
	s_barrier_signal -1
	v_cmp_ge_i32_e64 s9, v55, v21
	s_barrier_wait -1
	v_cmp_lt_i32_e64 s10, v51, v22
	global_inv scope:SCOPE_SE
	ds_store_b8 v1, v47
	ds_store_b8 v1, v48 offset:1
	s_or_b32 s8, s9, s8
	s_wait_loadcnt_dscnt 0x0
	s_wait_alu 0xfffe
	s_and_b32 s8, s10, s8
	s_barrier_signal -1
	s_wait_alu 0xfffe
	v_cndmask_b32_e64 v48, v55, v51, s8
	s_barrier_wait -1
	global_inv scope:SCOPE_SE
	v_cndmask_b32_e64 v49, v49, v50, s7
	ds_load_u8 v47, v52
	ds_load_u8 v48, v48
	v_cndmask_b32_e64 v53, v53, v54, s8
	s_wait_loadcnt_dscnt 0x0
	s_barrier_signal -1
	s_barrier_wait -1
	global_inv scope:SCOPE_SE
	ds_store_b8 v1, v49
	ds_store_b8 v1, v53 offset:1
	v_mov_b32_e32 v49, v45
	s_wait_loadcnt_dscnt 0x0
	s_barrier_signal -1
	s_barrier_wait -1
	global_inv scope:SCOPE_SE
	s_and_saveexec_b32 s8, s6
	s_cbranch_execz .LBB103_54
; %bb.51:                               ;   in Loop: Header=BB103_2 Depth=1
	v_dual_mov_b32 v49, v45 :: v_dual_mov_b32 v50, v38
	s_mov_b32 s9, 0
.LBB103_52:                             ;   Parent Loop BB103_2 Depth=1
                                        ; =>  This Inner Loop Header: Depth=2
	s_delay_alu instid0(VALU_DEP_1) | instskip(NEXT) | instid1(VALU_DEP_1)
	v_sub_nc_u32_e32 v51, v50, v49
	v_lshrrev_b32_e32 v51, 1, v51
	s_delay_alu instid0(VALU_DEP_1) | instskip(NEXT) | instid1(VALU_DEP_1)
	v_add_nc_u32_e32 v51, v51, v49
	v_add_nc_u32_e32 v52, v8, v51
	v_xad_u32 v53, v51, -1, v31
	v_add_nc_u32_e32 v54, 1, v51
	ds_load_u8 v52, v52
	ds_load_u8 v53, v53
	s_wait_dscnt 0x0
	v_cmp_lt_u16_e64 s7, v53, v52
	s_wait_alu 0xf1ff
	s_delay_alu instid0(VALU_DEP_1) | instskip(SKIP_1) | instid1(VALU_DEP_1)
	v_cndmask_b32_e64 v50, v50, v51, s7
	v_cndmask_b32_e64 v49, v54, v49, s7
	v_cmp_ge_i32_e64 s7, v49, v50
	s_wait_alu 0xfffe
	s_or_b32 s9, s7, s9
	s_wait_alu 0xfffe
	s_and_not1_b32 exec_lo, exec_lo, s9
	s_cbranch_execnz .LBB103_52
; %bb.53:                               ;   in Loop: Header=BB103_2 Depth=1
	s_or_b32 exec_lo, exec_lo, s9
.LBB103_54:                             ;   in Loop: Header=BB103_2 Depth=1
	s_wait_alu 0xfffe
	s_or_b32 exec_lo, exec_lo, s8
	v_add_nc_u32_e32 v52, v49, v8
	v_sub_nc_u32_e32 v51, v31, v49
	ds_load_u8 v49, v52
	ds_load_u8 v50, v51
	v_cmp_le_i32_e64 s7, v23, v52
	v_cmp_gt_i32_e64 s9, v24, v51
	s_wait_dscnt 0x1
	v_and_b32_e32 v53, 0xff, v49
	s_wait_dscnt 0x0
	v_and_b32_e32 v54, 0xff, v50
	s_delay_alu instid0(VALU_DEP_1)
	v_cmp_lt_u16_e64 s8, v54, v53
                                        ; implicit-def: $vgpr53
	s_or_b32 s7, s7, s8
	s_wait_alu 0xfffe
	s_and_b32 s7, s9, s7
	s_wait_alu 0xfffe
	s_xor_b32 s8, s7, -1
	s_wait_alu 0xfffe
	s_and_saveexec_b32 s9, s8
	s_wait_alu 0xfffe
	s_xor_b32 s8, exec_lo, s9
; %bb.55:                               ;   in Loop: Header=BB103_2 Depth=1
	ds_load_u8 v53, v52 offset:1
; %bb.56:                               ;   in Loop: Header=BB103_2 Depth=1
	s_wait_alu 0xfffe
	s_or_saveexec_b32 s8, s8
	v_mov_b32_e32 v54, v50
	s_wait_alu 0xfffe
	s_xor_b32 exec_lo, exec_lo, s8
	s_cbranch_execz .LBB103_58
; %bb.57:                               ;   in Loop: Header=BB103_2 Depth=1
	ds_load_u8 v54, v51 offset:1
	s_wait_dscnt 0x1
	v_mov_b32_e32 v53, v49
.LBB103_58:                             ;   in Loop: Header=BB103_2 Depth=1
	s_or_b32 exec_lo, exec_lo, s8
	v_add_nc_u32_e32 v55, 1, v52
	v_add_nc_u32_e32 v56, 1, v51
	s_wait_dscnt 0x0
	v_and_b32_e32 v57, 0xff, v53
	v_and_b32_e32 v58, 0xff, v54
	s_wait_loadcnt 0x0
	v_cndmask_b32_e64 v55, v55, v52, s7
	v_cndmask_b32_e64 v52, v52, v51, s7
	;; [unrolled: 1-line block ×3, first 2 shown]
	v_cmp_lt_u16_e64 s8, v58, v57
	s_barrier_signal -1
	v_cmp_ge_i32_e64 s9, v55, v23
	s_barrier_wait -1
	v_cmp_lt_i32_e64 s10, v51, v24
	global_inv scope:SCOPE_SE
	ds_store_b8 v1, v47
	ds_store_b8 v1, v48 offset:1
	s_or_b32 s8, s9, s8
	s_wait_loadcnt_dscnt 0x0
	s_wait_alu 0xfffe
	s_and_b32 s8, s10, s8
	s_barrier_signal -1
	s_wait_alu 0xfffe
	v_cndmask_b32_e64 v48, v55, v51, s8
	s_barrier_wait -1
	global_inv scope:SCOPE_SE
	v_cndmask_b32_e64 v49, v49, v50, s7
	ds_load_u8 v47, v52
	ds_load_u8 v48, v48
	v_cndmask_b32_e64 v53, v53, v54, s8
	s_wait_loadcnt_dscnt 0x0
	s_barrier_signal -1
	s_barrier_wait -1
	global_inv scope:SCOPE_SE
	ds_store_b8 v1, v49
	ds_store_b8 v1, v53 offset:1
	v_mov_b32_e32 v49, v9
	s_wait_loadcnt_dscnt 0x0
	s_barrier_signal -1
	s_barrier_wait -1
	global_inv scope:SCOPE_SE
	s_and_saveexec_b32 s8, vcc_lo
	s_cbranch_execz .LBB103_62
; %bb.59:                               ;   in Loop: Header=BB103_2 Depth=1
	v_dual_mov_b32 v49, v9 :: v_dual_mov_b32 v50, v10
	s_mov_b32 s9, 0
.LBB103_60:                             ;   Parent Loop BB103_2 Depth=1
                                        ; =>  This Inner Loop Header: Depth=2
	s_delay_alu instid0(VALU_DEP_1) | instskip(NEXT) | instid1(VALU_DEP_1)
	v_sub_nc_u32_e32 v51, v50, v49
	v_lshrrev_b32_e32 v51, 1, v51
	s_delay_alu instid0(VALU_DEP_1) | instskip(NEXT) | instid1(VALU_DEP_1)
	v_add_nc_u32_e32 v51, v51, v49
	v_xad_u32 v52, v51, -1, v46
	v_add_nc_u32_e32 v54, 1, v51
	ds_load_u8 v53, v51
	ds_load_u8 v52, v52
	s_wait_dscnt 0x0
	v_cmp_lt_u16_e64 s7, v52, v53
	s_wait_alu 0xf1ff
	s_delay_alu instid0(VALU_DEP_1) | instskip(SKIP_1) | instid1(VALU_DEP_1)
	v_cndmask_b32_e64 v50, v50, v51, s7
	v_cndmask_b32_e64 v49, v54, v49, s7
	v_cmp_ge_i32_e64 s7, v49, v50
	s_wait_alu 0xfffe
	s_or_b32 s9, s7, s9
	s_wait_alu 0xfffe
	s_and_not1_b32 exec_lo, exec_lo, s9
	s_cbranch_execnz .LBB103_60
; %bb.61:                               ;   in Loop: Header=BB103_2 Depth=1
	s_or_b32 exec_lo, exec_lo, s9
.LBB103_62:                             ;   in Loop: Header=BB103_2 Depth=1
	s_wait_alu 0xfffe
	s_or_b32 exec_lo, exec_lo, s8
	v_sub_nc_u32_e32 v50, v46, v49
	v_cmp_le_i32_e64 s7, 0x100, v49
	ds_load_u8 v51, v49
	ds_load_u8 v52, v50
	v_cmp_gt_i32_e64 s9, 0x200, v50
	s_wait_dscnt 0x1
	v_and_b32_e32 v53, 0xff, v51
	s_wait_dscnt 0x0
	v_and_b32_e32 v54, 0xff, v52
	s_delay_alu instid0(VALU_DEP_1)
	v_cmp_lt_u16_e64 s8, v54, v53
                                        ; implicit-def: $vgpr54
                                        ; implicit-def: $vgpr53
	s_or_b32 s7, s7, s8
	s_wait_alu 0xfffe
	s_and_b32 s7, s9, s7
	s_wait_alu 0xfffe
	s_xor_b32 s8, s7, -1
	s_wait_alu 0xfffe
	s_and_saveexec_b32 s9, s8
	s_wait_alu 0xfffe
	s_xor_b32 s8, exec_lo, s9
; %bb.63:                               ;   in Loop: Header=BB103_2 Depth=1
	ds_load_u8 v54, v49 offset:1
	v_add_nc_u32_e32 v53, 1, v49
; %bb.64:                               ;   in Loop: Header=BB103_2 Depth=1
	s_wait_alu 0xfffe
	s_or_saveexec_b32 s8, s8
	v_dual_mov_b32 v55, v49 :: v_dual_mov_b32 v56, v52
	s_wait_alu 0xfffe
	s_xor_b32 exec_lo, exec_lo, s8
	s_cbranch_execz .LBB103_1
; %bb.65:                               ;   in Loop: Header=BB103_2 Depth=1
	ds_load_u8 v56, v50 offset:1
	s_wait_dscnt 0x1
	v_dual_mov_b32 v55, v50 :: v_dual_add_nc_u32 v54, 1, v50
	s_delay_alu instid0(VALU_DEP_1)
	v_dual_mov_b32 v53, v49 :: v_dual_mov_b32 v50, v54
	v_mov_b32_e32 v54, v51
	s_branch .LBB103_1
.LBB103_66:
	s_add_nc_u64 s[0:1], s[14:15], s[16:17]
	s_wait_dscnt 0x1
	v_add_nc_u16 v2, v48, v50
	s_wait_alu 0xfffe
	v_add_co_u32 v0, s0, s0, v0
	s_wait_alu 0xf1ff
	v_add_co_ci_u32_e64 v1, null, s1, 0, s0
	s_wait_dscnt 0x0
	v_add_nc_u16 v3, v47, v49
	s_clause 0x1
	global_store_b8 v[0:1], v2, off
	global_store_b8 v[0:1], v3, off offset:256
	s_endpgm
	.section	.rodata,"a",@progbits
	.p2align	6, 0x0
	.amdhsa_kernel _Z17sort_pairs_kernelIhLj256ELj2EN10test_utils4lessELj10EEvPKT_PS2_T2_
		.amdhsa_group_segment_fixed_size 513
		.amdhsa_private_segment_fixed_size 0
		.amdhsa_kernarg_size 20
		.amdhsa_user_sgpr_count 2
		.amdhsa_user_sgpr_dispatch_ptr 0
		.amdhsa_user_sgpr_queue_ptr 0
		.amdhsa_user_sgpr_kernarg_segment_ptr 1
		.amdhsa_user_sgpr_dispatch_id 0
		.amdhsa_user_sgpr_private_segment_size 0
		.amdhsa_wavefront_size32 1
		.amdhsa_uses_dynamic_stack 0
		.amdhsa_enable_private_segment 0
		.amdhsa_system_sgpr_workgroup_id_x 1
		.amdhsa_system_sgpr_workgroup_id_y 0
		.amdhsa_system_sgpr_workgroup_id_z 0
		.amdhsa_system_sgpr_workgroup_info 0
		.amdhsa_system_vgpr_workitem_id 0
		.amdhsa_next_free_vgpr 62
		.amdhsa_next_free_sgpr 18
		.amdhsa_reserve_vcc 1
		.amdhsa_float_round_mode_32 0
		.amdhsa_float_round_mode_16_64 0
		.amdhsa_float_denorm_mode_32 3
		.amdhsa_float_denorm_mode_16_64 3
		.amdhsa_fp16_overflow 0
		.amdhsa_workgroup_processor_mode 1
		.amdhsa_memory_ordered 1
		.amdhsa_forward_progress 1
		.amdhsa_inst_pref_size 43
		.amdhsa_round_robin_scheduling 0
		.amdhsa_exception_fp_ieee_invalid_op 0
		.amdhsa_exception_fp_denorm_src 0
		.amdhsa_exception_fp_ieee_div_zero 0
		.amdhsa_exception_fp_ieee_overflow 0
		.amdhsa_exception_fp_ieee_underflow 0
		.amdhsa_exception_fp_ieee_inexact 0
		.amdhsa_exception_int_div_zero 0
	.end_amdhsa_kernel
	.section	.text._Z17sort_pairs_kernelIhLj256ELj2EN10test_utils4lessELj10EEvPKT_PS2_T2_,"axG",@progbits,_Z17sort_pairs_kernelIhLj256ELj2EN10test_utils4lessELj10EEvPKT_PS2_T2_,comdat
.Lfunc_end103:
	.size	_Z17sort_pairs_kernelIhLj256ELj2EN10test_utils4lessELj10EEvPKT_PS2_T2_, .Lfunc_end103-_Z17sort_pairs_kernelIhLj256ELj2EN10test_utils4lessELj10EEvPKT_PS2_T2_
                                        ; -- End function
	.set _Z17sort_pairs_kernelIhLj256ELj2EN10test_utils4lessELj10EEvPKT_PS2_T2_.num_vgpr, 62
	.set _Z17sort_pairs_kernelIhLj256ELj2EN10test_utils4lessELj10EEvPKT_PS2_T2_.num_agpr, 0
	.set _Z17sort_pairs_kernelIhLj256ELj2EN10test_utils4lessELj10EEvPKT_PS2_T2_.numbered_sgpr, 18
	.set _Z17sort_pairs_kernelIhLj256ELj2EN10test_utils4lessELj10EEvPKT_PS2_T2_.num_named_barrier, 0
	.set _Z17sort_pairs_kernelIhLj256ELj2EN10test_utils4lessELj10EEvPKT_PS2_T2_.private_seg_size, 0
	.set _Z17sort_pairs_kernelIhLj256ELj2EN10test_utils4lessELj10EEvPKT_PS2_T2_.uses_vcc, 1
	.set _Z17sort_pairs_kernelIhLj256ELj2EN10test_utils4lessELj10EEvPKT_PS2_T2_.uses_flat_scratch, 0
	.set _Z17sort_pairs_kernelIhLj256ELj2EN10test_utils4lessELj10EEvPKT_PS2_T2_.has_dyn_sized_stack, 0
	.set _Z17sort_pairs_kernelIhLj256ELj2EN10test_utils4lessELj10EEvPKT_PS2_T2_.has_recursion, 0
	.set _Z17sort_pairs_kernelIhLj256ELj2EN10test_utils4lessELj10EEvPKT_PS2_T2_.has_indirect_call, 0
	.section	.AMDGPU.csdata,"",@progbits
; Kernel info:
; codeLenInByte = 5444
; TotalNumSgprs: 20
; NumVgprs: 62
; ScratchSize: 0
; MemoryBound: 0
; FloatMode: 240
; IeeeMode: 1
; LDSByteSize: 513 bytes/workgroup (compile time only)
; SGPRBlocks: 0
; VGPRBlocks: 7
; NumSGPRsForWavesPerEU: 20
; NumVGPRsForWavesPerEU: 62
; Occupancy: 16
; WaveLimiterHint : 1
; COMPUTE_PGM_RSRC2:SCRATCH_EN: 0
; COMPUTE_PGM_RSRC2:USER_SGPR: 2
; COMPUTE_PGM_RSRC2:TRAP_HANDLER: 0
; COMPUTE_PGM_RSRC2:TGID_X_EN: 1
; COMPUTE_PGM_RSRC2:TGID_Y_EN: 0
; COMPUTE_PGM_RSRC2:TGID_Z_EN: 0
; COMPUTE_PGM_RSRC2:TIDIG_COMP_CNT: 0
	.section	.text._Z16sort_keys_kernelIhLj256ELj3EN10test_utils4lessELj10EEvPKT_PS2_T2_,"axG",@progbits,_Z16sort_keys_kernelIhLj256ELj3EN10test_utils4lessELj10EEvPKT_PS2_T2_,comdat
	.protected	_Z16sort_keys_kernelIhLj256ELj3EN10test_utils4lessELj10EEvPKT_PS2_T2_ ; -- Begin function _Z16sort_keys_kernelIhLj256ELj3EN10test_utils4lessELj10EEvPKT_PS2_T2_
	.globl	_Z16sort_keys_kernelIhLj256ELj3EN10test_utils4lessELj10EEvPKT_PS2_T2_
	.p2align	8
	.type	_Z16sort_keys_kernelIhLj256ELj3EN10test_utils4lessELj10EEvPKT_PS2_T2_,@function
_Z16sort_keys_kernelIhLj256ELj3EN10test_utils4lessELj10EEvPKT_PS2_T2_: ; @_Z16sort_keys_kernelIhLj256ELj3EN10test_utils4lessELj10EEvPKT_PS2_T2_
; %bb.0:
	s_load_b128 s[12:15], s[0:1], 0x0
	s_mul_i32 s16, ttmp9, 0x300
	s_mov_b32 s17, 0
	v_and_b32_e32 v3, 0xfe, v0
	v_and_b32_e32 v5, 0xfc, v0
	;; [unrolled: 1-line block ×5, first 2 shown]
	v_mul_u32_u24_e32 v11, 3, v3
	v_and_b32_e32 v8, 0xe0, v0
	v_mul_u32_u24_e32 v12, 3, v5
	v_mul_u32_u24_e32 v13, 3, v6
	v_and_b32_e32 v9, 0xc0, v0
	v_min_u32_e32 v26, 0x2fd, v11
	v_min_u32_e32 v18, 0x2fa, v11
	v_and_b32_e32 v10, 0x80, v0
	v_cmp_eq_u32_e32 vcc_lo, 1, v4
	v_mul_u32_u24_e32 v14, 3, v7
	v_mul_u32_u24_e32 v15, 3, v8
	v_min_u32_e32 v6, 0x300, v12
	s_wait_kmcnt 0x0
	s_add_nc_u64 s[0:1], s[12:13], s[16:17]
	v_min_u32_e32 v27, 0x2fa, v12
	s_clause 0x2
	global_load_u8 v53, v0, s[0:1] offset:256
	global_load_u8 v54, v0, s[0:1] offset:512
	global_load_u8 v55, v0, s[0:1]
	v_min_u32_e32 v19, 0x2f4, v12
	v_min_u32_e32 v7, 0x300, v13
	;; [unrolled: 1-line block ×4, first 2 shown]
	v_add_nc_u32_e32 v12, 3, v26
	v_add_nc_u32_e32 v13, 6, v18
	v_and_b32_e32 v33, 3, v0
	v_cndmask_b32_e64 v46, 0, 3, vcc_lo
	v_mul_u32_u24_e32 v16, 3, v9
	v_mul_u32_u24_e32 v17, 3, v10
	v_min_u32_e32 v5, 0x300, v11
	v_min_u32_e32 v8, 0x300, v14
	;; [unrolled: 1-line block ×7, first 2 shown]
	v_add_nc_u32_e32 v14, 6, v27
	v_add_nc_u32_e32 v15, 12, v19
	v_sub_nc_u32_e32 v56, v13, v12
	v_and_b32_e32 v34, 7, v0
	v_mul_u32_u24_e32 v47, 3, v33
	v_min_u32_e32 v10, 0x300, v16
	v_min_u32_e32 v31, 0x2a0, v16
	v_min_u32_e32 v23, 0x240, v16
	v_min_u32_e32 v11, 0x300, v17
	v_min_u32_e32 v58, 0x240, v17
	v_min_u32_e32 v25, 0x180, v17
	v_add_nc_u32_e32 v16, 12, v28
	v_add_nc_u32_e32 v17, 24, v20
	v_sub_nc_u32_e32 v39, v12, v5
	v_sub_nc_u32_e32 v59, v15, v14
	;; [unrolled: 1-line block ×3, first 2 shown]
	v_cmp_ge_i32_e64 s0, v46, v56
	v_and_b32_e32 v35, 15, v0
	v_mul_u32_u24_e32 v48, 3, v34
	v_add_nc_u32_e32 v18, 24, v29
	v_add_nc_u32_e32 v19, 48, v21
	v_add_nc_u32_e32 v26, v26, v46
	v_add_nc_u32_e32 v32, v12, v46
	v_sub_nc_u32_e32 v40, v14, v6
	v_sub_nc_u32_e32 v60, v17, v16
	v_min_i32_e32 v39, v46, v39
	v_sub_nc_u32_e32 v66, v47, v59
	v_cndmask_b32_e64 v46, 0, v65, s0
	v_cmp_ge_i32_e64 s0, v47, v59
	v_and_b32_e32 v36, 31, v0
	v_mul_u32_u24_e32 v49, 3, v35
	v_add_nc_u32_e32 v20, 48, v30
	v_add_nc_u32_e32 v21, 0x60, v22
	v_sub_nc_u32_e32 v41, v16, v7
	v_sub_nc_u32_e32 v61, v19, v18
	v_min_i32_e32 v40, v47, v40
	v_sub_nc_u32_e32 v67, v48, v60
	s_wait_alu 0xf1ff
	v_cndmask_b32_e64 v47, 0, v66, s0
	v_cmp_ge_i32_e64 s0, v48, v60
	v_and_b32_e32 v37, 63, v0
	v_mul_u32_u24_e32 v50, 3, v36
	v_add_nc_u32_e32 v22, 0x60, v31
	v_add_nc_u32_e32 v23, 0xc0, v23
	v_sub_nc_u32_e32 v42, v18, v8
	v_sub_nc_u32_e32 v62, v21, v20
	v_min_i32_e32 v41, v48, v41
	v_sub_nc_u32_e32 v68, v49, v61
	s_wait_alu 0xf1ff
	;; [unrolled: 11-line block ×3, first 2 shown]
	v_cndmask_b32_e64 v49, 0, v68, s0
	v_cmp_ge_i32_e64 s0, v50, v62
	v_mul_u32_u24_e32 v52, 3, v57
	v_sub_nc_u32_e32 v44, v22, v10
	v_sub_nc_u32_e32 v64, v25, v24
	v_min_i32_e32 v43, v50, v43
	v_sub_nc_u32_e32 v70, v51, v63
	s_wait_alu 0xf1ff
	v_cndmask_b32_e64 v50, 0, v69, s0
	v_cmp_ge_i32_e64 s0, v51, v63
	v_sub_nc_u32_e32 v45, v24, v11
	v_min_i32_e32 v44, v51, v44
	v_sub_nc_u32_e32 v71, v52, v64
	v_mul_u32_u24_e32 v1, 3, v0
	s_wait_alu 0xf1ff
	v_cndmask_b32_e64 v51, 0, v70, s0
	v_cmp_ge_i32_e64 s0, v52, v64
	v_min_i32_e32 v45, v52, v45
	v_mad_u32_u24 v2, v0, 3, 0x180
	v_subrev_nc_u32_e64 v3, 0x180, v1 clamp
	v_min_i32_e32 v4, 0x180, v1
	s_wait_alu 0xf1ff
	v_cndmask_b32_e64 v52, 0, v71, s0
	v_mad_u32_u24 v27, v33, 3, v27
	v_mad_u32_u24 v28, v34, 3, v28
	;; [unrolled: 1-line block ×11, first 2 shown]
	v_cmp_lt_i32_e64 s0, v46, v39
	v_cmp_lt_i32_e64 s1, v47, v40
	;; [unrolled: 1-line block ×7, first 2 shown]
	s_mov_b32 s11, s17
	v_cmp_lt_i32_e32 vcc_lo, v3, v4
	s_wait_loadcnt 0x0
	v_perm_b32 v53, v55, v53, 0xc0c0004
	s_delay_alu instid0(VALU_DEP_1)
	v_lshl_or_b32 v56, v54, 16, v53
	v_mad_u32_u24 v53, v57, 3, v58
	s_branch .LBB104_2
.LBB104_1:                              ;   in Loop: Header=BB104_2 Depth=1
	s_or_b32 exec_lo, exec_lo, s9
	s_wait_dscnt 0x0
	v_and_b32_e32 v61, 0xff, v59
	v_and_b32_e32 v63, 0xff, v62
	v_cndmask_b32_e64 v57, v57, v58, s8
	v_cmp_le_i32_e64 s8, 0x180, v60
	v_cndmask_b32_e64 v54, v54, v55, s7
	v_cmp_gt_i32_e64 s7, 0x300, v56
	v_cmp_lt_u16_e64 s9, v63, v61
	v_lshlrev_b16 v56, 8, v57
	s_add_co_i32 s11, s11, 1
	v_and_b32_e32 v58, 0xff, v54
	s_or_b32 s8, s8, s9
	s_wait_alu 0xfffe
	s_and_b32 s7, s7, s8
	s_delay_alu instid0(VALU_DEP_1) | instskip(SKIP_3) | instid1(VALU_DEP_2)
	v_or_b32_e32 v56, v58, v56
	s_wait_alu 0xfffe
	v_cndmask_b32_e64 v55, v59, v62, s7
	s_cmp_eq_u32 s11, 10
	v_and_b32_e32 v56, 0xffff, v56
	s_delay_alu instid0(VALU_DEP_2) | instskip(NEXT) | instid1(VALU_DEP_1)
	v_and_b32_e32 v58, 0xff, v55
	v_lshlrev_b32_e32 v58, 16, v58
	s_delay_alu instid0(VALU_DEP_1)
	v_or_b32_e32 v56, v56, v58
	s_cbranch_scc1 .LBB104_98
.LBB104_2:                              ; =>This Loop Header: Depth=1
                                        ;     Child Loop BB104_4 Depth 2
                                        ;     Child Loop BB104_16 Depth 2
	;; [unrolled: 1-line block ×8, first 2 shown]
	s_delay_alu instid0(VALU_DEP_1) | instskip(SKIP_3) | instid1(VALU_DEP_3)
	v_lshrrev_b32_e32 v54, 8, v56
	v_and_b32_e32 v55, 0xff, v56
	v_perm_b32 v57, v56, v56, 0x7060405
	s_barrier_signal -1
	v_and_b32_e32 v54, 0xff, v54
	s_barrier_wait -1
	global_inv scope:SCOPE_SE
	v_cmp_lt_u16_e64 s7, v54, v55
	v_max_u16 v58, v54, v55
	v_min_u16 v54, v54, v55
	s_wait_alu 0xf1ff
	s_delay_alu instid0(VALU_DEP_3) | instskip(NEXT) | instid1(VALU_DEP_1)
	v_cndmask_b32_e64 v56, v56, v57, s7
	v_lshrrev_b32_e32 v57, 16, v56
	v_and_b32_e32 v59, 0xff, v56
	s_delay_alu instid0(VALU_DEP_2) | instskip(SKIP_2) | instid1(VALU_DEP_3)
	v_lshlrev_b16 v60, 8, v57
	v_and_b32_e32 v61, 0xffffff00, v57
	v_and_b32_e32 v55, 0xff, v57
	v_or_b32_e32 v57, v59, v60
	s_delay_alu instid0(VALU_DEP_3) | instskip(SKIP_1) | instid1(VALU_DEP_4)
	v_or_b32_e32 v59, v58, v61
	v_lshlrev_b16 v60, 8, v54
	v_min_u16 v61, v55, v58
	v_cmp_lt_u16_e64 s7, v55, v58
	v_and_b32_e32 v57, 0xffff, v57
	v_lshlrev_b32_e32 v59, 16, v59
	s_delay_alu instid0(VALU_DEP_4) | instskip(NEXT) | instid1(VALU_DEP_2)
	v_or_b32_e32 v60, v61, v60
	v_or_b32_e32 v57, v57, v59
	s_delay_alu instid0(VALU_DEP_2) | instskip(SKIP_1) | instid1(VALU_DEP_2)
	v_and_b32_e32 v59, 0xffff, v60
	s_wait_alu 0xf1ff
	v_cndmask_b32_e64 v56, v56, v57, s7
	v_cmp_lt_u16_e64 s7, v55, v54
	s_delay_alu instid0(VALU_DEP_2) | instskip(SKIP_1) | instid1(VALU_DEP_1)
	v_and_or_b32 v57, 0xffff0000, v56, v59
	s_wait_alu 0xf1ff
	v_cndmask_b32_e64 v54, v56, v57, s7
	v_mov_b32_e32 v56, v46
	s_delay_alu instid0(VALU_DEP_2)
	v_lshrrev_b32_e32 v55, 8, v54
	ds_store_b8 v1, v54
	ds_store_b8 v1, v55 offset:1
	ds_store_b8_d16_hi v1, v54 offset:2
	s_wait_loadcnt_dscnt 0x0
	s_barrier_signal -1
	s_barrier_wait -1
	global_inv scope:SCOPE_SE
	s_and_saveexec_b32 s8, s0
	s_cbranch_execz .LBB104_6
; %bb.3:                                ;   in Loop: Header=BB104_2 Depth=1
	v_mov_b32_e32 v56, v46
	v_mov_b32_e32 v54, v39
	s_mov_b32 s9, 0
.LBB104_4:                              ;   Parent Loop BB104_2 Depth=1
                                        ; =>  This Inner Loop Header: Depth=2
	s_delay_alu instid0(VALU_DEP_1) | instskip(NEXT) | instid1(VALU_DEP_1)
	v_sub_nc_u32_e32 v55, v54, v56
	v_lshrrev_b32_e32 v55, 1, v55
	s_delay_alu instid0(VALU_DEP_1) | instskip(NEXT) | instid1(VALU_DEP_1)
	v_add_nc_u32_e32 v55, v55, v56
	v_add_nc_u32_e32 v57, v5, v55
	v_xad_u32 v58, v55, -1, v26
	v_add_nc_u32_e32 v59, 1, v55
	ds_load_u8 v57, v57
	ds_load_u8 v58, v58 offset:3
	s_wait_dscnt 0x0
	v_cmp_lt_u16_e64 s7, v58, v57
	s_wait_alu 0xf1ff
	s_delay_alu instid0(VALU_DEP_1) | instskip(SKIP_1) | instid1(VALU_DEP_1)
	v_cndmask_b32_e64 v54, v54, v55, s7
	v_cndmask_b32_e64 v56, v59, v56, s7
	v_cmp_ge_i32_e64 s7, v56, v54
	s_wait_alu 0xfffe
	s_or_b32 s9, s7, s9
	s_wait_alu 0xfffe
	s_and_not1_b32 exec_lo, exec_lo, s9
	s_cbranch_execnz .LBB104_4
; %bb.5:                                ;   in Loop: Header=BB104_2 Depth=1
	s_or_b32 exec_lo, exec_lo, s9
.LBB104_6:                              ;   in Loop: Header=BB104_2 Depth=1
	s_wait_alu 0xfffe
	s_or_b32 exec_lo, exec_lo, s8
	v_add_nc_u32_e32 v58, v56, v5
	v_sub_nc_u32_e32 v60, v26, v56
	v_sub_nc_u32_e32 v59, v32, v56
                                        ; implicit-def: $vgpr56
	ds_load_u8 v54, v58
	ds_load_u8 v55, v60 offset:3
	v_cmp_le_i32_e64 s7, v12, v58
	v_cmp_gt_i32_e64 s9, v13, v59
	s_wait_dscnt 0x1
	v_and_b32_e32 v57, 0xff, v54
	s_wait_dscnt 0x0
	v_and_b32_e32 v61, 0xff, v55
	s_delay_alu instid0(VALU_DEP_1)
	v_cmp_lt_u16_e64 s8, v61, v57
	s_or_b32 s7, s7, s8
	s_wait_alu 0xfffe
	s_and_b32 s7, s9, s7
	s_wait_alu 0xfffe
	s_xor_b32 s8, s7, -1
	s_wait_alu 0xfffe
	s_and_saveexec_b32 s9, s8
	s_wait_alu 0xfffe
	s_xor_b32 s8, exec_lo, s9
; %bb.7:                                ;   in Loop: Header=BB104_2 Depth=1
	ds_load_u8 v56, v58 offset:1
                                        ; implicit-def: $vgpr60
; %bb.8:                                ;   in Loop: Header=BB104_2 Depth=1
	s_wait_alu 0xfffe
	s_or_saveexec_b32 s8, s8
	v_mov_b32_e32 v57, v55
	s_wait_alu 0xfffe
	s_xor_b32 exec_lo, exec_lo, s8
	s_cbranch_execz .LBB104_10
; %bb.9:                                ;   in Loop: Header=BB104_2 Depth=1
	ds_load_u8 v57, v60 offset:4
	s_wait_dscnt 0x1
	v_mov_b32_e32 v56, v54
.LBB104_10:                             ;   in Loop: Header=BB104_2 Depth=1
	s_or_b32 exec_lo, exec_lo, s8
	v_add_nc_u32_e32 v60, 1, v58
	v_add_nc_u32_e32 v61, 1, v59
	s_wait_dscnt 0x0
	v_and_b32_e32 v62, 0xff, v56
	s_delay_alu instid0(VALU_DEP_3) | instskip(SKIP_2) | instid1(VALU_DEP_3)
	v_cndmask_b32_e64 v60, v60, v58, s7
	v_and_b32_e32 v58, 0xff, v57
	v_cndmask_b32_e64 v59, v59, v61, s7
	v_cmp_ge_i32_e64 s8, v60, v12
	s_delay_alu instid0(VALU_DEP_3) | instskip(NEXT) | instid1(VALU_DEP_3)
	v_cmp_lt_u16_e64 s9, v58, v62
	v_cmp_lt_i32_e64 s10, v59, v13
                                        ; implicit-def: $vgpr58
	s_or_b32 s8, s8, s9
	s_wait_alu 0xfffe
	s_and_b32 s8, s10, s8
	s_wait_alu 0xfffe
	s_xor_b32 s9, s8, -1
	s_wait_alu 0xfffe
	s_and_saveexec_b32 s10, s9
	s_delay_alu instid0(SALU_CYCLE_1)
	s_xor_b32 s9, exec_lo, s10
; %bb.11:                               ;   in Loop: Header=BB104_2 Depth=1
	ds_load_u8 v58, v60 offset:1
; %bb.12:                               ;   in Loop: Header=BB104_2 Depth=1
	s_wait_alu 0xfffe
	s_or_saveexec_b32 s9, s9
	v_mov_b32_e32 v61, v57
	s_wait_alu 0xfffe
	s_xor_b32 exec_lo, exec_lo, s9
	s_cbranch_execz .LBB104_14
; %bb.13:                               ;   in Loop: Header=BB104_2 Depth=1
	ds_load_u8 v61, v59 offset:1
	s_wait_dscnt 0x1
	v_mov_b32_e32 v58, v56
.LBB104_14:                             ;   in Loop: Header=BB104_2 Depth=1
	s_or_b32 exec_lo, exec_lo, s9
	v_add_nc_u32_e32 v62, 1, v60
	v_add_nc_u32_e32 v63, 1, v59
	s_wait_dscnt 0x0
	v_and_b32_e32 v64, 0xff, v58
	v_and_b32_e32 v65, 0xff, v61
	v_cndmask_b32_e64 v57, v56, v57, s8
	v_cndmask_b32_e64 v60, v62, v60, s8
	v_mov_b32_e32 v56, v47
	v_cndmask_b32_e64 v59, v59, v63, s8
	v_cmp_lt_u16_e64 s8, v65, v64
	v_cndmask_b32_e64 v54, v54, v55, s7
	v_cmp_ge_i32_e64 s9, v60, v12
	s_wait_loadcnt 0x0
	v_cmp_lt_i32_e64 s7, v59, v13
	s_barrier_signal -1
	s_barrier_wait -1
	s_or_b32 s8, s9, s8
	global_inv scope:SCOPE_SE
	s_wait_alu 0xfffe
	s_and_b32 s7, s7, s8
	s_wait_alu 0xfffe
	v_cndmask_b32_e64 v55, v58, v61, s7
	ds_store_b8 v1, v54
	ds_store_b8 v1, v57 offset:1
	ds_store_b8 v1, v55 offset:2
	s_wait_loadcnt_dscnt 0x0
	s_barrier_signal -1
	s_barrier_wait -1
	global_inv scope:SCOPE_SE
	s_and_saveexec_b32 s8, s1
	s_cbranch_execz .LBB104_18
; %bb.15:                               ;   in Loop: Header=BB104_2 Depth=1
	v_mov_b32_e32 v56, v47
	v_mov_b32_e32 v54, v40
	s_mov_b32 s9, 0
.LBB104_16:                             ;   Parent Loop BB104_2 Depth=1
                                        ; =>  This Inner Loop Header: Depth=2
	s_delay_alu instid0(VALU_DEP_1) | instskip(NEXT) | instid1(VALU_DEP_1)
	v_sub_nc_u32_e32 v55, v54, v56
	v_lshrrev_b32_e32 v55, 1, v55
	s_delay_alu instid0(VALU_DEP_1) | instskip(NEXT) | instid1(VALU_DEP_1)
	v_add_nc_u32_e32 v55, v55, v56
	v_add_nc_u32_e32 v57, v6, v55
	v_xad_u32 v58, v55, -1, v27
	v_add_nc_u32_e32 v59, 1, v55
	ds_load_u8 v57, v57
	ds_load_u8 v58, v58 offset:6
	s_wait_dscnt 0x0
	v_cmp_lt_u16_e64 s7, v58, v57
	s_wait_alu 0xf1ff
	s_delay_alu instid0(VALU_DEP_1) | instskip(SKIP_1) | instid1(VALU_DEP_1)
	v_cndmask_b32_e64 v54, v54, v55, s7
	v_cndmask_b32_e64 v56, v59, v56, s7
	v_cmp_ge_i32_e64 s7, v56, v54
	s_wait_alu 0xfffe
	s_or_b32 s9, s7, s9
	s_wait_alu 0xfffe
	s_and_not1_b32 exec_lo, exec_lo, s9
	s_cbranch_execnz .LBB104_16
; %bb.17:                               ;   in Loop: Header=BB104_2 Depth=1
	s_or_b32 exec_lo, exec_lo, s9
.LBB104_18:                             ;   in Loop: Header=BB104_2 Depth=1
	s_wait_alu 0xfffe
	s_or_b32 exec_lo, exec_lo, s8
	v_add_nc_u32_e32 v58, v56, v6
	v_sub_nc_u32_e32 v60, v27, v56
	v_sub_nc_u32_e32 v59, v33, v56
                                        ; implicit-def: $vgpr56
	ds_load_u8 v54, v58
	ds_load_u8 v55, v60 offset:6
	v_cmp_le_i32_e64 s7, v14, v58
	v_cmp_gt_i32_e64 s9, v15, v59
	s_wait_dscnt 0x1
	v_and_b32_e32 v57, 0xff, v54
	s_wait_dscnt 0x0
	v_and_b32_e32 v61, 0xff, v55
	s_delay_alu instid0(VALU_DEP_1)
	v_cmp_lt_u16_e64 s8, v61, v57
	s_or_b32 s7, s7, s8
	s_wait_alu 0xfffe
	s_and_b32 s7, s9, s7
	s_wait_alu 0xfffe
	s_xor_b32 s8, s7, -1
	s_wait_alu 0xfffe
	s_and_saveexec_b32 s9, s8
	s_wait_alu 0xfffe
	s_xor_b32 s8, exec_lo, s9
; %bb.19:                               ;   in Loop: Header=BB104_2 Depth=1
	ds_load_u8 v56, v58 offset:1
                                        ; implicit-def: $vgpr60
; %bb.20:                               ;   in Loop: Header=BB104_2 Depth=1
	s_wait_alu 0xfffe
	s_or_saveexec_b32 s8, s8
	v_mov_b32_e32 v57, v55
	s_wait_alu 0xfffe
	s_xor_b32 exec_lo, exec_lo, s8
	s_cbranch_execz .LBB104_22
; %bb.21:                               ;   in Loop: Header=BB104_2 Depth=1
	ds_load_u8 v57, v60 offset:7
	s_wait_dscnt 0x1
	v_mov_b32_e32 v56, v54
.LBB104_22:                             ;   in Loop: Header=BB104_2 Depth=1
	s_or_b32 exec_lo, exec_lo, s8
	v_add_nc_u32_e32 v60, 1, v58
	v_add_nc_u32_e32 v61, 1, v59
	s_wait_dscnt 0x0
	v_and_b32_e32 v62, 0xff, v56
	s_delay_alu instid0(VALU_DEP_3) | instskip(SKIP_2) | instid1(VALU_DEP_3)
	v_cndmask_b32_e64 v60, v60, v58, s7
	v_and_b32_e32 v58, 0xff, v57
	v_cndmask_b32_e64 v59, v59, v61, s7
	v_cmp_ge_i32_e64 s8, v60, v14
	s_delay_alu instid0(VALU_DEP_3) | instskip(NEXT) | instid1(VALU_DEP_3)
	v_cmp_lt_u16_e64 s9, v58, v62
	v_cmp_lt_i32_e64 s10, v59, v15
                                        ; implicit-def: $vgpr58
	s_or_b32 s8, s8, s9
	s_wait_alu 0xfffe
	s_and_b32 s8, s10, s8
	s_wait_alu 0xfffe
	s_xor_b32 s9, s8, -1
	s_wait_alu 0xfffe
	s_and_saveexec_b32 s10, s9
	s_delay_alu instid0(SALU_CYCLE_1)
	s_xor_b32 s9, exec_lo, s10
; %bb.23:                               ;   in Loop: Header=BB104_2 Depth=1
	ds_load_u8 v58, v60 offset:1
; %bb.24:                               ;   in Loop: Header=BB104_2 Depth=1
	s_wait_alu 0xfffe
	s_or_saveexec_b32 s9, s9
	v_mov_b32_e32 v61, v57
	s_wait_alu 0xfffe
	s_xor_b32 exec_lo, exec_lo, s9
	s_cbranch_execz .LBB104_26
; %bb.25:                               ;   in Loop: Header=BB104_2 Depth=1
	ds_load_u8 v61, v59 offset:1
	s_wait_dscnt 0x1
	v_mov_b32_e32 v58, v56
.LBB104_26:                             ;   in Loop: Header=BB104_2 Depth=1
	s_or_b32 exec_lo, exec_lo, s9
	v_add_nc_u32_e32 v62, 1, v60
	v_add_nc_u32_e32 v63, 1, v59
	s_wait_dscnt 0x0
	v_and_b32_e32 v64, 0xff, v58
	v_and_b32_e32 v65, 0xff, v61
	v_cndmask_b32_e64 v57, v56, v57, s8
	v_cndmask_b32_e64 v60, v62, v60, s8
	v_mov_b32_e32 v56, v48
	v_cndmask_b32_e64 v59, v59, v63, s8
	v_cmp_lt_u16_e64 s8, v65, v64
	v_cndmask_b32_e64 v54, v54, v55, s7
	v_cmp_ge_i32_e64 s9, v60, v14
	s_wait_loadcnt 0x0
	v_cmp_lt_i32_e64 s7, v59, v15
	s_barrier_signal -1
	s_barrier_wait -1
	s_or_b32 s8, s9, s8
	global_inv scope:SCOPE_SE
	s_wait_alu 0xfffe
	s_and_b32 s7, s7, s8
	s_wait_alu 0xfffe
	v_cndmask_b32_e64 v55, v58, v61, s7
	ds_store_b8 v1, v54
	ds_store_b8 v1, v57 offset:1
	ds_store_b8 v1, v55 offset:2
	s_wait_loadcnt_dscnt 0x0
	s_barrier_signal -1
	s_barrier_wait -1
	global_inv scope:SCOPE_SE
	s_and_saveexec_b32 s8, s2
	s_cbranch_execz .LBB104_30
; %bb.27:                               ;   in Loop: Header=BB104_2 Depth=1
	v_mov_b32_e32 v56, v48
	v_mov_b32_e32 v54, v41
	s_mov_b32 s9, 0
.LBB104_28:                             ;   Parent Loop BB104_2 Depth=1
                                        ; =>  This Inner Loop Header: Depth=2
	s_delay_alu instid0(VALU_DEP_1) | instskip(NEXT) | instid1(VALU_DEP_1)
	v_sub_nc_u32_e32 v55, v54, v56
	v_lshrrev_b32_e32 v55, 1, v55
	s_delay_alu instid0(VALU_DEP_1) | instskip(NEXT) | instid1(VALU_DEP_1)
	v_add_nc_u32_e32 v55, v55, v56
	v_add_nc_u32_e32 v57, v7, v55
	v_xad_u32 v58, v55, -1, v28
	v_add_nc_u32_e32 v59, 1, v55
	ds_load_u8 v57, v57
	ds_load_u8 v58, v58 offset:12
	s_wait_dscnt 0x0
	v_cmp_lt_u16_e64 s7, v58, v57
	s_wait_alu 0xf1ff
	s_delay_alu instid0(VALU_DEP_1) | instskip(SKIP_1) | instid1(VALU_DEP_1)
	v_cndmask_b32_e64 v54, v54, v55, s7
	v_cndmask_b32_e64 v56, v59, v56, s7
	v_cmp_ge_i32_e64 s7, v56, v54
	s_wait_alu 0xfffe
	s_or_b32 s9, s7, s9
	s_wait_alu 0xfffe
	s_and_not1_b32 exec_lo, exec_lo, s9
	s_cbranch_execnz .LBB104_28
; %bb.29:                               ;   in Loop: Header=BB104_2 Depth=1
	s_or_b32 exec_lo, exec_lo, s9
.LBB104_30:                             ;   in Loop: Header=BB104_2 Depth=1
	s_wait_alu 0xfffe
	s_or_b32 exec_lo, exec_lo, s8
	v_add_nc_u32_e32 v58, v56, v7
	v_sub_nc_u32_e32 v60, v28, v56
	v_sub_nc_u32_e32 v59, v34, v56
                                        ; implicit-def: $vgpr56
	ds_load_u8 v54, v58
	ds_load_u8 v55, v60 offset:12
	v_cmp_le_i32_e64 s7, v16, v58
	v_cmp_gt_i32_e64 s9, v17, v59
	s_wait_dscnt 0x1
	v_and_b32_e32 v57, 0xff, v54
	s_wait_dscnt 0x0
	v_and_b32_e32 v61, 0xff, v55
	s_delay_alu instid0(VALU_DEP_1)
	v_cmp_lt_u16_e64 s8, v61, v57
	s_or_b32 s7, s7, s8
	s_wait_alu 0xfffe
	s_and_b32 s7, s9, s7
	s_wait_alu 0xfffe
	s_xor_b32 s8, s7, -1
	s_wait_alu 0xfffe
	s_and_saveexec_b32 s9, s8
	s_wait_alu 0xfffe
	s_xor_b32 s8, exec_lo, s9
; %bb.31:                               ;   in Loop: Header=BB104_2 Depth=1
	ds_load_u8 v56, v58 offset:1
                                        ; implicit-def: $vgpr60
; %bb.32:                               ;   in Loop: Header=BB104_2 Depth=1
	s_wait_alu 0xfffe
	s_or_saveexec_b32 s8, s8
	v_mov_b32_e32 v57, v55
	s_wait_alu 0xfffe
	s_xor_b32 exec_lo, exec_lo, s8
	s_cbranch_execz .LBB104_34
; %bb.33:                               ;   in Loop: Header=BB104_2 Depth=1
	ds_load_u8 v57, v60 offset:13
	s_wait_dscnt 0x1
	v_mov_b32_e32 v56, v54
.LBB104_34:                             ;   in Loop: Header=BB104_2 Depth=1
	s_or_b32 exec_lo, exec_lo, s8
	v_add_nc_u32_e32 v60, 1, v58
	v_add_nc_u32_e32 v61, 1, v59
	s_wait_dscnt 0x0
	v_and_b32_e32 v62, 0xff, v56
	s_delay_alu instid0(VALU_DEP_3) | instskip(SKIP_2) | instid1(VALU_DEP_3)
	v_cndmask_b32_e64 v60, v60, v58, s7
	v_and_b32_e32 v58, 0xff, v57
	v_cndmask_b32_e64 v59, v59, v61, s7
	v_cmp_ge_i32_e64 s8, v60, v16
	s_delay_alu instid0(VALU_DEP_3) | instskip(NEXT) | instid1(VALU_DEP_3)
	v_cmp_lt_u16_e64 s9, v58, v62
	v_cmp_lt_i32_e64 s10, v59, v17
                                        ; implicit-def: $vgpr58
	s_or_b32 s8, s8, s9
	s_wait_alu 0xfffe
	s_and_b32 s8, s10, s8
	s_wait_alu 0xfffe
	s_xor_b32 s9, s8, -1
	s_wait_alu 0xfffe
	s_and_saveexec_b32 s10, s9
	s_delay_alu instid0(SALU_CYCLE_1)
	s_xor_b32 s9, exec_lo, s10
; %bb.35:                               ;   in Loop: Header=BB104_2 Depth=1
	ds_load_u8 v58, v60 offset:1
; %bb.36:                               ;   in Loop: Header=BB104_2 Depth=1
	s_wait_alu 0xfffe
	s_or_saveexec_b32 s9, s9
	v_mov_b32_e32 v61, v57
	s_wait_alu 0xfffe
	s_xor_b32 exec_lo, exec_lo, s9
	s_cbranch_execz .LBB104_38
; %bb.37:                               ;   in Loop: Header=BB104_2 Depth=1
	ds_load_u8 v61, v59 offset:1
	s_wait_dscnt 0x1
	v_mov_b32_e32 v58, v56
.LBB104_38:                             ;   in Loop: Header=BB104_2 Depth=1
	s_or_b32 exec_lo, exec_lo, s9
	v_add_nc_u32_e32 v62, 1, v60
	v_add_nc_u32_e32 v63, 1, v59
	s_wait_dscnt 0x0
	v_and_b32_e32 v64, 0xff, v58
	v_and_b32_e32 v65, 0xff, v61
	v_cndmask_b32_e64 v57, v56, v57, s8
	v_cndmask_b32_e64 v60, v62, v60, s8
	v_mov_b32_e32 v56, v49
	v_cndmask_b32_e64 v59, v59, v63, s8
	v_cmp_lt_u16_e64 s8, v65, v64
	v_cndmask_b32_e64 v54, v54, v55, s7
	v_cmp_ge_i32_e64 s9, v60, v16
	s_wait_loadcnt 0x0
	v_cmp_lt_i32_e64 s7, v59, v17
	s_barrier_signal -1
	s_barrier_wait -1
	s_or_b32 s8, s9, s8
	global_inv scope:SCOPE_SE
	s_wait_alu 0xfffe
	s_and_b32 s7, s7, s8
	s_wait_alu 0xfffe
	v_cndmask_b32_e64 v55, v58, v61, s7
	ds_store_b8 v1, v54
	ds_store_b8 v1, v57 offset:1
	ds_store_b8 v1, v55 offset:2
	s_wait_loadcnt_dscnt 0x0
	s_barrier_signal -1
	s_barrier_wait -1
	global_inv scope:SCOPE_SE
	s_and_saveexec_b32 s8, s3
	s_cbranch_execz .LBB104_42
; %bb.39:                               ;   in Loop: Header=BB104_2 Depth=1
	v_mov_b32_e32 v56, v49
	v_mov_b32_e32 v54, v42
	s_mov_b32 s9, 0
.LBB104_40:                             ;   Parent Loop BB104_2 Depth=1
                                        ; =>  This Inner Loop Header: Depth=2
	s_delay_alu instid0(VALU_DEP_1) | instskip(NEXT) | instid1(VALU_DEP_1)
	v_sub_nc_u32_e32 v55, v54, v56
	v_lshrrev_b32_e32 v55, 1, v55
	s_delay_alu instid0(VALU_DEP_1) | instskip(NEXT) | instid1(VALU_DEP_1)
	v_add_nc_u32_e32 v55, v55, v56
	v_add_nc_u32_e32 v57, v8, v55
	v_xad_u32 v58, v55, -1, v29
	v_add_nc_u32_e32 v59, 1, v55
	ds_load_u8 v57, v57
	ds_load_u8 v58, v58 offset:24
	s_wait_dscnt 0x0
	v_cmp_lt_u16_e64 s7, v58, v57
	s_wait_alu 0xf1ff
	s_delay_alu instid0(VALU_DEP_1) | instskip(SKIP_1) | instid1(VALU_DEP_1)
	v_cndmask_b32_e64 v54, v54, v55, s7
	v_cndmask_b32_e64 v56, v59, v56, s7
	v_cmp_ge_i32_e64 s7, v56, v54
	s_wait_alu 0xfffe
	s_or_b32 s9, s7, s9
	s_wait_alu 0xfffe
	s_and_not1_b32 exec_lo, exec_lo, s9
	s_cbranch_execnz .LBB104_40
; %bb.41:                               ;   in Loop: Header=BB104_2 Depth=1
	s_or_b32 exec_lo, exec_lo, s9
.LBB104_42:                             ;   in Loop: Header=BB104_2 Depth=1
	s_wait_alu 0xfffe
	s_or_b32 exec_lo, exec_lo, s8
	v_add_nc_u32_e32 v58, v56, v8
	v_sub_nc_u32_e32 v60, v29, v56
	v_sub_nc_u32_e32 v59, v35, v56
                                        ; implicit-def: $vgpr56
	ds_load_u8 v54, v58
	ds_load_u8 v55, v60 offset:24
	v_cmp_le_i32_e64 s7, v18, v58
	v_cmp_gt_i32_e64 s9, v19, v59
	s_wait_dscnt 0x1
	v_and_b32_e32 v57, 0xff, v54
	s_wait_dscnt 0x0
	v_and_b32_e32 v61, 0xff, v55
	s_delay_alu instid0(VALU_DEP_1)
	v_cmp_lt_u16_e64 s8, v61, v57
	s_or_b32 s7, s7, s8
	s_wait_alu 0xfffe
	s_and_b32 s7, s9, s7
	s_wait_alu 0xfffe
	s_xor_b32 s8, s7, -1
	s_wait_alu 0xfffe
	s_and_saveexec_b32 s9, s8
	s_wait_alu 0xfffe
	s_xor_b32 s8, exec_lo, s9
; %bb.43:                               ;   in Loop: Header=BB104_2 Depth=1
	ds_load_u8 v56, v58 offset:1
                                        ; implicit-def: $vgpr60
; %bb.44:                               ;   in Loop: Header=BB104_2 Depth=1
	s_wait_alu 0xfffe
	s_or_saveexec_b32 s8, s8
	v_mov_b32_e32 v57, v55
	s_wait_alu 0xfffe
	s_xor_b32 exec_lo, exec_lo, s8
	s_cbranch_execz .LBB104_46
; %bb.45:                               ;   in Loop: Header=BB104_2 Depth=1
	ds_load_u8 v57, v60 offset:25
	s_wait_dscnt 0x1
	v_mov_b32_e32 v56, v54
.LBB104_46:                             ;   in Loop: Header=BB104_2 Depth=1
	s_or_b32 exec_lo, exec_lo, s8
	v_add_nc_u32_e32 v60, 1, v58
	v_add_nc_u32_e32 v61, 1, v59
	s_wait_dscnt 0x0
	v_and_b32_e32 v62, 0xff, v56
	s_delay_alu instid0(VALU_DEP_3) | instskip(SKIP_2) | instid1(VALU_DEP_3)
	v_cndmask_b32_e64 v60, v60, v58, s7
	v_and_b32_e32 v58, 0xff, v57
	v_cndmask_b32_e64 v59, v59, v61, s7
	v_cmp_ge_i32_e64 s8, v60, v18
	s_delay_alu instid0(VALU_DEP_3) | instskip(NEXT) | instid1(VALU_DEP_3)
	v_cmp_lt_u16_e64 s9, v58, v62
	v_cmp_lt_i32_e64 s10, v59, v19
                                        ; implicit-def: $vgpr58
	s_or_b32 s8, s8, s9
	s_wait_alu 0xfffe
	s_and_b32 s8, s10, s8
	s_wait_alu 0xfffe
	s_xor_b32 s9, s8, -1
	s_wait_alu 0xfffe
	s_and_saveexec_b32 s10, s9
	s_delay_alu instid0(SALU_CYCLE_1)
	s_xor_b32 s9, exec_lo, s10
; %bb.47:                               ;   in Loop: Header=BB104_2 Depth=1
	ds_load_u8 v58, v60 offset:1
; %bb.48:                               ;   in Loop: Header=BB104_2 Depth=1
	s_wait_alu 0xfffe
	s_or_saveexec_b32 s9, s9
	v_mov_b32_e32 v61, v57
	s_wait_alu 0xfffe
	s_xor_b32 exec_lo, exec_lo, s9
	s_cbranch_execz .LBB104_50
; %bb.49:                               ;   in Loop: Header=BB104_2 Depth=1
	ds_load_u8 v61, v59 offset:1
	s_wait_dscnt 0x1
	v_mov_b32_e32 v58, v56
.LBB104_50:                             ;   in Loop: Header=BB104_2 Depth=1
	s_or_b32 exec_lo, exec_lo, s9
	v_add_nc_u32_e32 v62, 1, v60
	v_add_nc_u32_e32 v63, 1, v59
	s_wait_dscnt 0x0
	v_and_b32_e32 v64, 0xff, v58
	v_and_b32_e32 v65, 0xff, v61
	v_cndmask_b32_e64 v57, v56, v57, s8
	v_cndmask_b32_e64 v60, v62, v60, s8
	v_mov_b32_e32 v56, v50
	v_cndmask_b32_e64 v59, v59, v63, s8
	v_cmp_lt_u16_e64 s8, v65, v64
	v_cndmask_b32_e64 v54, v54, v55, s7
	v_cmp_ge_i32_e64 s9, v60, v18
	s_wait_loadcnt 0x0
	v_cmp_lt_i32_e64 s7, v59, v19
	s_barrier_signal -1
	s_barrier_wait -1
	s_or_b32 s8, s9, s8
	global_inv scope:SCOPE_SE
	s_wait_alu 0xfffe
	s_and_b32 s7, s7, s8
	s_wait_alu 0xfffe
	v_cndmask_b32_e64 v55, v58, v61, s7
	ds_store_b8 v1, v54
	ds_store_b8 v1, v57 offset:1
	ds_store_b8 v1, v55 offset:2
	s_wait_loadcnt_dscnt 0x0
	s_barrier_signal -1
	s_barrier_wait -1
	global_inv scope:SCOPE_SE
	s_and_saveexec_b32 s8, s4
	s_cbranch_execz .LBB104_54
; %bb.51:                               ;   in Loop: Header=BB104_2 Depth=1
	v_mov_b32_e32 v56, v50
	v_mov_b32_e32 v54, v43
	s_mov_b32 s9, 0
.LBB104_52:                             ;   Parent Loop BB104_2 Depth=1
                                        ; =>  This Inner Loop Header: Depth=2
	s_delay_alu instid0(VALU_DEP_1) | instskip(NEXT) | instid1(VALU_DEP_1)
	v_sub_nc_u32_e32 v55, v54, v56
	v_lshrrev_b32_e32 v55, 1, v55
	s_delay_alu instid0(VALU_DEP_1) | instskip(NEXT) | instid1(VALU_DEP_1)
	v_add_nc_u32_e32 v55, v55, v56
	v_add_nc_u32_e32 v57, v9, v55
	v_xad_u32 v58, v55, -1, v30
	v_add_nc_u32_e32 v59, 1, v55
	ds_load_u8 v57, v57
	ds_load_u8 v58, v58 offset:48
	s_wait_dscnt 0x0
	v_cmp_lt_u16_e64 s7, v58, v57
	s_wait_alu 0xf1ff
	s_delay_alu instid0(VALU_DEP_1) | instskip(SKIP_1) | instid1(VALU_DEP_1)
	v_cndmask_b32_e64 v54, v54, v55, s7
	v_cndmask_b32_e64 v56, v59, v56, s7
	v_cmp_ge_i32_e64 s7, v56, v54
	s_wait_alu 0xfffe
	s_or_b32 s9, s7, s9
	s_wait_alu 0xfffe
	s_and_not1_b32 exec_lo, exec_lo, s9
	s_cbranch_execnz .LBB104_52
; %bb.53:                               ;   in Loop: Header=BB104_2 Depth=1
	s_or_b32 exec_lo, exec_lo, s9
.LBB104_54:                             ;   in Loop: Header=BB104_2 Depth=1
	s_wait_alu 0xfffe
	s_or_b32 exec_lo, exec_lo, s8
	v_add_nc_u32_e32 v58, v56, v9
	v_sub_nc_u32_e32 v60, v30, v56
	v_sub_nc_u32_e32 v59, v36, v56
                                        ; implicit-def: $vgpr56
	ds_load_u8 v54, v58
	ds_load_u8 v55, v60 offset:48
	v_cmp_le_i32_e64 s7, v20, v58
	v_cmp_gt_i32_e64 s9, v21, v59
	s_wait_dscnt 0x1
	v_and_b32_e32 v57, 0xff, v54
	s_wait_dscnt 0x0
	v_and_b32_e32 v61, 0xff, v55
	s_delay_alu instid0(VALU_DEP_1)
	v_cmp_lt_u16_e64 s8, v61, v57
	s_or_b32 s7, s7, s8
	s_wait_alu 0xfffe
	s_and_b32 s7, s9, s7
	s_wait_alu 0xfffe
	s_xor_b32 s8, s7, -1
	s_wait_alu 0xfffe
	s_and_saveexec_b32 s9, s8
	s_wait_alu 0xfffe
	s_xor_b32 s8, exec_lo, s9
; %bb.55:                               ;   in Loop: Header=BB104_2 Depth=1
	ds_load_u8 v56, v58 offset:1
                                        ; implicit-def: $vgpr60
; %bb.56:                               ;   in Loop: Header=BB104_2 Depth=1
	s_wait_alu 0xfffe
	s_or_saveexec_b32 s8, s8
	v_mov_b32_e32 v57, v55
	s_wait_alu 0xfffe
	s_xor_b32 exec_lo, exec_lo, s8
	s_cbranch_execz .LBB104_58
; %bb.57:                               ;   in Loop: Header=BB104_2 Depth=1
	ds_load_u8 v57, v60 offset:49
	s_wait_dscnt 0x1
	v_mov_b32_e32 v56, v54
.LBB104_58:                             ;   in Loop: Header=BB104_2 Depth=1
	s_or_b32 exec_lo, exec_lo, s8
	v_add_nc_u32_e32 v60, 1, v58
	v_add_nc_u32_e32 v61, 1, v59
	s_wait_dscnt 0x0
	v_and_b32_e32 v62, 0xff, v56
	s_delay_alu instid0(VALU_DEP_3) | instskip(SKIP_2) | instid1(VALU_DEP_3)
	v_cndmask_b32_e64 v60, v60, v58, s7
	v_and_b32_e32 v58, 0xff, v57
	v_cndmask_b32_e64 v59, v59, v61, s7
	v_cmp_ge_i32_e64 s8, v60, v20
	s_delay_alu instid0(VALU_DEP_3) | instskip(NEXT) | instid1(VALU_DEP_3)
	v_cmp_lt_u16_e64 s9, v58, v62
	v_cmp_lt_i32_e64 s10, v59, v21
                                        ; implicit-def: $vgpr58
	s_or_b32 s8, s8, s9
	s_wait_alu 0xfffe
	s_and_b32 s8, s10, s8
	s_wait_alu 0xfffe
	s_xor_b32 s9, s8, -1
	s_wait_alu 0xfffe
	s_and_saveexec_b32 s10, s9
	s_delay_alu instid0(SALU_CYCLE_1)
	s_xor_b32 s9, exec_lo, s10
; %bb.59:                               ;   in Loop: Header=BB104_2 Depth=1
	ds_load_u8 v58, v60 offset:1
; %bb.60:                               ;   in Loop: Header=BB104_2 Depth=1
	s_wait_alu 0xfffe
	s_or_saveexec_b32 s9, s9
	v_mov_b32_e32 v61, v57
	s_wait_alu 0xfffe
	s_xor_b32 exec_lo, exec_lo, s9
	s_cbranch_execz .LBB104_62
; %bb.61:                               ;   in Loop: Header=BB104_2 Depth=1
	ds_load_u8 v61, v59 offset:1
	s_wait_dscnt 0x1
	v_mov_b32_e32 v58, v56
.LBB104_62:                             ;   in Loop: Header=BB104_2 Depth=1
	s_or_b32 exec_lo, exec_lo, s9
	v_add_nc_u32_e32 v62, 1, v60
	v_add_nc_u32_e32 v63, 1, v59
	s_wait_dscnt 0x0
	v_and_b32_e32 v64, 0xff, v58
	v_and_b32_e32 v65, 0xff, v61
	v_cndmask_b32_e64 v57, v56, v57, s8
	v_cndmask_b32_e64 v60, v62, v60, s8
	v_mov_b32_e32 v56, v51
	v_cndmask_b32_e64 v59, v59, v63, s8
	v_cmp_lt_u16_e64 s8, v65, v64
	v_cndmask_b32_e64 v54, v54, v55, s7
	v_cmp_ge_i32_e64 s9, v60, v20
	s_wait_loadcnt 0x0
	v_cmp_lt_i32_e64 s7, v59, v21
	s_barrier_signal -1
	s_barrier_wait -1
	s_or_b32 s8, s9, s8
	global_inv scope:SCOPE_SE
	s_wait_alu 0xfffe
	s_and_b32 s7, s7, s8
	s_wait_alu 0xfffe
	v_cndmask_b32_e64 v55, v58, v61, s7
	ds_store_b8 v1, v54
	ds_store_b8 v1, v57 offset:1
	ds_store_b8 v1, v55 offset:2
	s_wait_loadcnt_dscnt 0x0
	s_barrier_signal -1
	s_barrier_wait -1
	global_inv scope:SCOPE_SE
	s_and_saveexec_b32 s8, s5
	s_cbranch_execz .LBB104_66
; %bb.63:                               ;   in Loop: Header=BB104_2 Depth=1
	v_mov_b32_e32 v56, v51
	v_mov_b32_e32 v54, v44
	s_mov_b32 s9, 0
.LBB104_64:                             ;   Parent Loop BB104_2 Depth=1
                                        ; =>  This Inner Loop Header: Depth=2
	s_delay_alu instid0(VALU_DEP_1) | instskip(NEXT) | instid1(VALU_DEP_1)
	v_sub_nc_u32_e32 v55, v54, v56
	v_lshrrev_b32_e32 v55, 1, v55
	s_delay_alu instid0(VALU_DEP_1) | instskip(NEXT) | instid1(VALU_DEP_1)
	v_add_nc_u32_e32 v55, v55, v56
	v_add_nc_u32_e32 v57, v10, v55
	v_xad_u32 v58, v55, -1, v31
	v_add_nc_u32_e32 v59, 1, v55
	ds_load_u8 v57, v57
	ds_load_u8 v58, v58 offset:96
	s_wait_dscnt 0x0
	v_cmp_lt_u16_e64 s7, v58, v57
	s_wait_alu 0xf1ff
	s_delay_alu instid0(VALU_DEP_1) | instskip(SKIP_1) | instid1(VALU_DEP_1)
	v_cndmask_b32_e64 v54, v54, v55, s7
	v_cndmask_b32_e64 v56, v59, v56, s7
	v_cmp_ge_i32_e64 s7, v56, v54
	s_wait_alu 0xfffe
	s_or_b32 s9, s7, s9
	s_wait_alu 0xfffe
	s_and_not1_b32 exec_lo, exec_lo, s9
	s_cbranch_execnz .LBB104_64
; %bb.65:                               ;   in Loop: Header=BB104_2 Depth=1
	s_or_b32 exec_lo, exec_lo, s9
.LBB104_66:                             ;   in Loop: Header=BB104_2 Depth=1
	s_wait_alu 0xfffe
	s_or_b32 exec_lo, exec_lo, s8
	v_add_nc_u32_e32 v58, v56, v10
	v_sub_nc_u32_e32 v60, v31, v56
	v_sub_nc_u32_e32 v59, v37, v56
                                        ; implicit-def: $vgpr56
	ds_load_u8 v54, v58
	ds_load_u8 v55, v60 offset:96
	v_cmp_le_i32_e64 s7, v22, v58
	v_cmp_gt_i32_e64 s9, v23, v59
	s_wait_dscnt 0x1
	v_and_b32_e32 v57, 0xff, v54
	s_wait_dscnt 0x0
	v_and_b32_e32 v61, 0xff, v55
	s_delay_alu instid0(VALU_DEP_1)
	v_cmp_lt_u16_e64 s8, v61, v57
	s_or_b32 s7, s7, s8
	s_wait_alu 0xfffe
	s_and_b32 s7, s9, s7
	s_wait_alu 0xfffe
	s_xor_b32 s8, s7, -1
	s_wait_alu 0xfffe
	s_and_saveexec_b32 s9, s8
	s_wait_alu 0xfffe
	s_xor_b32 s8, exec_lo, s9
; %bb.67:                               ;   in Loop: Header=BB104_2 Depth=1
	ds_load_u8 v56, v58 offset:1
                                        ; implicit-def: $vgpr60
; %bb.68:                               ;   in Loop: Header=BB104_2 Depth=1
	s_wait_alu 0xfffe
	s_or_saveexec_b32 s8, s8
	v_mov_b32_e32 v57, v55
	s_wait_alu 0xfffe
	s_xor_b32 exec_lo, exec_lo, s8
	s_cbranch_execz .LBB104_70
; %bb.69:                               ;   in Loop: Header=BB104_2 Depth=1
	ds_load_u8 v57, v60 offset:97
	s_wait_dscnt 0x1
	v_mov_b32_e32 v56, v54
.LBB104_70:                             ;   in Loop: Header=BB104_2 Depth=1
	s_or_b32 exec_lo, exec_lo, s8
	v_add_nc_u32_e32 v60, 1, v58
	v_add_nc_u32_e32 v61, 1, v59
	s_wait_dscnt 0x0
	v_and_b32_e32 v62, 0xff, v56
	s_delay_alu instid0(VALU_DEP_3) | instskip(SKIP_2) | instid1(VALU_DEP_3)
	v_cndmask_b32_e64 v60, v60, v58, s7
	v_and_b32_e32 v58, 0xff, v57
	v_cndmask_b32_e64 v59, v59, v61, s7
	v_cmp_ge_i32_e64 s8, v60, v22
	s_delay_alu instid0(VALU_DEP_3) | instskip(NEXT) | instid1(VALU_DEP_3)
	v_cmp_lt_u16_e64 s9, v58, v62
	v_cmp_lt_i32_e64 s10, v59, v23
                                        ; implicit-def: $vgpr58
	s_or_b32 s8, s8, s9
	s_wait_alu 0xfffe
	s_and_b32 s8, s10, s8
	s_wait_alu 0xfffe
	s_xor_b32 s9, s8, -1
	s_wait_alu 0xfffe
	s_and_saveexec_b32 s10, s9
	s_delay_alu instid0(SALU_CYCLE_1)
	s_xor_b32 s9, exec_lo, s10
; %bb.71:                               ;   in Loop: Header=BB104_2 Depth=1
	ds_load_u8 v58, v60 offset:1
; %bb.72:                               ;   in Loop: Header=BB104_2 Depth=1
	s_wait_alu 0xfffe
	s_or_saveexec_b32 s9, s9
	v_mov_b32_e32 v61, v57
	s_wait_alu 0xfffe
	s_xor_b32 exec_lo, exec_lo, s9
	s_cbranch_execz .LBB104_74
; %bb.73:                               ;   in Loop: Header=BB104_2 Depth=1
	ds_load_u8 v61, v59 offset:1
	s_wait_dscnt 0x1
	v_mov_b32_e32 v58, v56
.LBB104_74:                             ;   in Loop: Header=BB104_2 Depth=1
	s_or_b32 exec_lo, exec_lo, s9
	v_add_nc_u32_e32 v62, 1, v60
	v_add_nc_u32_e32 v63, 1, v59
	s_wait_dscnt 0x0
	v_and_b32_e32 v64, 0xff, v58
	v_and_b32_e32 v65, 0xff, v61
	v_cndmask_b32_e64 v57, v56, v57, s8
	v_cndmask_b32_e64 v60, v62, v60, s8
	v_mov_b32_e32 v56, v52
	v_cndmask_b32_e64 v59, v59, v63, s8
	v_cmp_lt_u16_e64 s8, v65, v64
	v_cndmask_b32_e64 v54, v54, v55, s7
	v_cmp_ge_i32_e64 s9, v60, v22
	s_wait_loadcnt 0x0
	v_cmp_lt_i32_e64 s7, v59, v23
	s_barrier_signal -1
	s_barrier_wait -1
	s_or_b32 s8, s9, s8
	global_inv scope:SCOPE_SE
	s_wait_alu 0xfffe
	s_and_b32 s7, s7, s8
	s_wait_alu 0xfffe
	v_cndmask_b32_e64 v55, v58, v61, s7
	ds_store_b8 v1, v54
	ds_store_b8 v1, v57 offset:1
	ds_store_b8 v1, v55 offset:2
	s_wait_loadcnt_dscnt 0x0
	s_barrier_signal -1
	s_barrier_wait -1
	global_inv scope:SCOPE_SE
	s_and_saveexec_b32 s8, s6
	s_cbranch_execz .LBB104_78
; %bb.75:                               ;   in Loop: Header=BB104_2 Depth=1
	v_mov_b32_e32 v56, v52
	v_mov_b32_e32 v54, v45
	s_mov_b32 s9, 0
.LBB104_76:                             ;   Parent Loop BB104_2 Depth=1
                                        ; =>  This Inner Loop Header: Depth=2
	s_delay_alu instid0(VALU_DEP_1) | instskip(NEXT) | instid1(VALU_DEP_1)
	v_sub_nc_u32_e32 v55, v54, v56
	v_lshrrev_b32_e32 v55, 1, v55
	s_delay_alu instid0(VALU_DEP_1) | instskip(NEXT) | instid1(VALU_DEP_1)
	v_add_nc_u32_e32 v55, v55, v56
	v_add_nc_u32_e32 v57, v11, v55
	v_xad_u32 v58, v55, -1, v53
	v_add_nc_u32_e32 v59, 1, v55
	ds_load_u8 v57, v57
	ds_load_u8 v58, v58 offset:192
	s_wait_dscnt 0x0
	v_cmp_lt_u16_e64 s7, v58, v57
	s_wait_alu 0xf1ff
	s_delay_alu instid0(VALU_DEP_1) | instskip(SKIP_1) | instid1(VALU_DEP_1)
	v_cndmask_b32_e64 v54, v54, v55, s7
	v_cndmask_b32_e64 v56, v59, v56, s7
	v_cmp_ge_i32_e64 s7, v56, v54
	s_wait_alu 0xfffe
	s_or_b32 s9, s7, s9
	s_wait_alu 0xfffe
	s_and_not1_b32 exec_lo, exec_lo, s9
	s_cbranch_execnz .LBB104_76
; %bb.77:                               ;   in Loop: Header=BB104_2 Depth=1
	s_or_b32 exec_lo, exec_lo, s9
.LBB104_78:                             ;   in Loop: Header=BB104_2 Depth=1
	s_wait_alu 0xfffe
	s_or_b32 exec_lo, exec_lo, s8
	v_add_nc_u32_e32 v58, v56, v11
	v_sub_nc_u32_e32 v60, v53, v56
	v_sub_nc_u32_e32 v59, v38, v56
                                        ; implicit-def: $vgpr56
	ds_load_u8 v54, v58
	ds_load_u8 v55, v60 offset:192
	v_cmp_le_i32_e64 s7, v24, v58
	v_cmp_gt_i32_e64 s9, v25, v59
	s_wait_dscnt 0x1
	v_and_b32_e32 v57, 0xff, v54
	s_wait_dscnt 0x0
	v_and_b32_e32 v61, 0xff, v55
	s_delay_alu instid0(VALU_DEP_1)
	v_cmp_lt_u16_e64 s8, v61, v57
	s_or_b32 s7, s7, s8
	s_wait_alu 0xfffe
	s_and_b32 s7, s9, s7
	s_wait_alu 0xfffe
	s_xor_b32 s8, s7, -1
	s_wait_alu 0xfffe
	s_and_saveexec_b32 s9, s8
	s_wait_alu 0xfffe
	s_xor_b32 s8, exec_lo, s9
; %bb.79:                               ;   in Loop: Header=BB104_2 Depth=1
	ds_load_u8 v56, v58 offset:1
                                        ; implicit-def: $vgpr60
; %bb.80:                               ;   in Loop: Header=BB104_2 Depth=1
	s_wait_alu 0xfffe
	s_or_saveexec_b32 s8, s8
	v_mov_b32_e32 v57, v55
	s_wait_alu 0xfffe
	s_xor_b32 exec_lo, exec_lo, s8
	s_cbranch_execz .LBB104_82
; %bb.81:                               ;   in Loop: Header=BB104_2 Depth=1
	ds_load_u8 v57, v60 offset:193
	s_wait_dscnt 0x1
	v_mov_b32_e32 v56, v54
.LBB104_82:                             ;   in Loop: Header=BB104_2 Depth=1
	s_or_b32 exec_lo, exec_lo, s8
	v_add_nc_u32_e32 v60, 1, v58
	v_add_nc_u32_e32 v61, 1, v59
	s_wait_dscnt 0x0
	v_and_b32_e32 v62, 0xff, v56
	s_delay_alu instid0(VALU_DEP_3) | instskip(SKIP_2) | instid1(VALU_DEP_3)
	v_cndmask_b32_e64 v60, v60, v58, s7
	v_and_b32_e32 v58, 0xff, v57
	v_cndmask_b32_e64 v59, v59, v61, s7
	v_cmp_ge_i32_e64 s8, v60, v24
	s_delay_alu instid0(VALU_DEP_3) | instskip(NEXT) | instid1(VALU_DEP_3)
	v_cmp_lt_u16_e64 s9, v58, v62
	v_cmp_lt_i32_e64 s10, v59, v25
                                        ; implicit-def: $vgpr58
	s_or_b32 s8, s8, s9
	s_wait_alu 0xfffe
	s_and_b32 s8, s10, s8
	s_wait_alu 0xfffe
	s_xor_b32 s9, s8, -1
	s_wait_alu 0xfffe
	s_and_saveexec_b32 s10, s9
	s_delay_alu instid0(SALU_CYCLE_1)
	s_xor_b32 s9, exec_lo, s10
; %bb.83:                               ;   in Loop: Header=BB104_2 Depth=1
	ds_load_u8 v58, v60 offset:1
; %bb.84:                               ;   in Loop: Header=BB104_2 Depth=1
	s_wait_alu 0xfffe
	s_or_saveexec_b32 s9, s9
	v_mov_b32_e32 v61, v57
	s_wait_alu 0xfffe
	s_xor_b32 exec_lo, exec_lo, s9
	s_cbranch_execz .LBB104_86
; %bb.85:                               ;   in Loop: Header=BB104_2 Depth=1
	ds_load_u8 v61, v59 offset:1
	s_wait_dscnt 0x1
	v_mov_b32_e32 v58, v56
.LBB104_86:                             ;   in Loop: Header=BB104_2 Depth=1
	s_or_b32 exec_lo, exec_lo, s9
	v_add_nc_u32_e32 v62, 1, v60
	v_add_nc_u32_e32 v63, 1, v59
	s_wait_dscnt 0x0
	v_and_b32_e32 v64, 0xff, v58
	v_and_b32_e32 v65, 0xff, v61
	v_cndmask_b32_e64 v57, v56, v57, s8
	v_cndmask_b32_e64 v60, v62, v60, s8
	v_mov_b32_e32 v56, v3
	v_cndmask_b32_e64 v59, v59, v63, s8
	v_cmp_lt_u16_e64 s8, v65, v64
	v_cndmask_b32_e64 v54, v54, v55, s7
	v_cmp_ge_i32_e64 s9, v60, v24
	s_wait_loadcnt 0x0
	v_cmp_lt_i32_e64 s7, v59, v25
	s_barrier_signal -1
	s_barrier_wait -1
	s_or_b32 s8, s9, s8
	global_inv scope:SCOPE_SE
	s_wait_alu 0xfffe
	s_and_b32 s7, s7, s8
	s_wait_alu 0xfffe
	v_cndmask_b32_e64 v55, v58, v61, s7
	ds_store_b8 v1, v54
	ds_store_b8 v1, v57 offset:1
	ds_store_b8 v1, v55 offset:2
	s_wait_loadcnt_dscnt 0x0
	s_barrier_signal -1
	s_barrier_wait -1
	global_inv scope:SCOPE_SE
	s_and_saveexec_b32 s8, vcc_lo
	s_cbranch_execz .LBB104_90
; %bb.87:                               ;   in Loop: Header=BB104_2 Depth=1
	v_mov_b32_e32 v56, v3
	v_mov_b32_e32 v54, v4
	s_mov_b32 s9, 0
.LBB104_88:                             ;   Parent Loop BB104_2 Depth=1
                                        ; =>  This Inner Loop Header: Depth=2
	s_delay_alu instid0(VALU_DEP_1) | instskip(NEXT) | instid1(VALU_DEP_1)
	v_sub_nc_u32_e32 v55, v54, v56
	v_lshrrev_b32_e32 v55, 1, v55
	s_delay_alu instid0(VALU_DEP_1) | instskip(NEXT) | instid1(VALU_DEP_1)
	v_add_nc_u32_e32 v55, v55, v56
	v_xad_u32 v57, v55, -1, v1
	v_add_nc_u32_e32 v59, 1, v55
	ds_load_u8 v58, v55
	ds_load_u8 v57, v57 offset:384
	s_wait_dscnt 0x0
	v_cmp_lt_u16_e64 s7, v57, v58
	s_wait_alu 0xf1ff
	s_delay_alu instid0(VALU_DEP_1) | instskip(SKIP_1) | instid1(VALU_DEP_1)
	v_cndmask_b32_e64 v54, v54, v55, s7
	v_cndmask_b32_e64 v56, v59, v56, s7
	v_cmp_ge_i32_e64 s7, v56, v54
	s_wait_alu 0xfffe
	s_or_b32 s9, s7, s9
	s_wait_alu 0xfffe
	s_and_not1_b32 exec_lo, exec_lo, s9
	s_cbranch_execnz .LBB104_88
; %bb.89:                               ;   in Loop: Header=BB104_2 Depth=1
	s_or_b32 exec_lo, exec_lo, s9
.LBB104_90:                             ;   in Loop: Header=BB104_2 Depth=1
	s_wait_alu 0xfffe
	s_or_b32 exec_lo, exec_lo, s8
	v_sub_nc_u32_e32 v60, v1, v56
	v_sub_nc_u32_e32 v59, v2, v56
	v_cmp_le_i32_e64 s7, 0x180, v56
	ds_load_u8 v54, v56
	ds_load_u8 v55, v60 offset:384
	v_cmp_gt_i32_e64 s9, 0x300, v59
	s_wait_dscnt 0x1
	v_and_b32_e32 v57, 0xff, v54
	s_wait_dscnt 0x0
	v_and_b32_e32 v58, 0xff, v55
	s_delay_alu instid0(VALU_DEP_1)
	v_cmp_lt_u16_e64 s8, v58, v57
                                        ; implicit-def: $vgpr57
	s_or_b32 s7, s7, s8
	s_wait_alu 0xfffe
	s_and_b32 s7, s9, s7
	s_wait_alu 0xfffe
	s_xor_b32 s8, s7, -1
	s_wait_alu 0xfffe
	s_and_saveexec_b32 s9, s8
	s_wait_alu 0xfffe
	s_xor_b32 s8, exec_lo, s9
; %bb.91:                               ;   in Loop: Header=BB104_2 Depth=1
	ds_load_u8 v57, v56 offset:1
                                        ; implicit-def: $vgpr60
; %bb.92:                               ;   in Loop: Header=BB104_2 Depth=1
	s_wait_alu 0xfffe
	s_or_saveexec_b32 s8, s8
	v_mov_b32_e32 v58, v55
	s_wait_alu 0xfffe
	s_xor_b32 exec_lo, exec_lo, s8
	s_cbranch_execz .LBB104_94
; %bb.93:                               ;   in Loop: Header=BB104_2 Depth=1
	ds_load_u8 v58, v60 offset:385
	s_wait_dscnt 0x1
	v_mov_b32_e32 v57, v54
.LBB104_94:                             ;   in Loop: Header=BB104_2 Depth=1
	s_or_b32 exec_lo, exec_lo, s8
	v_add_nc_u32_e32 v60, 1, v56
	v_add_nc_u32_e32 v62, 1, v59
	s_wait_dscnt 0x0
	v_and_b32_e32 v63, 0xff, v57
	s_delay_alu instid0(VALU_DEP_3) | instskip(SKIP_2) | instid1(VALU_DEP_3)
	v_cndmask_b32_e64 v61, v60, v56, s7
	v_and_b32_e32 v60, 0xff, v58
	v_cndmask_b32_e64 v56, v59, v62, s7
                                        ; implicit-def: $vgpr59
	v_cmp_le_i32_e64 s8, 0x180, v61
	s_delay_alu instid0(VALU_DEP_3) | instskip(NEXT) | instid1(VALU_DEP_3)
	v_cmp_lt_u16_e64 s9, v60, v63
	v_cmp_gt_i32_e64 s10, 0x300, v56
                                        ; implicit-def: $vgpr60
	s_or_b32 s8, s8, s9
	s_wait_alu 0xfffe
	s_and_b32 s8, s10, s8
	s_wait_alu 0xfffe
	s_xor_b32 s9, s8, -1
	s_wait_alu 0xfffe
	s_and_saveexec_b32 s10, s9
	s_delay_alu instid0(SALU_CYCLE_1)
	s_xor_b32 s9, exec_lo, s10
; %bb.95:                               ;   in Loop: Header=BB104_2 Depth=1
	ds_load_u8 v59, v61 offset:1
	v_add_nc_u32_e32 v60, 1, v61
                                        ; implicit-def: $vgpr61
; %bb.96:                               ;   in Loop: Header=BB104_2 Depth=1
	s_wait_alu 0xfffe
	s_or_saveexec_b32 s9, s9
	v_mov_b32_e32 v62, v58
	s_wait_alu 0xfffe
	s_xor_b32 exec_lo, exec_lo, s9
	s_cbranch_execz .LBB104_1
; %bb.97:                               ;   in Loop: Header=BB104_2 Depth=1
	ds_load_u8 v62, v56 offset:1
	s_wait_dscnt 0x1
	v_dual_mov_b32 v59, v57 :: v_dual_add_nc_u32 v56, 1, v56
	v_mov_b32_e32 v60, v61
	s_branch .LBB104_1
.LBB104_98:
	s_add_nc_u64 s[0:1], s[14:15], s[16:17]
	s_wait_alu 0xfffe
	v_add_co_u32 v0, s0, s0, v0
	s_wait_alu 0xf1ff
	v_add_co_ci_u32_e64 v1, null, s1, 0, s0
	s_clause 0x2
	global_store_b8 v[0:1], v54, off
	global_store_b8 v[0:1], v57, off offset:256
	global_store_b8 v[0:1], v55, off offset:512
	s_endpgm
	.section	.rodata,"a",@progbits
	.p2align	6, 0x0
	.amdhsa_kernel _Z16sort_keys_kernelIhLj256ELj3EN10test_utils4lessELj10EEvPKT_PS2_T2_
		.amdhsa_group_segment_fixed_size 769
		.amdhsa_private_segment_fixed_size 0
		.amdhsa_kernarg_size 20
		.amdhsa_user_sgpr_count 2
		.amdhsa_user_sgpr_dispatch_ptr 0
		.amdhsa_user_sgpr_queue_ptr 0
		.amdhsa_user_sgpr_kernarg_segment_ptr 1
		.amdhsa_user_sgpr_dispatch_id 0
		.amdhsa_user_sgpr_private_segment_size 0
		.amdhsa_wavefront_size32 1
		.amdhsa_uses_dynamic_stack 0
		.amdhsa_enable_private_segment 0
		.amdhsa_system_sgpr_workgroup_id_x 1
		.amdhsa_system_sgpr_workgroup_id_y 0
		.amdhsa_system_sgpr_workgroup_id_z 0
		.amdhsa_system_sgpr_workgroup_info 0
		.amdhsa_system_vgpr_workitem_id 0
		.amdhsa_next_free_vgpr 72
		.amdhsa_next_free_sgpr 18
		.amdhsa_reserve_vcc 1
		.amdhsa_float_round_mode_32 0
		.amdhsa_float_round_mode_16_64 0
		.amdhsa_float_denorm_mode_32 3
		.amdhsa_float_denorm_mode_16_64 3
		.amdhsa_fp16_overflow 0
		.amdhsa_workgroup_processor_mode 1
		.amdhsa_memory_ordered 1
		.amdhsa_forward_progress 1
		.amdhsa_inst_pref_size 52
		.amdhsa_round_robin_scheduling 0
		.amdhsa_exception_fp_ieee_invalid_op 0
		.amdhsa_exception_fp_denorm_src 0
		.amdhsa_exception_fp_ieee_div_zero 0
		.amdhsa_exception_fp_ieee_overflow 0
		.amdhsa_exception_fp_ieee_underflow 0
		.amdhsa_exception_fp_ieee_inexact 0
		.amdhsa_exception_int_div_zero 0
	.end_amdhsa_kernel
	.section	.text._Z16sort_keys_kernelIhLj256ELj3EN10test_utils4lessELj10EEvPKT_PS2_T2_,"axG",@progbits,_Z16sort_keys_kernelIhLj256ELj3EN10test_utils4lessELj10EEvPKT_PS2_T2_,comdat
.Lfunc_end104:
	.size	_Z16sort_keys_kernelIhLj256ELj3EN10test_utils4lessELj10EEvPKT_PS2_T2_, .Lfunc_end104-_Z16sort_keys_kernelIhLj256ELj3EN10test_utils4lessELj10EEvPKT_PS2_T2_
                                        ; -- End function
	.set _Z16sort_keys_kernelIhLj256ELj3EN10test_utils4lessELj10EEvPKT_PS2_T2_.num_vgpr, 72
	.set _Z16sort_keys_kernelIhLj256ELj3EN10test_utils4lessELj10EEvPKT_PS2_T2_.num_agpr, 0
	.set _Z16sort_keys_kernelIhLj256ELj3EN10test_utils4lessELj10EEvPKT_PS2_T2_.numbered_sgpr, 18
	.set _Z16sort_keys_kernelIhLj256ELj3EN10test_utils4lessELj10EEvPKT_PS2_T2_.num_named_barrier, 0
	.set _Z16sort_keys_kernelIhLj256ELj3EN10test_utils4lessELj10EEvPKT_PS2_T2_.private_seg_size, 0
	.set _Z16sort_keys_kernelIhLj256ELj3EN10test_utils4lessELj10EEvPKT_PS2_T2_.uses_vcc, 1
	.set _Z16sort_keys_kernelIhLj256ELj3EN10test_utils4lessELj10EEvPKT_PS2_T2_.uses_flat_scratch, 0
	.set _Z16sort_keys_kernelIhLj256ELj3EN10test_utils4lessELj10EEvPKT_PS2_T2_.has_dyn_sized_stack, 0
	.set _Z16sort_keys_kernelIhLj256ELj3EN10test_utils4lessELj10EEvPKT_PS2_T2_.has_recursion, 0
	.set _Z16sort_keys_kernelIhLj256ELj3EN10test_utils4lessELj10EEvPKT_PS2_T2_.has_indirect_call, 0
	.section	.AMDGPU.csdata,"",@progbits
; Kernel info:
; codeLenInByte = 6648
; TotalNumSgprs: 20
; NumVgprs: 72
; ScratchSize: 0
; MemoryBound: 0
; FloatMode: 240
; IeeeMode: 1
; LDSByteSize: 769 bytes/workgroup (compile time only)
; SGPRBlocks: 0
; VGPRBlocks: 8
; NumSGPRsForWavesPerEU: 20
; NumVGPRsForWavesPerEU: 72
; Occupancy: 16
; WaveLimiterHint : 1
; COMPUTE_PGM_RSRC2:SCRATCH_EN: 0
; COMPUTE_PGM_RSRC2:USER_SGPR: 2
; COMPUTE_PGM_RSRC2:TRAP_HANDLER: 0
; COMPUTE_PGM_RSRC2:TGID_X_EN: 1
; COMPUTE_PGM_RSRC2:TGID_Y_EN: 0
; COMPUTE_PGM_RSRC2:TGID_Z_EN: 0
; COMPUTE_PGM_RSRC2:TIDIG_COMP_CNT: 0
	.section	.text._Z17sort_pairs_kernelIhLj256ELj3EN10test_utils4lessELj10EEvPKT_PS2_T2_,"axG",@progbits,_Z17sort_pairs_kernelIhLj256ELj3EN10test_utils4lessELj10EEvPKT_PS2_T2_,comdat
	.protected	_Z17sort_pairs_kernelIhLj256ELj3EN10test_utils4lessELj10EEvPKT_PS2_T2_ ; -- Begin function _Z17sort_pairs_kernelIhLj256ELj3EN10test_utils4lessELj10EEvPKT_PS2_T2_
	.globl	_Z17sort_pairs_kernelIhLj256ELj3EN10test_utils4lessELj10EEvPKT_PS2_T2_
	.p2align	8
	.type	_Z17sort_pairs_kernelIhLj256ELj3EN10test_utils4lessELj10EEvPKT_PS2_T2_,@function
_Z17sort_pairs_kernelIhLj256ELj3EN10test_utils4lessELj10EEvPKT_PS2_T2_: ; @_Z17sort_pairs_kernelIhLj256ELj3EN10test_utils4lessELj10EEvPKT_PS2_T2_
; %bb.0:
	s_load_b128 s[12:15], s[0:1], 0x0
	s_mul_i32 s16, ttmp9, 0x300
	s_mov_b32 s17, 0
	v_and_b32_e32 v3, 0xfe, v0
	v_and_b32_e32 v5, 0xfc, v0
	;; [unrolled: 1-line block ×5, first 2 shown]
	v_mul_u32_u24_e32 v11, 3, v3
	v_and_b32_e32 v8, 0xe0, v0
	v_mul_u32_u24_e32 v12, 3, v5
	v_mul_u32_u24_e32 v13, 3, v6
	v_and_b32_e32 v9, 0xc0, v0
	v_min_u32_e32 v26, 0x2fd, v11
	v_min_u32_e32 v18, 0x2fa, v11
	v_and_b32_e32 v10, 0x80, v0
	v_cmp_eq_u32_e32 vcc_lo, 1, v4
	v_mul_u32_u24_e32 v14, 3, v7
	v_mul_u32_u24_e32 v15, 3, v8
	v_min_u32_e32 v6, 0x300, v12
	s_wait_kmcnt 0x0
	s_add_nc_u64 s[0:1], s[12:13], s[16:17]
	v_min_u32_e32 v27, 0x2fa, v12
	s_clause 0x2
	global_load_u8 v53, v0, s[0:1]
	global_load_u8 v54, v0, s[0:1] offset:256
	global_load_u8 v57, v0, s[0:1] offset:512
	v_min_u32_e32 v19, 0x2f4, v12
	v_min_u32_e32 v7, 0x300, v13
	;; [unrolled: 1-line block ×4, first 2 shown]
	v_add_nc_u32_e32 v12, 3, v26
	v_add_nc_u32_e32 v13, 6, v18
	v_and_b32_e32 v33, 3, v0
	v_cndmask_b32_e64 v46, 0, 3, vcc_lo
	v_mul_u32_u24_e32 v16, 3, v9
	v_mul_u32_u24_e32 v17, 3, v10
	v_min_u32_e32 v5, 0x300, v11
	v_min_u32_e32 v8, 0x300, v14
	;; [unrolled: 1-line block ×7, first 2 shown]
	v_add_nc_u32_e32 v14, 6, v27
	v_add_nc_u32_e32 v15, 12, v19
	v_sub_nc_u32_e32 v55, v13, v12
	v_and_b32_e32 v34, 7, v0
	v_mul_u32_u24_e32 v47, 3, v33
	v_min_u32_e32 v10, 0x300, v16
	v_min_u32_e32 v31, 0x2a0, v16
	;; [unrolled: 1-line block ×6, first 2 shown]
	v_add_nc_u32_e32 v16, 12, v28
	v_add_nc_u32_e32 v17, 24, v20
	v_sub_nc_u32_e32 v39, v12, v5
	v_sub_nc_u32_e32 v56, v15, v14
	;; [unrolled: 1-line block ×3, first 2 shown]
	v_cmp_ge_i32_e64 s0, v46, v55
	v_and_b32_e32 v35, 15, v0
	v_mul_u32_u24_e32 v48, 3, v34
	v_add_nc_u32_e32 v18, 24, v29
	v_add_nc_u32_e32 v19, 48, v21
	v_add_nc_u32_e32 v26, v26, v46
	v_add_nc_u32_e32 v32, v12, v46
	v_sub_nc_u32_e32 v40, v14, v6
	v_sub_nc_u32_e32 v58, v17, v16
	v_min_i32_e32 v39, v46, v39
	v_sub_nc_u32_e32 v66, v47, v56
	v_cndmask_b32_e64 v46, 0, v65, s0
	v_cmp_ge_i32_e64 s0, v47, v56
	v_and_b32_e32 v36, 31, v0
	v_mul_u32_u24_e32 v49, 3, v35
	v_add_nc_u32_e32 v20, 48, v30
	v_add_nc_u32_e32 v21, 0x60, v22
	v_sub_nc_u32_e32 v41, v16, v7
	v_sub_nc_u32_e32 v61, v19, v18
	v_min_i32_e32 v40, v47, v40
	v_sub_nc_u32_e32 v67, v48, v58
	s_wait_alu 0xf1ff
	v_cndmask_b32_e64 v47, 0, v66, s0
	v_cmp_ge_i32_e64 s0, v48, v58
	v_and_b32_e32 v37, 63, v0
	v_mul_u32_u24_e32 v50, 3, v36
	v_add_nc_u32_e32 v22, 0x60, v31
	v_add_nc_u32_e32 v23, 0xc0, v23
	v_sub_nc_u32_e32 v42, v18, v8
	v_sub_nc_u32_e32 v62, v21, v20
	v_min_i32_e32 v41, v48, v41
	v_sub_nc_u32_e32 v68, v49, v61
	s_wait_alu 0xf1ff
	;; [unrolled: 11-line block ×3, first 2 shown]
	v_cndmask_b32_e64 v49, 0, v68, s0
	v_cmp_ge_i32_e64 s0, v50, v62
	v_mul_u32_u24_e32 v52, 3, v59
	v_sub_nc_u32_e32 v44, v22, v10
	v_sub_nc_u32_e32 v64, v25, v24
	v_min_i32_e32 v43, v50, v43
	v_sub_nc_u32_e32 v70, v51, v63
	s_wait_alu 0xf1ff
	v_cndmask_b32_e64 v50, 0, v69, s0
	v_cmp_ge_i32_e64 s0, v51, v63
	v_sub_nc_u32_e32 v45, v24, v11
	v_min_i32_e32 v44, v51, v44
	v_sub_nc_u32_e32 v71, v52, v64
	v_mul_u32_u24_e32 v1, 3, v0
	s_wait_alu 0xf1ff
	v_cndmask_b32_e64 v51, 0, v70, s0
	v_cmp_ge_i32_e64 s0, v52, v64
	v_min_i32_e32 v45, v52, v45
	v_mad_u32_u24 v2, v0, 3, 0x180
	v_subrev_nc_u32_e64 v3, 0x180, v1 clamp
	v_min_i32_e32 v4, 0x180, v1
	s_wait_alu 0xf1ff
	v_cndmask_b32_e64 v52, 0, v71, s0
	v_mad_u32_u24 v27, v33, 3, v27
	v_mad_u32_u24 v28, v34, 3, v28
	;; [unrolled: 1-line block ×11, first 2 shown]
	v_cmp_lt_i32_e64 s0, v46, v39
	v_cmp_lt_i32_e64 s1, v47, v40
	;; [unrolled: 1-line block ×7, first 2 shown]
	s_mov_b32 s18, s17
	v_cmp_lt_i32_e32 vcc_lo, v3, v4
	s_wait_loadcnt 0x2
	v_add_nc_u16 v56, v53, 1
	s_wait_loadcnt 0x1
	v_perm_b32 v58, v53, v54, 0xc0c0004
	s_wait_loadcnt 0x0
	v_lshlrev_b32_e32 v61, 16, v57
	v_add_nc_u16 v55, v54, 1
	v_add_nc_u16 v54, v57, 1
	v_mad_u32_u24 v53, v59, 3, v60
	s_delay_alu instid0(VALU_DEP_4)
	v_or_b32_e32 v58, v58, v61
	s_branch .LBB105_2
.LBB105_1:                              ;   in Loop: Header=BB105_2 Depth=1
	s_or_b32 exec_lo, exec_lo, s9
	s_wait_dscnt 0x0
	s_delay_alu instid0(VALU_DEP_1)
	v_and_b32_e32 v68, 0xff, v66
	v_and_b32_e32 v69, 0xff, v67
	v_cndmask_b32_e64 v60, v59, v60, s7
	v_cndmask_b32_e64 v59, v61, v62, s8
	v_cmp_le_i32_e64 s8, 0x180, v64
	v_cndmask_b32_e64 v58, v57, v58, s7
	v_cmp_lt_u16_e64 s9, v69, v68
	v_cmp_gt_i32_e64 s7, 0x300, v63
	s_wait_loadcnt 0x0
	s_barrier_signal -1
	s_barrier_wait -1
	s_or_b32 s8, s8, s9
	global_inv scope:SCOPE_SE
	s_wait_alu 0xfffe
	s_and_b32 s7, s7, s8
	ds_store_b8 v1, v54
	ds_store_b8 v1, v56 offset:1
	ds_store_b8 v1, v55 offset:2
	s_wait_alu 0xfffe
	v_cndmask_b32_e64 v63, v64, v63, s7
	s_wait_loadcnt_dscnt 0x0
	s_barrier_signal -1
	s_barrier_wait -1
	global_inv scope:SCOPE_SE
	ds_load_u8 v56, v58
	ds_load_u8 v55, v65
	;; [unrolled: 1-line block ×3, first 2 shown]
	v_lshlrev_b16 v61, 8, v59
	v_and_b32_e32 v62, 0xff, v60
	v_cndmask_b32_e64 v57, v66, v67, s7
	s_add_co_i32 s18, s18, 1
	s_delay_alu instid0(SALU_CYCLE_1) | instskip(NEXT) | instid1(VALU_DEP_2)
	s_cmp_eq_u32 s18, 10
	v_or_b32_e32 v58, v62, v61
	s_delay_alu instid0(VALU_DEP_2) | instskip(NEXT) | instid1(VALU_DEP_2)
	v_and_b32_e32 v61, 0xff, v57
	v_and_b32_e32 v58, 0xffff, v58
	s_delay_alu instid0(VALU_DEP_2) | instskip(NEXT) | instid1(VALU_DEP_1)
	v_lshlrev_b32_e32 v61, 16, v61
	v_or_b32_e32 v58, v58, v61
	s_cbranch_scc1 .LBB105_98
.LBB105_2:                              ; =>This Loop Header: Depth=1
                                        ;     Child Loop BB105_4 Depth 2
                                        ;     Child Loop BB105_16 Depth 2
	;; [unrolled: 1-line block ×8, first 2 shown]
	s_delay_alu instid0(VALU_DEP_1) | instskip(SKIP_3) | instid1(VALU_DEP_3)
	v_lshrrev_b32_e32 v57, 8, v58
	v_and_b32_e32 v59, 0xff, v58
	v_perm_b32 v60, v58, v58, 0x7060405
	s_barrier_signal -1
	v_and_b32_e32 v57, 0xff, v57
	s_barrier_wait -1
	global_inv scope:SCOPE_SE
	v_cmp_lt_u16_e64 s8, v57, v59
	v_max_u16 v57, v57, v59
	s_wait_alu 0xf1ff
	s_delay_alu instid0(VALU_DEP_2) | instskip(NEXT) | instid1(VALU_DEP_1)
	v_cndmask_b32_e64 v58, v58, v60, s8
	v_lshrrev_b32_e32 v60, 16, v58
	v_and_b32_e32 v59, 0xff, v58
	s_delay_alu instid0(VALU_DEP_2) | instskip(SKIP_2) | instid1(VALU_DEP_3)
	v_lshlrev_b16 v61, 8, v60
	v_and_b32_e32 v62, 0xffffff00, v60
	v_and_b32_e32 v60, 0xff, v60
	v_or_b32_e32 v59, v59, v61
	s_delay_alu instid0(VALU_DEP_3) | instskip(NEXT) | instid1(VALU_DEP_3)
	v_or_b32_e32 v61, v57, v62
	v_cmp_lt_u16_e64 s9, v60, v57
	v_min_u16 v57, v60, v57
	s_delay_alu instid0(VALU_DEP_4) | instskip(NEXT) | instid1(VALU_DEP_4)
	v_and_b32_e32 v59, 0xffff, v59
	v_lshlrev_b32_e32 v61, 16, v61
	s_delay_alu instid0(VALU_DEP_1) | instskip(SKIP_1) | instid1(VALU_DEP_1)
	v_or_b32_e32 v59, v59, v61
	s_wait_alu 0xf1ff
	v_cndmask_b32_e64 v58, v58, v59, s9
	s_delay_alu instid0(VALU_DEP_1) | instskip(SKIP_1) | instid1(VALU_DEP_2)
	v_lshlrev_b16 v59, 8, v58
	v_and_b32_e32 v60, 0xff, v58
	v_or_b32_e32 v59, v57, v59
	s_delay_alu instid0(VALU_DEP_2) | instskip(NEXT) | instid1(VALU_DEP_2)
	v_cmp_lt_u16_e64 s7, v57, v60
	v_and_b32_e32 v59, 0xffff, v59
	s_delay_alu instid0(VALU_DEP_1) | instskip(SKIP_1) | instid1(VALU_DEP_1)
	v_and_or_b32 v59, 0xffff0000, v58, v59
	s_wait_alu 0xf1ff
	v_cndmask_b32_e64 v57, v58, v59, s7
	v_mov_b32_e32 v59, v46
	s_delay_alu instid0(VALU_DEP_2)
	v_lshrrev_b32_e32 v58, 8, v57
	ds_store_b8 v1, v57
	ds_store_b8 v1, v58 offset:1
	ds_store_b8_d16_hi v1, v57 offset:2
	s_wait_loadcnt_dscnt 0x0
	s_barrier_signal -1
	s_barrier_wait -1
	global_inv scope:SCOPE_SE
	s_and_saveexec_b32 s11, s0
	s_cbranch_execz .LBB105_6
; %bb.3:                                ;   in Loop: Header=BB105_2 Depth=1
	v_mov_b32_e32 v59, v46
	v_mov_b32_e32 v57, v39
	s_mov_b32 s12, 0
.LBB105_4:                              ;   Parent Loop BB105_2 Depth=1
                                        ; =>  This Inner Loop Header: Depth=2
	s_delay_alu instid0(VALU_DEP_1) | instskip(NEXT) | instid1(VALU_DEP_1)
	v_sub_nc_u32_e32 v58, v57, v59
	v_lshrrev_b32_e32 v58, 1, v58
	s_delay_alu instid0(VALU_DEP_1) | instskip(NEXT) | instid1(VALU_DEP_1)
	v_add_nc_u32_e32 v58, v58, v59
	v_add_nc_u32_e32 v60, v5, v58
	v_xad_u32 v61, v58, -1, v26
	v_add_nc_u32_e32 v62, 1, v58
	ds_load_u8 v60, v60
	ds_load_u8 v61, v61 offset:3
	s_wait_dscnt 0x0
	v_cmp_lt_u16_e64 s10, v61, v60
	s_wait_alu 0xf1ff
	s_delay_alu instid0(VALU_DEP_1) | instskip(SKIP_1) | instid1(VALU_DEP_1)
	v_cndmask_b32_e64 v57, v57, v58, s10
	v_cndmask_b32_e64 v59, v62, v59, s10
	v_cmp_ge_i32_e64 s10, v59, v57
	s_or_b32 s12, s10, s12
	s_delay_alu instid0(SALU_CYCLE_1)
	s_and_not1_b32 exec_lo, exec_lo, s12
	s_cbranch_execnz .LBB105_4
; %bb.5:                                ;   in Loop: Header=BB105_2 Depth=1
	s_or_b32 exec_lo, exec_lo, s12
.LBB105_6:                              ;   in Loop: Header=BB105_2 Depth=1
	s_wait_alu 0xfffe
	s_or_b32 exec_lo, exec_lo, s11
	v_add_nc_u32_e32 v61, v59, v5
	v_sub_nc_u32_e32 v63, v26, v59
	v_sub_nc_u32_e32 v62, v32, v59
                                        ; implicit-def: $vgpr59
	ds_load_u8 v57, v61
	ds_load_u8 v58, v63 offset:3
	v_cmp_le_i32_e64 s10, v12, v61
	v_cmp_gt_i32_e64 s12, v13, v62
	s_wait_dscnt 0x1
	v_and_b32_e32 v60, 0xff, v57
	s_wait_dscnt 0x0
	v_and_b32_e32 v64, 0xff, v58
	s_delay_alu instid0(VALU_DEP_1)
	v_cmp_lt_u16_e64 s11, v64, v60
	s_or_b32 s10, s10, s11
	s_wait_alu 0xfffe
	s_and_b32 s10, s12, s10
	s_wait_alu 0xfffe
	s_xor_b32 s11, s10, -1
	s_wait_alu 0xfffe
	s_and_saveexec_b32 s12, s11
	s_delay_alu instid0(SALU_CYCLE_1)
	s_xor_b32 s11, exec_lo, s12
; %bb.7:                                ;   in Loop: Header=BB105_2 Depth=1
	ds_load_u8 v59, v61 offset:1
                                        ; implicit-def: $vgpr63
; %bb.8:                                ;   in Loop: Header=BB105_2 Depth=1
	s_wait_alu 0xfffe
	s_or_saveexec_b32 s11, s11
	v_mov_b32_e32 v60, v58
	s_wait_alu 0xfffe
	s_xor_b32 exec_lo, exec_lo, s11
	s_cbranch_execz .LBB105_10
; %bb.9:                                ;   in Loop: Header=BB105_2 Depth=1
	ds_load_u8 v60, v63 offset:4
	s_wait_dscnt 0x1
	v_mov_b32_e32 v59, v57
.LBB105_10:                             ;   in Loop: Header=BB105_2 Depth=1
	s_or_b32 exec_lo, exec_lo, s11
	v_add_nc_u32_e32 v63, 1, v61
	v_add_nc_u32_e32 v64, 1, v62
	s_wait_dscnt 0x0
	v_and_b32_e32 v66, 0xff, v59
	s_delay_alu instid0(VALU_DEP_3) | instskip(SKIP_2) | instid1(VALU_DEP_3)
	v_cndmask_b32_e64 v65, v63, v61, s10
	v_and_b32_e32 v63, 0xff, v60
	v_cndmask_b32_e64 v64, v62, v64, s10
	v_cmp_ge_i32_e64 s11, v65, v12
	s_delay_alu instid0(VALU_DEP_3) | instskip(NEXT) | instid1(VALU_DEP_3)
	v_cmp_lt_u16_e64 s12, v63, v66
	v_cmp_lt_i32_e64 s13, v64, v13
                                        ; implicit-def: $vgpr63
	s_or_b32 s11, s11, s12
	s_wait_alu 0xfffe
	s_and_b32 s11, s13, s11
	s_wait_alu 0xfffe
	s_xor_b32 s12, s11, -1
	s_delay_alu instid0(SALU_CYCLE_1) | instskip(NEXT) | instid1(SALU_CYCLE_1)
	s_and_saveexec_b32 s13, s12
	s_xor_b32 s12, exec_lo, s13
; %bb.11:                               ;   in Loop: Header=BB105_2 Depth=1
	ds_load_u8 v63, v65 offset:1
; %bb.12:                               ;   in Loop: Header=BB105_2 Depth=1
	s_or_saveexec_b32 s12, s12
	v_mov_b32_e32 v66, v60
	s_xor_b32 exec_lo, exec_lo, s12
	s_cbranch_execz .LBB105_14
; %bb.13:                               ;   in Loop: Header=BB105_2 Depth=1
	ds_load_u8 v66, v64 offset:1
	s_wait_dscnt 0x1
	v_mov_b32_e32 v63, v59
.LBB105_14:                             ;   in Loop: Header=BB105_2 Depth=1
	s_or_b32 exec_lo, exec_lo, s12
	v_perm_b32 v67, v55, v56, 0xc0c0004
	v_perm_b32 v55, v56, v55, 0xc0c0004
	v_and_b32_e32 v56, 0xff, v54
	v_cndmask_b32_e64 v61, v61, v62, s10
	s_wait_dscnt 0x0
	v_and_b32_e32 v68, 0xff, v63
	v_and_b32_e32 v69, 0xff, v66
	v_cndmask_b32_e64 v55, v55, v67, s8
	v_lshlrev_b32_e32 v56, 16, v56
	s_wait_loadcnt 0x0
	s_barrier_signal -1
	v_cmp_lt_u16_e64 s8, v69, v68
	v_lshrrev_b16 v67, 8, v55
	v_perm_b32 v54, v55, v54, 0xc0c0004
	v_or_b32_e32 v55, v55, v56
	v_add_nc_u32_e32 v56, 1, v65
	s_barrier_wait -1
	v_lshlrev_b32_e32 v67, 16, v67
	global_inv scope:SCOPE_SE
	v_cndmask_b32_e64 v57, v57, v58, s10
	v_cndmask_b32_e64 v56, v56, v65, s11
	;; [unrolled: 1-line block ×3, first 2 shown]
	v_or_b32_e32 v54, v54, v67
	v_cndmask_b32_e64 v67, v65, v64, s11
	s_delay_alu instid0(VALU_DEP_2) | instskip(SKIP_2) | instid1(VALU_DEP_3)
	v_cndmask_b32_e64 v54, v55, v54, s9
	v_add_nc_u32_e32 v55, 1, v64
	v_cmp_ge_i32_e64 s9, v56, v12
	v_perm_b32 v62, 0, v54, 0xc0c0001
	s_delay_alu instid0(VALU_DEP_3) | instskip(SKIP_1) | instid1(VALU_DEP_2)
	v_cndmask_b32_e64 v55, v64, v55, s11
	s_or_b32 s8, s9, s8
	v_and_or_b32 v62, 0xff0000, v54, v62
	s_delay_alu instid0(VALU_DEP_1) | instskip(NEXT) | instid1(VALU_DEP_3)
	v_cndmask_b32_e64 v54, v54, v62, s7
	v_cmp_lt_i32_e64 s7, v55, v13
	s_delay_alu instid0(VALU_DEP_2)
	v_lshrrev_b32_e32 v62, 8, v54
	s_wait_alu 0xfffe
	s_and_b32 s7, s7, s8
	ds_store_b8 v1, v54
	ds_store_b8 v1, v62 offset:1
	ds_store_b8_d16_hi v1, v54 offset:2
	s_wait_alu 0xfffe
	v_cndmask_b32_e64 v55, v56, v55, s7
	s_wait_loadcnt_dscnt 0x0
	s_barrier_signal -1
	s_barrier_wait -1
	global_inv scope:SCOPE_SE
	ds_load_u8 v54, v61
	ds_load_u8 v55, v55
	;; [unrolled: 1-line block ×3, first 2 shown]
	v_cndmask_b32_e64 v63, v63, v66, s7
	s_wait_loadcnt_dscnt 0x0
	s_barrier_signal -1
	s_barrier_wait -1
	global_inv scope:SCOPE_SE
	ds_store_b8 v1, v57
	ds_store_b8 v1, v59 offset:1
	ds_store_b8 v1, v63 offset:2
	v_mov_b32_e32 v59, v47
	s_wait_loadcnt_dscnt 0x0
	s_barrier_signal -1
	s_barrier_wait -1
	global_inv scope:SCOPE_SE
	s_and_saveexec_b32 s8, s1
	s_cbranch_execz .LBB105_18
; %bb.15:                               ;   in Loop: Header=BB105_2 Depth=1
	v_mov_b32_e32 v59, v47
	v_mov_b32_e32 v57, v40
	s_mov_b32 s9, 0
.LBB105_16:                             ;   Parent Loop BB105_2 Depth=1
                                        ; =>  This Inner Loop Header: Depth=2
	s_delay_alu instid0(VALU_DEP_1) | instskip(NEXT) | instid1(VALU_DEP_1)
	v_sub_nc_u32_e32 v58, v57, v59
	v_lshrrev_b32_e32 v58, 1, v58
	s_delay_alu instid0(VALU_DEP_1) | instskip(NEXT) | instid1(VALU_DEP_1)
	v_add_nc_u32_e32 v58, v58, v59
	v_add_nc_u32_e32 v60, v6, v58
	v_xad_u32 v61, v58, -1, v27
	v_add_nc_u32_e32 v62, 1, v58
	ds_load_u8 v60, v60
	ds_load_u8 v61, v61 offset:6
	s_wait_dscnt 0x0
	v_cmp_lt_u16_e64 s7, v61, v60
	s_wait_alu 0xf1ff
	s_delay_alu instid0(VALU_DEP_1) | instskip(SKIP_1) | instid1(VALU_DEP_1)
	v_cndmask_b32_e64 v57, v57, v58, s7
	v_cndmask_b32_e64 v59, v62, v59, s7
	v_cmp_ge_i32_e64 s7, v59, v57
	s_wait_alu 0xfffe
	s_or_b32 s9, s7, s9
	s_wait_alu 0xfffe
	s_and_not1_b32 exec_lo, exec_lo, s9
	s_cbranch_execnz .LBB105_16
; %bb.17:                               ;   in Loop: Header=BB105_2 Depth=1
	s_or_b32 exec_lo, exec_lo, s9
.LBB105_18:                             ;   in Loop: Header=BB105_2 Depth=1
	s_wait_alu 0xfffe
	s_or_b32 exec_lo, exec_lo, s8
	v_add_nc_u32_e32 v60, v59, v6
	v_sub_nc_u32_e32 v63, v27, v59
	v_sub_nc_u32_e32 v61, v33, v59
                                        ; implicit-def: $vgpr59
	ds_load_u8 v57, v60
	ds_load_u8 v58, v63 offset:6
	v_cmp_le_i32_e64 s7, v14, v60
	v_cmp_gt_i32_e64 s9, v15, v61
	s_wait_dscnt 0x1
	v_and_b32_e32 v62, 0xff, v57
	s_wait_dscnt 0x0
	v_and_b32_e32 v64, 0xff, v58
	s_delay_alu instid0(VALU_DEP_1)
	v_cmp_lt_u16_e64 s8, v64, v62
	s_or_b32 s7, s7, s8
	s_wait_alu 0xfffe
	s_and_b32 s7, s9, s7
	s_wait_alu 0xfffe
	s_xor_b32 s8, s7, -1
	s_wait_alu 0xfffe
	s_and_saveexec_b32 s9, s8
	s_wait_alu 0xfffe
	s_xor_b32 s8, exec_lo, s9
; %bb.19:                               ;   in Loop: Header=BB105_2 Depth=1
	ds_load_u8 v59, v60 offset:1
                                        ; implicit-def: $vgpr63
; %bb.20:                               ;   in Loop: Header=BB105_2 Depth=1
	s_wait_alu 0xfffe
	s_or_saveexec_b32 s8, s8
	v_mov_b32_e32 v62, v58
	s_wait_alu 0xfffe
	s_xor_b32 exec_lo, exec_lo, s8
	s_cbranch_execz .LBB105_22
; %bb.21:                               ;   in Loop: Header=BB105_2 Depth=1
	ds_load_u8 v62, v63 offset:7
	s_wait_dscnt 0x1
	v_mov_b32_e32 v59, v57
.LBB105_22:                             ;   in Loop: Header=BB105_2 Depth=1
	s_or_b32 exec_lo, exec_lo, s8
	v_add_nc_u32_e32 v63, 1, v60
	v_add_nc_u32_e32 v65, 1, v61
	s_wait_dscnt 0x0
	v_and_b32_e32 v66, 0xff, v59
	s_delay_alu instid0(VALU_DEP_3) | instskip(SKIP_2) | instid1(VALU_DEP_3)
	v_cndmask_b32_e64 v64, v63, v60, s7
	v_and_b32_e32 v63, 0xff, v62
	v_cndmask_b32_e64 v65, v61, v65, s7
	v_cmp_ge_i32_e64 s8, v64, v14
	s_delay_alu instid0(VALU_DEP_3) | instskip(NEXT) | instid1(VALU_DEP_3)
	v_cmp_lt_u16_e64 s9, v63, v66
	v_cmp_lt_i32_e64 s10, v65, v15
                                        ; implicit-def: $vgpr63
	s_or_b32 s8, s8, s9
	s_wait_alu 0xfffe
	s_and_b32 s8, s10, s8
	s_wait_alu 0xfffe
	s_xor_b32 s9, s8, -1
	s_wait_alu 0xfffe
	s_and_saveexec_b32 s10, s9
	s_wait_alu 0xfffe
	s_xor_b32 s9, exec_lo, s10
; %bb.23:                               ;   in Loop: Header=BB105_2 Depth=1
	ds_load_u8 v63, v64 offset:1
; %bb.24:                               ;   in Loop: Header=BB105_2 Depth=1
	s_wait_alu 0xfffe
	s_or_saveexec_b32 s9, s9
	v_mov_b32_e32 v66, v62
	s_wait_alu 0xfffe
	s_xor_b32 exec_lo, exec_lo, s9
	s_cbranch_execz .LBB105_26
; %bb.25:                               ;   in Loop: Header=BB105_2 Depth=1
	ds_load_u8 v66, v65 offset:1
	s_wait_dscnt 0x1
	v_mov_b32_e32 v63, v59
.LBB105_26:                             ;   in Loop: Header=BB105_2 Depth=1
	s_or_b32 exec_lo, exec_lo, s9
	v_add_nc_u32_e32 v67, 1, v64
	v_add_nc_u32_e32 v68, 1, v65
	s_wait_dscnt 0x0
	v_and_b32_e32 v69, 0xff, v63
	v_and_b32_e32 v70, 0xff, v66
	v_cndmask_b32_e64 v60, v60, v61, s7
	v_cndmask_b32_e64 v67, v67, v64, s8
	;; [unrolled: 1-line block ×4, first 2 shown]
	v_cmp_lt_u16_e64 s9, v70, v69
	s_wait_loadcnt 0x0
	v_cmp_ge_i32_e64 s10, v67, v14
	s_barrier_signal -1
	v_cmp_lt_i32_e64 s11, v65, v15
	s_barrier_wait -1
	global_inv scope:SCOPE_SE
	s_or_b32 s9, s10, s9
	ds_store_b8 v1, v54
	ds_store_b8 v1, v56 offset:1
	ds_store_b8 v1, v55 offset:2
	s_wait_alu 0xfffe
	s_and_b32 s9, s11, s9
	s_wait_loadcnt_dscnt 0x0
	s_wait_alu 0xfffe
	v_cndmask_b32_e64 v61, v63, v66, s9
	v_cndmask_b32_e64 v63, v67, v65, s9
	s_barrier_signal -1
	s_barrier_wait -1
	global_inv scope:SCOPE_SE
	ds_load_u8 v54, v60
	ds_load_u8 v55, v63
	ds_load_u8 v56, v64
	v_cndmask_b32_e64 v57, v57, v58, s7
	v_cndmask_b32_e64 v59, v59, v62, s8
	s_wait_loadcnt_dscnt 0x0
	s_barrier_signal -1
	s_barrier_wait -1
	global_inv scope:SCOPE_SE
	ds_store_b8 v1, v57
	ds_store_b8 v1, v59 offset:1
	ds_store_b8 v1, v61 offset:2
	v_mov_b32_e32 v59, v48
	s_wait_loadcnt_dscnt 0x0
	s_barrier_signal -1
	s_barrier_wait -1
	global_inv scope:SCOPE_SE
	s_and_saveexec_b32 s8, s2
	s_cbranch_execz .LBB105_30
; %bb.27:                               ;   in Loop: Header=BB105_2 Depth=1
	v_mov_b32_e32 v59, v48
	v_mov_b32_e32 v57, v41
	s_mov_b32 s9, 0
.LBB105_28:                             ;   Parent Loop BB105_2 Depth=1
                                        ; =>  This Inner Loop Header: Depth=2
	s_delay_alu instid0(VALU_DEP_1) | instskip(NEXT) | instid1(VALU_DEP_1)
	v_sub_nc_u32_e32 v58, v57, v59
	v_lshrrev_b32_e32 v58, 1, v58
	s_delay_alu instid0(VALU_DEP_1) | instskip(NEXT) | instid1(VALU_DEP_1)
	v_add_nc_u32_e32 v58, v58, v59
	v_add_nc_u32_e32 v60, v7, v58
	v_xad_u32 v61, v58, -1, v28
	v_add_nc_u32_e32 v62, 1, v58
	ds_load_u8 v60, v60
	ds_load_u8 v61, v61 offset:12
	s_wait_dscnt 0x0
	v_cmp_lt_u16_e64 s7, v61, v60
	s_wait_alu 0xf1ff
	s_delay_alu instid0(VALU_DEP_1) | instskip(SKIP_1) | instid1(VALU_DEP_1)
	v_cndmask_b32_e64 v57, v57, v58, s7
	v_cndmask_b32_e64 v59, v62, v59, s7
	v_cmp_ge_i32_e64 s7, v59, v57
	s_wait_alu 0xfffe
	s_or_b32 s9, s7, s9
	s_wait_alu 0xfffe
	s_and_not1_b32 exec_lo, exec_lo, s9
	s_cbranch_execnz .LBB105_28
; %bb.29:                               ;   in Loop: Header=BB105_2 Depth=1
	s_or_b32 exec_lo, exec_lo, s9
.LBB105_30:                             ;   in Loop: Header=BB105_2 Depth=1
	s_wait_alu 0xfffe
	s_or_b32 exec_lo, exec_lo, s8
	v_add_nc_u32_e32 v60, v59, v7
	v_sub_nc_u32_e32 v63, v28, v59
	v_sub_nc_u32_e32 v61, v34, v59
                                        ; implicit-def: $vgpr59
	ds_load_u8 v57, v60
	ds_load_u8 v58, v63 offset:12
	v_cmp_le_i32_e64 s7, v16, v60
	v_cmp_gt_i32_e64 s9, v17, v61
	s_wait_dscnt 0x1
	v_and_b32_e32 v62, 0xff, v57
	s_wait_dscnt 0x0
	v_and_b32_e32 v64, 0xff, v58
	s_delay_alu instid0(VALU_DEP_1)
	v_cmp_lt_u16_e64 s8, v64, v62
	s_or_b32 s7, s7, s8
	s_wait_alu 0xfffe
	s_and_b32 s7, s9, s7
	s_wait_alu 0xfffe
	s_xor_b32 s8, s7, -1
	s_wait_alu 0xfffe
	s_and_saveexec_b32 s9, s8
	s_wait_alu 0xfffe
	s_xor_b32 s8, exec_lo, s9
; %bb.31:                               ;   in Loop: Header=BB105_2 Depth=1
	ds_load_u8 v59, v60 offset:1
                                        ; implicit-def: $vgpr63
; %bb.32:                               ;   in Loop: Header=BB105_2 Depth=1
	s_wait_alu 0xfffe
	s_or_saveexec_b32 s8, s8
	v_mov_b32_e32 v62, v58
	s_wait_alu 0xfffe
	s_xor_b32 exec_lo, exec_lo, s8
	s_cbranch_execz .LBB105_34
; %bb.33:                               ;   in Loop: Header=BB105_2 Depth=1
	ds_load_u8 v62, v63 offset:13
	s_wait_dscnt 0x1
	v_mov_b32_e32 v59, v57
.LBB105_34:                             ;   in Loop: Header=BB105_2 Depth=1
	s_or_b32 exec_lo, exec_lo, s8
	v_add_nc_u32_e32 v63, 1, v60
	v_add_nc_u32_e32 v65, 1, v61
	s_wait_dscnt 0x0
	v_and_b32_e32 v66, 0xff, v59
	s_delay_alu instid0(VALU_DEP_3) | instskip(SKIP_2) | instid1(VALU_DEP_3)
	v_cndmask_b32_e64 v64, v63, v60, s7
	v_and_b32_e32 v63, 0xff, v62
	v_cndmask_b32_e64 v65, v61, v65, s7
	v_cmp_ge_i32_e64 s8, v64, v16
	s_delay_alu instid0(VALU_DEP_3) | instskip(NEXT) | instid1(VALU_DEP_3)
	v_cmp_lt_u16_e64 s9, v63, v66
	v_cmp_lt_i32_e64 s10, v65, v17
                                        ; implicit-def: $vgpr63
	s_or_b32 s8, s8, s9
	s_wait_alu 0xfffe
	s_and_b32 s8, s10, s8
	s_wait_alu 0xfffe
	s_xor_b32 s9, s8, -1
	s_wait_alu 0xfffe
	s_and_saveexec_b32 s10, s9
	s_wait_alu 0xfffe
	s_xor_b32 s9, exec_lo, s10
; %bb.35:                               ;   in Loop: Header=BB105_2 Depth=1
	ds_load_u8 v63, v64 offset:1
; %bb.36:                               ;   in Loop: Header=BB105_2 Depth=1
	s_wait_alu 0xfffe
	s_or_saveexec_b32 s9, s9
	v_mov_b32_e32 v66, v62
	s_wait_alu 0xfffe
	s_xor_b32 exec_lo, exec_lo, s9
	s_cbranch_execz .LBB105_38
; %bb.37:                               ;   in Loop: Header=BB105_2 Depth=1
	ds_load_u8 v66, v65 offset:1
	s_wait_dscnt 0x1
	v_mov_b32_e32 v63, v59
.LBB105_38:                             ;   in Loop: Header=BB105_2 Depth=1
	s_or_b32 exec_lo, exec_lo, s9
	v_add_nc_u32_e32 v67, 1, v64
	v_add_nc_u32_e32 v68, 1, v65
	s_wait_dscnt 0x0
	v_and_b32_e32 v69, 0xff, v63
	v_and_b32_e32 v70, 0xff, v66
	v_cndmask_b32_e64 v60, v60, v61, s7
	v_cndmask_b32_e64 v67, v67, v64, s8
	;; [unrolled: 1-line block ×4, first 2 shown]
	v_cmp_lt_u16_e64 s9, v70, v69
	s_wait_loadcnt 0x0
	v_cmp_ge_i32_e64 s10, v67, v16
	s_barrier_signal -1
	v_cmp_lt_i32_e64 s11, v65, v17
	s_barrier_wait -1
	global_inv scope:SCOPE_SE
	s_or_b32 s9, s10, s9
	ds_store_b8 v1, v54
	ds_store_b8 v1, v56 offset:1
	ds_store_b8 v1, v55 offset:2
	s_wait_alu 0xfffe
	s_and_b32 s9, s11, s9
	s_wait_loadcnt_dscnt 0x0
	s_wait_alu 0xfffe
	v_cndmask_b32_e64 v61, v63, v66, s9
	v_cndmask_b32_e64 v63, v67, v65, s9
	s_barrier_signal -1
	s_barrier_wait -1
	global_inv scope:SCOPE_SE
	ds_load_u8 v54, v60
	ds_load_u8 v55, v63
	;; [unrolled: 1-line block ×3, first 2 shown]
	v_cndmask_b32_e64 v57, v57, v58, s7
	v_cndmask_b32_e64 v59, v59, v62, s8
	s_wait_loadcnt_dscnt 0x0
	s_barrier_signal -1
	s_barrier_wait -1
	global_inv scope:SCOPE_SE
	ds_store_b8 v1, v57
	ds_store_b8 v1, v59 offset:1
	ds_store_b8 v1, v61 offset:2
	v_mov_b32_e32 v59, v49
	s_wait_loadcnt_dscnt 0x0
	s_barrier_signal -1
	s_barrier_wait -1
	global_inv scope:SCOPE_SE
	s_and_saveexec_b32 s8, s3
	s_cbranch_execz .LBB105_42
; %bb.39:                               ;   in Loop: Header=BB105_2 Depth=1
	v_mov_b32_e32 v59, v49
	v_mov_b32_e32 v57, v42
	s_mov_b32 s9, 0
.LBB105_40:                             ;   Parent Loop BB105_2 Depth=1
                                        ; =>  This Inner Loop Header: Depth=2
	s_delay_alu instid0(VALU_DEP_1) | instskip(NEXT) | instid1(VALU_DEP_1)
	v_sub_nc_u32_e32 v58, v57, v59
	v_lshrrev_b32_e32 v58, 1, v58
	s_delay_alu instid0(VALU_DEP_1) | instskip(NEXT) | instid1(VALU_DEP_1)
	v_add_nc_u32_e32 v58, v58, v59
	v_add_nc_u32_e32 v60, v8, v58
	v_xad_u32 v61, v58, -1, v29
	v_add_nc_u32_e32 v62, 1, v58
	ds_load_u8 v60, v60
	ds_load_u8 v61, v61 offset:24
	s_wait_dscnt 0x0
	v_cmp_lt_u16_e64 s7, v61, v60
	s_wait_alu 0xf1ff
	s_delay_alu instid0(VALU_DEP_1) | instskip(SKIP_1) | instid1(VALU_DEP_1)
	v_cndmask_b32_e64 v57, v57, v58, s7
	v_cndmask_b32_e64 v59, v62, v59, s7
	v_cmp_ge_i32_e64 s7, v59, v57
	s_wait_alu 0xfffe
	s_or_b32 s9, s7, s9
	s_wait_alu 0xfffe
	s_and_not1_b32 exec_lo, exec_lo, s9
	s_cbranch_execnz .LBB105_40
; %bb.41:                               ;   in Loop: Header=BB105_2 Depth=1
	s_or_b32 exec_lo, exec_lo, s9
.LBB105_42:                             ;   in Loop: Header=BB105_2 Depth=1
	s_wait_alu 0xfffe
	s_or_b32 exec_lo, exec_lo, s8
	v_add_nc_u32_e32 v60, v59, v8
	v_sub_nc_u32_e32 v63, v29, v59
	v_sub_nc_u32_e32 v61, v35, v59
                                        ; implicit-def: $vgpr59
	ds_load_u8 v57, v60
	ds_load_u8 v58, v63 offset:24
	v_cmp_le_i32_e64 s7, v18, v60
	v_cmp_gt_i32_e64 s9, v19, v61
	s_wait_dscnt 0x1
	v_and_b32_e32 v62, 0xff, v57
	s_wait_dscnt 0x0
	v_and_b32_e32 v64, 0xff, v58
	s_delay_alu instid0(VALU_DEP_1)
	v_cmp_lt_u16_e64 s8, v64, v62
	s_or_b32 s7, s7, s8
	s_wait_alu 0xfffe
	s_and_b32 s7, s9, s7
	s_wait_alu 0xfffe
	s_xor_b32 s8, s7, -1
	s_wait_alu 0xfffe
	s_and_saveexec_b32 s9, s8
	s_wait_alu 0xfffe
	s_xor_b32 s8, exec_lo, s9
; %bb.43:                               ;   in Loop: Header=BB105_2 Depth=1
	ds_load_u8 v59, v60 offset:1
                                        ; implicit-def: $vgpr63
; %bb.44:                               ;   in Loop: Header=BB105_2 Depth=1
	s_wait_alu 0xfffe
	s_or_saveexec_b32 s8, s8
	v_mov_b32_e32 v62, v58
	s_wait_alu 0xfffe
	s_xor_b32 exec_lo, exec_lo, s8
	s_cbranch_execz .LBB105_46
; %bb.45:                               ;   in Loop: Header=BB105_2 Depth=1
	ds_load_u8 v62, v63 offset:25
	s_wait_dscnt 0x1
	v_mov_b32_e32 v59, v57
.LBB105_46:                             ;   in Loop: Header=BB105_2 Depth=1
	s_or_b32 exec_lo, exec_lo, s8
	v_add_nc_u32_e32 v63, 1, v60
	v_add_nc_u32_e32 v65, 1, v61
	s_wait_dscnt 0x0
	v_and_b32_e32 v66, 0xff, v59
	s_delay_alu instid0(VALU_DEP_3) | instskip(SKIP_2) | instid1(VALU_DEP_3)
	v_cndmask_b32_e64 v64, v63, v60, s7
	v_and_b32_e32 v63, 0xff, v62
	v_cndmask_b32_e64 v65, v61, v65, s7
	v_cmp_ge_i32_e64 s8, v64, v18
	s_delay_alu instid0(VALU_DEP_3) | instskip(NEXT) | instid1(VALU_DEP_3)
	v_cmp_lt_u16_e64 s9, v63, v66
	v_cmp_lt_i32_e64 s10, v65, v19
                                        ; implicit-def: $vgpr63
	s_or_b32 s8, s8, s9
	s_wait_alu 0xfffe
	s_and_b32 s8, s10, s8
	s_wait_alu 0xfffe
	s_xor_b32 s9, s8, -1
	s_wait_alu 0xfffe
	s_and_saveexec_b32 s10, s9
	s_wait_alu 0xfffe
	s_xor_b32 s9, exec_lo, s10
; %bb.47:                               ;   in Loop: Header=BB105_2 Depth=1
	ds_load_u8 v63, v64 offset:1
; %bb.48:                               ;   in Loop: Header=BB105_2 Depth=1
	s_wait_alu 0xfffe
	s_or_saveexec_b32 s9, s9
	v_mov_b32_e32 v66, v62
	s_wait_alu 0xfffe
	s_xor_b32 exec_lo, exec_lo, s9
	s_cbranch_execz .LBB105_50
; %bb.49:                               ;   in Loop: Header=BB105_2 Depth=1
	ds_load_u8 v66, v65 offset:1
	s_wait_dscnt 0x1
	v_mov_b32_e32 v63, v59
.LBB105_50:                             ;   in Loop: Header=BB105_2 Depth=1
	s_or_b32 exec_lo, exec_lo, s9
	v_add_nc_u32_e32 v67, 1, v64
	v_add_nc_u32_e32 v68, 1, v65
	s_wait_dscnt 0x0
	v_and_b32_e32 v69, 0xff, v63
	v_and_b32_e32 v70, 0xff, v66
	v_cndmask_b32_e64 v60, v60, v61, s7
	v_cndmask_b32_e64 v67, v67, v64, s8
	;; [unrolled: 1-line block ×4, first 2 shown]
	v_cmp_lt_u16_e64 s9, v70, v69
	s_wait_loadcnt 0x0
	v_cmp_ge_i32_e64 s10, v67, v18
	s_barrier_signal -1
	v_cmp_lt_i32_e64 s11, v65, v19
	s_barrier_wait -1
	global_inv scope:SCOPE_SE
	s_or_b32 s9, s10, s9
	ds_store_b8 v1, v54
	ds_store_b8 v1, v56 offset:1
	ds_store_b8 v1, v55 offset:2
	s_wait_alu 0xfffe
	s_and_b32 s9, s11, s9
	s_wait_loadcnt_dscnt 0x0
	s_wait_alu 0xfffe
	v_cndmask_b32_e64 v61, v63, v66, s9
	v_cndmask_b32_e64 v63, v67, v65, s9
	s_barrier_signal -1
	s_barrier_wait -1
	global_inv scope:SCOPE_SE
	ds_load_u8 v54, v60
	ds_load_u8 v55, v63
	;; [unrolled: 1-line block ×3, first 2 shown]
	v_cndmask_b32_e64 v57, v57, v58, s7
	v_cndmask_b32_e64 v59, v59, v62, s8
	s_wait_loadcnt_dscnt 0x0
	s_barrier_signal -1
	s_barrier_wait -1
	global_inv scope:SCOPE_SE
	ds_store_b8 v1, v57
	ds_store_b8 v1, v59 offset:1
	ds_store_b8 v1, v61 offset:2
	v_mov_b32_e32 v59, v50
	s_wait_loadcnt_dscnt 0x0
	s_barrier_signal -1
	s_barrier_wait -1
	global_inv scope:SCOPE_SE
	s_and_saveexec_b32 s8, s4
	s_cbranch_execz .LBB105_54
; %bb.51:                               ;   in Loop: Header=BB105_2 Depth=1
	v_mov_b32_e32 v59, v50
	v_mov_b32_e32 v57, v43
	s_mov_b32 s9, 0
.LBB105_52:                             ;   Parent Loop BB105_2 Depth=1
                                        ; =>  This Inner Loop Header: Depth=2
	s_delay_alu instid0(VALU_DEP_1) | instskip(NEXT) | instid1(VALU_DEP_1)
	v_sub_nc_u32_e32 v58, v57, v59
	v_lshrrev_b32_e32 v58, 1, v58
	s_delay_alu instid0(VALU_DEP_1) | instskip(NEXT) | instid1(VALU_DEP_1)
	v_add_nc_u32_e32 v58, v58, v59
	v_add_nc_u32_e32 v60, v9, v58
	v_xad_u32 v61, v58, -1, v30
	v_add_nc_u32_e32 v62, 1, v58
	ds_load_u8 v60, v60
	ds_load_u8 v61, v61 offset:48
	s_wait_dscnt 0x0
	v_cmp_lt_u16_e64 s7, v61, v60
	s_wait_alu 0xf1ff
	s_delay_alu instid0(VALU_DEP_1) | instskip(SKIP_1) | instid1(VALU_DEP_1)
	v_cndmask_b32_e64 v57, v57, v58, s7
	v_cndmask_b32_e64 v59, v62, v59, s7
	v_cmp_ge_i32_e64 s7, v59, v57
	s_wait_alu 0xfffe
	s_or_b32 s9, s7, s9
	s_wait_alu 0xfffe
	s_and_not1_b32 exec_lo, exec_lo, s9
	s_cbranch_execnz .LBB105_52
; %bb.53:                               ;   in Loop: Header=BB105_2 Depth=1
	s_or_b32 exec_lo, exec_lo, s9
.LBB105_54:                             ;   in Loop: Header=BB105_2 Depth=1
	s_wait_alu 0xfffe
	s_or_b32 exec_lo, exec_lo, s8
	v_add_nc_u32_e32 v60, v59, v9
	v_sub_nc_u32_e32 v63, v30, v59
	v_sub_nc_u32_e32 v61, v36, v59
                                        ; implicit-def: $vgpr59
	ds_load_u8 v57, v60
	ds_load_u8 v58, v63 offset:48
	v_cmp_le_i32_e64 s7, v20, v60
	v_cmp_gt_i32_e64 s9, v21, v61
	s_wait_dscnt 0x1
	v_and_b32_e32 v62, 0xff, v57
	s_wait_dscnt 0x0
	v_and_b32_e32 v64, 0xff, v58
	s_delay_alu instid0(VALU_DEP_1)
	v_cmp_lt_u16_e64 s8, v64, v62
	s_or_b32 s7, s7, s8
	s_wait_alu 0xfffe
	s_and_b32 s7, s9, s7
	s_wait_alu 0xfffe
	s_xor_b32 s8, s7, -1
	s_wait_alu 0xfffe
	s_and_saveexec_b32 s9, s8
	s_wait_alu 0xfffe
	s_xor_b32 s8, exec_lo, s9
; %bb.55:                               ;   in Loop: Header=BB105_2 Depth=1
	ds_load_u8 v59, v60 offset:1
                                        ; implicit-def: $vgpr63
; %bb.56:                               ;   in Loop: Header=BB105_2 Depth=1
	s_wait_alu 0xfffe
	s_or_saveexec_b32 s8, s8
	v_mov_b32_e32 v62, v58
	s_wait_alu 0xfffe
	s_xor_b32 exec_lo, exec_lo, s8
	s_cbranch_execz .LBB105_58
; %bb.57:                               ;   in Loop: Header=BB105_2 Depth=1
	ds_load_u8 v62, v63 offset:49
	s_wait_dscnt 0x1
	v_mov_b32_e32 v59, v57
.LBB105_58:                             ;   in Loop: Header=BB105_2 Depth=1
	s_or_b32 exec_lo, exec_lo, s8
	v_add_nc_u32_e32 v63, 1, v60
	v_add_nc_u32_e32 v65, 1, v61
	s_wait_dscnt 0x0
	v_and_b32_e32 v66, 0xff, v59
	s_delay_alu instid0(VALU_DEP_3) | instskip(SKIP_2) | instid1(VALU_DEP_3)
	v_cndmask_b32_e64 v64, v63, v60, s7
	v_and_b32_e32 v63, 0xff, v62
	v_cndmask_b32_e64 v65, v61, v65, s7
	v_cmp_ge_i32_e64 s8, v64, v20
	s_delay_alu instid0(VALU_DEP_3) | instskip(NEXT) | instid1(VALU_DEP_3)
	v_cmp_lt_u16_e64 s9, v63, v66
	v_cmp_lt_i32_e64 s10, v65, v21
                                        ; implicit-def: $vgpr63
	s_or_b32 s8, s8, s9
	s_wait_alu 0xfffe
	s_and_b32 s8, s10, s8
	s_wait_alu 0xfffe
	s_xor_b32 s9, s8, -1
	s_wait_alu 0xfffe
	s_and_saveexec_b32 s10, s9
	s_wait_alu 0xfffe
	s_xor_b32 s9, exec_lo, s10
; %bb.59:                               ;   in Loop: Header=BB105_2 Depth=1
	ds_load_u8 v63, v64 offset:1
; %bb.60:                               ;   in Loop: Header=BB105_2 Depth=1
	s_wait_alu 0xfffe
	s_or_saveexec_b32 s9, s9
	v_mov_b32_e32 v66, v62
	s_wait_alu 0xfffe
	s_xor_b32 exec_lo, exec_lo, s9
	s_cbranch_execz .LBB105_62
; %bb.61:                               ;   in Loop: Header=BB105_2 Depth=1
	ds_load_u8 v66, v65 offset:1
	s_wait_dscnt 0x1
	v_mov_b32_e32 v63, v59
.LBB105_62:                             ;   in Loop: Header=BB105_2 Depth=1
	s_or_b32 exec_lo, exec_lo, s9
	v_add_nc_u32_e32 v67, 1, v64
	v_add_nc_u32_e32 v68, 1, v65
	s_wait_dscnt 0x0
	v_and_b32_e32 v69, 0xff, v63
	v_and_b32_e32 v70, 0xff, v66
	v_cndmask_b32_e64 v60, v60, v61, s7
	v_cndmask_b32_e64 v67, v67, v64, s8
	;; [unrolled: 1-line block ×4, first 2 shown]
	v_cmp_lt_u16_e64 s9, v70, v69
	s_wait_loadcnt 0x0
	v_cmp_ge_i32_e64 s10, v67, v20
	s_barrier_signal -1
	v_cmp_lt_i32_e64 s11, v65, v21
	s_barrier_wait -1
	global_inv scope:SCOPE_SE
	s_or_b32 s9, s10, s9
	ds_store_b8 v1, v54
	ds_store_b8 v1, v56 offset:1
	ds_store_b8 v1, v55 offset:2
	s_wait_alu 0xfffe
	s_and_b32 s9, s11, s9
	s_wait_loadcnt_dscnt 0x0
	s_wait_alu 0xfffe
	v_cndmask_b32_e64 v61, v63, v66, s9
	v_cndmask_b32_e64 v63, v67, v65, s9
	s_barrier_signal -1
	s_barrier_wait -1
	global_inv scope:SCOPE_SE
	ds_load_u8 v54, v60
	ds_load_u8 v55, v63
	;; [unrolled: 1-line block ×3, first 2 shown]
	v_cndmask_b32_e64 v57, v57, v58, s7
	v_cndmask_b32_e64 v59, v59, v62, s8
	s_wait_loadcnt_dscnt 0x0
	s_barrier_signal -1
	s_barrier_wait -1
	global_inv scope:SCOPE_SE
	ds_store_b8 v1, v57
	ds_store_b8 v1, v59 offset:1
	ds_store_b8 v1, v61 offset:2
	v_mov_b32_e32 v59, v51
	s_wait_loadcnt_dscnt 0x0
	s_barrier_signal -1
	s_barrier_wait -1
	global_inv scope:SCOPE_SE
	s_and_saveexec_b32 s8, s5
	s_cbranch_execz .LBB105_66
; %bb.63:                               ;   in Loop: Header=BB105_2 Depth=1
	v_mov_b32_e32 v59, v51
	v_mov_b32_e32 v57, v44
	s_mov_b32 s9, 0
.LBB105_64:                             ;   Parent Loop BB105_2 Depth=1
                                        ; =>  This Inner Loop Header: Depth=2
	s_delay_alu instid0(VALU_DEP_1) | instskip(NEXT) | instid1(VALU_DEP_1)
	v_sub_nc_u32_e32 v58, v57, v59
	v_lshrrev_b32_e32 v58, 1, v58
	s_delay_alu instid0(VALU_DEP_1) | instskip(NEXT) | instid1(VALU_DEP_1)
	v_add_nc_u32_e32 v58, v58, v59
	v_add_nc_u32_e32 v60, v10, v58
	v_xad_u32 v61, v58, -1, v31
	v_add_nc_u32_e32 v62, 1, v58
	ds_load_u8 v60, v60
	ds_load_u8 v61, v61 offset:96
	s_wait_dscnt 0x0
	v_cmp_lt_u16_e64 s7, v61, v60
	s_wait_alu 0xf1ff
	s_delay_alu instid0(VALU_DEP_1) | instskip(SKIP_1) | instid1(VALU_DEP_1)
	v_cndmask_b32_e64 v57, v57, v58, s7
	v_cndmask_b32_e64 v59, v62, v59, s7
	v_cmp_ge_i32_e64 s7, v59, v57
	s_wait_alu 0xfffe
	s_or_b32 s9, s7, s9
	s_wait_alu 0xfffe
	s_and_not1_b32 exec_lo, exec_lo, s9
	s_cbranch_execnz .LBB105_64
; %bb.65:                               ;   in Loop: Header=BB105_2 Depth=1
	s_or_b32 exec_lo, exec_lo, s9
.LBB105_66:                             ;   in Loop: Header=BB105_2 Depth=1
	s_wait_alu 0xfffe
	s_or_b32 exec_lo, exec_lo, s8
	v_add_nc_u32_e32 v60, v59, v10
	v_sub_nc_u32_e32 v63, v31, v59
	v_sub_nc_u32_e32 v61, v37, v59
                                        ; implicit-def: $vgpr59
	ds_load_u8 v57, v60
	ds_load_u8 v58, v63 offset:96
	v_cmp_le_i32_e64 s7, v22, v60
	v_cmp_gt_i32_e64 s9, v23, v61
	s_wait_dscnt 0x1
	v_and_b32_e32 v62, 0xff, v57
	s_wait_dscnt 0x0
	v_and_b32_e32 v64, 0xff, v58
	s_delay_alu instid0(VALU_DEP_1)
	v_cmp_lt_u16_e64 s8, v64, v62
	s_or_b32 s7, s7, s8
	s_wait_alu 0xfffe
	s_and_b32 s7, s9, s7
	s_wait_alu 0xfffe
	s_xor_b32 s8, s7, -1
	s_wait_alu 0xfffe
	s_and_saveexec_b32 s9, s8
	s_wait_alu 0xfffe
	s_xor_b32 s8, exec_lo, s9
; %bb.67:                               ;   in Loop: Header=BB105_2 Depth=1
	ds_load_u8 v59, v60 offset:1
                                        ; implicit-def: $vgpr63
; %bb.68:                               ;   in Loop: Header=BB105_2 Depth=1
	s_wait_alu 0xfffe
	s_or_saveexec_b32 s8, s8
	v_mov_b32_e32 v62, v58
	s_wait_alu 0xfffe
	s_xor_b32 exec_lo, exec_lo, s8
	s_cbranch_execz .LBB105_70
; %bb.69:                               ;   in Loop: Header=BB105_2 Depth=1
	ds_load_u8 v62, v63 offset:97
	s_wait_dscnt 0x1
	v_mov_b32_e32 v59, v57
.LBB105_70:                             ;   in Loop: Header=BB105_2 Depth=1
	s_or_b32 exec_lo, exec_lo, s8
	v_add_nc_u32_e32 v63, 1, v60
	v_add_nc_u32_e32 v65, 1, v61
	s_wait_dscnt 0x0
	v_and_b32_e32 v66, 0xff, v59
	s_delay_alu instid0(VALU_DEP_3) | instskip(SKIP_2) | instid1(VALU_DEP_3)
	v_cndmask_b32_e64 v64, v63, v60, s7
	v_and_b32_e32 v63, 0xff, v62
	v_cndmask_b32_e64 v65, v61, v65, s7
	v_cmp_ge_i32_e64 s8, v64, v22
	s_delay_alu instid0(VALU_DEP_3) | instskip(NEXT) | instid1(VALU_DEP_3)
	v_cmp_lt_u16_e64 s9, v63, v66
	v_cmp_lt_i32_e64 s10, v65, v23
                                        ; implicit-def: $vgpr63
	s_or_b32 s8, s8, s9
	s_wait_alu 0xfffe
	s_and_b32 s8, s10, s8
	s_wait_alu 0xfffe
	s_xor_b32 s9, s8, -1
	s_wait_alu 0xfffe
	s_and_saveexec_b32 s10, s9
	s_wait_alu 0xfffe
	s_xor_b32 s9, exec_lo, s10
; %bb.71:                               ;   in Loop: Header=BB105_2 Depth=1
	ds_load_u8 v63, v64 offset:1
; %bb.72:                               ;   in Loop: Header=BB105_2 Depth=1
	s_wait_alu 0xfffe
	s_or_saveexec_b32 s9, s9
	v_mov_b32_e32 v66, v62
	s_wait_alu 0xfffe
	s_xor_b32 exec_lo, exec_lo, s9
	s_cbranch_execz .LBB105_74
; %bb.73:                               ;   in Loop: Header=BB105_2 Depth=1
	ds_load_u8 v66, v65 offset:1
	s_wait_dscnt 0x1
	v_mov_b32_e32 v63, v59
.LBB105_74:                             ;   in Loop: Header=BB105_2 Depth=1
	s_or_b32 exec_lo, exec_lo, s9
	v_add_nc_u32_e32 v67, 1, v64
	v_add_nc_u32_e32 v68, 1, v65
	s_wait_dscnt 0x0
	v_and_b32_e32 v69, 0xff, v63
	v_and_b32_e32 v70, 0xff, v66
	v_cndmask_b32_e64 v60, v60, v61, s7
	v_cndmask_b32_e64 v67, v67, v64, s8
	;; [unrolled: 1-line block ×4, first 2 shown]
	v_cmp_lt_u16_e64 s9, v70, v69
	s_wait_loadcnt 0x0
	v_cmp_ge_i32_e64 s10, v67, v22
	s_barrier_signal -1
	v_cmp_lt_i32_e64 s11, v65, v23
	s_barrier_wait -1
	global_inv scope:SCOPE_SE
	s_or_b32 s9, s10, s9
	ds_store_b8 v1, v54
	ds_store_b8 v1, v56 offset:1
	ds_store_b8 v1, v55 offset:2
	s_wait_alu 0xfffe
	s_and_b32 s9, s11, s9
	s_wait_loadcnt_dscnt 0x0
	s_wait_alu 0xfffe
	v_cndmask_b32_e64 v61, v63, v66, s9
	v_cndmask_b32_e64 v63, v67, v65, s9
	s_barrier_signal -1
	s_barrier_wait -1
	global_inv scope:SCOPE_SE
	ds_load_u8 v54, v60
	ds_load_u8 v55, v63
	;; [unrolled: 1-line block ×3, first 2 shown]
	v_cndmask_b32_e64 v57, v57, v58, s7
	v_cndmask_b32_e64 v59, v59, v62, s8
	s_wait_loadcnt_dscnt 0x0
	s_barrier_signal -1
	s_barrier_wait -1
	global_inv scope:SCOPE_SE
	ds_store_b8 v1, v57
	ds_store_b8 v1, v59 offset:1
	ds_store_b8 v1, v61 offset:2
	v_mov_b32_e32 v59, v52
	s_wait_loadcnt_dscnt 0x0
	s_barrier_signal -1
	s_barrier_wait -1
	global_inv scope:SCOPE_SE
	s_and_saveexec_b32 s8, s6
	s_cbranch_execz .LBB105_78
; %bb.75:                               ;   in Loop: Header=BB105_2 Depth=1
	v_mov_b32_e32 v59, v52
	v_mov_b32_e32 v57, v45
	s_mov_b32 s9, 0
.LBB105_76:                             ;   Parent Loop BB105_2 Depth=1
                                        ; =>  This Inner Loop Header: Depth=2
	s_delay_alu instid0(VALU_DEP_1) | instskip(NEXT) | instid1(VALU_DEP_1)
	v_sub_nc_u32_e32 v58, v57, v59
	v_lshrrev_b32_e32 v58, 1, v58
	s_delay_alu instid0(VALU_DEP_1) | instskip(NEXT) | instid1(VALU_DEP_1)
	v_add_nc_u32_e32 v58, v58, v59
	v_add_nc_u32_e32 v60, v11, v58
	v_xad_u32 v61, v58, -1, v53
	v_add_nc_u32_e32 v62, 1, v58
	ds_load_u8 v60, v60
	ds_load_u8 v61, v61 offset:192
	s_wait_dscnt 0x0
	v_cmp_lt_u16_e64 s7, v61, v60
	s_wait_alu 0xf1ff
	s_delay_alu instid0(VALU_DEP_1) | instskip(SKIP_1) | instid1(VALU_DEP_1)
	v_cndmask_b32_e64 v57, v57, v58, s7
	v_cndmask_b32_e64 v59, v62, v59, s7
	v_cmp_ge_i32_e64 s7, v59, v57
	s_wait_alu 0xfffe
	s_or_b32 s9, s7, s9
	s_wait_alu 0xfffe
	s_and_not1_b32 exec_lo, exec_lo, s9
	s_cbranch_execnz .LBB105_76
; %bb.77:                               ;   in Loop: Header=BB105_2 Depth=1
	s_or_b32 exec_lo, exec_lo, s9
.LBB105_78:                             ;   in Loop: Header=BB105_2 Depth=1
	s_wait_alu 0xfffe
	s_or_b32 exec_lo, exec_lo, s8
	v_add_nc_u32_e32 v60, v59, v11
	v_sub_nc_u32_e32 v63, v53, v59
	v_sub_nc_u32_e32 v61, v38, v59
                                        ; implicit-def: $vgpr59
	ds_load_u8 v57, v60
	ds_load_u8 v58, v63 offset:192
	v_cmp_le_i32_e64 s7, v24, v60
	v_cmp_gt_i32_e64 s9, v25, v61
	s_wait_dscnt 0x1
	v_and_b32_e32 v62, 0xff, v57
	s_wait_dscnt 0x0
	v_and_b32_e32 v64, 0xff, v58
	s_delay_alu instid0(VALU_DEP_1)
	v_cmp_lt_u16_e64 s8, v64, v62
	s_or_b32 s7, s7, s8
	s_wait_alu 0xfffe
	s_and_b32 s7, s9, s7
	s_wait_alu 0xfffe
	s_xor_b32 s8, s7, -1
	s_wait_alu 0xfffe
	s_and_saveexec_b32 s9, s8
	s_wait_alu 0xfffe
	s_xor_b32 s8, exec_lo, s9
; %bb.79:                               ;   in Loop: Header=BB105_2 Depth=1
	ds_load_u8 v59, v60 offset:1
                                        ; implicit-def: $vgpr63
; %bb.80:                               ;   in Loop: Header=BB105_2 Depth=1
	s_wait_alu 0xfffe
	s_or_saveexec_b32 s8, s8
	v_mov_b32_e32 v62, v58
	s_wait_alu 0xfffe
	s_xor_b32 exec_lo, exec_lo, s8
	s_cbranch_execz .LBB105_82
; %bb.81:                               ;   in Loop: Header=BB105_2 Depth=1
	ds_load_u8 v62, v63 offset:193
	s_wait_dscnt 0x1
	v_mov_b32_e32 v59, v57
.LBB105_82:                             ;   in Loop: Header=BB105_2 Depth=1
	s_or_b32 exec_lo, exec_lo, s8
	v_add_nc_u32_e32 v63, 1, v60
	v_add_nc_u32_e32 v65, 1, v61
	s_wait_dscnt 0x0
	v_and_b32_e32 v66, 0xff, v59
	s_delay_alu instid0(VALU_DEP_3) | instskip(SKIP_2) | instid1(VALU_DEP_3)
	v_cndmask_b32_e64 v64, v63, v60, s7
	v_and_b32_e32 v63, 0xff, v62
	v_cndmask_b32_e64 v65, v61, v65, s7
	v_cmp_ge_i32_e64 s8, v64, v24
	s_delay_alu instid0(VALU_DEP_3) | instskip(NEXT) | instid1(VALU_DEP_3)
	v_cmp_lt_u16_e64 s9, v63, v66
	v_cmp_lt_i32_e64 s10, v65, v25
                                        ; implicit-def: $vgpr63
	s_or_b32 s8, s8, s9
	s_wait_alu 0xfffe
	s_and_b32 s8, s10, s8
	s_wait_alu 0xfffe
	s_xor_b32 s9, s8, -1
	s_wait_alu 0xfffe
	s_and_saveexec_b32 s10, s9
	s_wait_alu 0xfffe
	s_xor_b32 s9, exec_lo, s10
; %bb.83:                               ;   in Loop: Header=BB105_2 Depth=1
	ds_load_u8 v63, v64 offset:1
; %bb.84:                               ;   in Loop: Header=BB105_2 Depth=1
	s_wait_alu 0xfffe
	s_or_saveexec_b32 s9, s9
	v_mov_b32_e32 v66, v62
	s_wait_alu 0xfffe
	s_xor_b32 exec_lo, exec_lo, s9
	s_cbranch_execz .LBB105_86
; %bb.85:                               ;   in Loop: Header=BB105_2 Depth=1
	ds_load_u8 v66, v65 offset:1
	s_wait_dscnt 0x1
	v_mov_b32_e32 v63, v59
.LBB105_86:                             ;   in Loop: Header=BB105_2 Depth=1
	s_or_b32 exec_lo, exec_lo, s9
	v_add_nc_u32_e32 v67, 1, v64
	v_add_nc_u32_e32 v68, 1, v65
	s_wait_dscnt 0x0
	v_and_b32_e32 v69, 0xff, v63
	v_and_b32_e32 v70, 0xff, v66
	v_cndmask_b32_e64 v60, v60, v61, s7
	v_cndmask_b32_e64 v67, v67, v64, s8
	;; [unrolled: 1-line block ×4, first 2 shown]
	v_cmp_lt_u16_e64 s9, v70, v69
	s_wait_loadcnt 0x0
	v_cmp_ge_i32_e64 s10, v67, v24
	s_barrier_signal -1
	v_cmp_lt_i32_e64 s11, v65, v25
	s_barrier_wait -1
	global_inv scope:SCOPE_SE
	s_or_b32 s9, s10, s9
	ds_store_b8 v1, v54
	ds_store_b8 v1, v56 offset:1
	ds_store_b8 v1, v55 offset:2
	s_wait_alu 0xfffe
	s_and_b32 s9, s11, s9
	s_wait_loadcnt_dscnt 0x0
	s_wait_alu 0xfffe
	v_cndmask_b32_e64 v61, v63, v66, s9
	v_cndmask_b32_e64 v63, v67, v65, s9
	s_barrier_signal -1
	s_barrier_wait -1
	global_inv scope:SCOPE_SE
	ds_load_u8 v54, v60
	ds_load_u8 v55, v63
	;; [unrolled: 1-line block ×3, first 2 shown]
	v_cndmask_b32_e64 v57, v57, v58, s7
	v_cndmask_b32_e64 v59, v59, v62, s8
	s_wait_loadcnt_dscnt 0x0
	s_barrier_signal -1
	s_barrier_wait -1
	global_inv scope:SCOPE_SE
	ds_store_b8 v1, v57
	ds_store_b8 v1, v59 offset:1
	ds_store_b8 v1, v61 offset:2
	v_mov_b32_e32 v57, v3
	s_wait_loadcnt_dscnt 0x0
	s_barrier_signal -1
	s_barrier_wait -1
	global_inv scope:SCOPE_SE
	s_and_saveexec_b32 s8, vcc_lo
	s_cbranch_execz .LBB105_90
; %bb.87:                               ;   in Loop: Header=BB105_2 Depth=1
	v_dual_mov_b32 v57, v3 :: v_dual_mov_b32 v58, v4
	s_mov_b32 s9, 0
.LBB105_88:                             ;   Parent Loop BB105_2 Depth=1
                                        ; =>  This Inner Loop Header: Depth=2
	s_delay_alu instid0(VALU_DEP_1) | instskip(NEXT) | instid1(VALU_DEP_1)
	v_sub_nc_u32_e32 v59, v58, v57
	v_lshrrev_b32_e32 v59, 1, v59
	s_delay_alu instid0(VALU_DEP_1) | instskip(NEXT) | instid1(VALU_DEP_1)
	v_add_nc_u32_e32 v59, v59, v57
	v_xad_u32 v60, v59, -1, v1
	v_add_nc_u32_e32 v62, 1, v59
	ds_load_u8 v61, v59
	ds_load_u8 v60, v60 offset:384
	s_wait_dscnt 0x0
	v_cmp_lt_u16_e64 s7, v60, v61
	s_wait_alu 0xf1ff
	s_delay_alu instid0(VALU_DEP_1) | instskip(SKIP_1) | instid1(VALU_DEP_1)
	v_cndmask_b32_e64 v58, v58, v59, s7
	v_cndmask_b32_e64 v57, v62, v57, s7
	v_cmp_ge_i32_e64 s7, v57, v58
	s_wait_alu 0xfffe
	s_or_b32 s9, s7, s9
	s_wait_alu 0xfffe
	s_and_not1_b32 exec_lo, exec_lo, s9
	s_cbranch_execnz .LBB105_88
; %bb.89:                               ;   in Loop: Header=BB105_2 Depth=1
	s_or_b32 exec_lo, exec_lo, s9
.LBB105_90:                             ;   in Loop: Header=BB105_2 Depth=1
	s_wait_alu 0xfffe
	s_or_b32 exec_lo, exec_lo, s8
	v_sub_nc_u32_e32 v63, v1, v57
	v_sub_nc_u32_e32 v58, v2, v57
	v_cmp_le_i32_e64 s7, 0x180, v57
	ds_load_u8 v59, v57
	ds_load_u8 v60, v63 offset:384
	v_cmp_gt_i32_e64 s9, 0x300, v58
	s_wait_dscnt 0x1
	v_and_b32_e32 v61, 0xff, v59
	s_wait_dscnt 0x0
	v_and_b32_e32 v62, 0xff, v60
	s_delay_alu instid0(VALU_DEP_1)
	v_cmp_lt_u16_e64 s8, v62, v61
                                        ; implicit-def: $vgpr61
	s_or_b32 s7, s7, s8
	s_wait_alu 0xfffe
	s_and_b32 s7, s9, s7
	s_wait_alu 0xfffe
	s_xor_b32 s8, s7, -1
	s_wait_alu 0xfffe
	s_and_saveexec_b32 s9, s8
	s_wait_alu 0xfffe
	s_xor_b32 s8, exec_lo, s9
; %bb.91:                               ;   in Loop: Header=BB105_2 Depth=1
	ds_load_u8 v61, v57 offset:1
                                        ; implicit-def: $vgpr63
; %bb.92:                               ;   in Loop: Header=BB105_2 Depth=1
	s_wait_alu 0xfffe
	s_or_saveexec_b32 s8, s8
	v_mov_b32_e32 v62, v60
	s_wait_alu 0xfffe
	s_xor_b32 exec_lo, exec_lo, s8
	s_cbranch_execz .LBB105_94
; %bb.93:                               ;   in Loop: Header=BB105_2 Depth=1
	ds_load_u8 v62, v63 offset:385
	s_wait_dscnt 0x1
	v_mov_b32_e32 v61, v59
.LBB105_94:                             ;   in Loop: Header=BB105_2 Depth=1
	s_or_b32 exec_lo, exec_lo, s8
	v_add_nc_u32_e32 v63, 1, v57
	v_add_nc_u32_e32 v64, 1, v58
	s_wait_dscnt 0x0
	v_and_b32_e32 v65, 0xff, v61
	v_and_b32_e32 v66, 0xff, v62
	v_cndmask_b32_e64 v68, v63, v57, s7
	v_cndmask_b32_e64 v63, v58, v64, s7
                                        ; implicit-def: $vgpr64
	s_delay_alu instid0(VALU_DEP_3) | instskip(NEXT) | instid1(VALU_DEP_3)
	v_cmp_lt_u16_e64 s9, v66, v65
                                        ; implicit-def: $vgpr66
	v_cmp_le_i32_e64 s8, 0x180, v68
	s_delay_alu instid0(VALU_DEP_3)
	v_cmp_gt_i32_e64 s10, 0x300, v63
	s_or_b32 s8, s8, s9
	s_wait_alu 0xfffe
	s_and_b32 s8, s10, s8
	s_wait_alu 0xfffe
	s_xor_b32 s9, s8, -1
	s_wait_alu 0xfffe
	s_and_saveexec_b32 s10, s9
	s_wait_alu 0xfffe
	s_xor_b32 s9, exec_lo, s10
; %bb.95:                               ;   in Loop: Header=BB105_2 Depth=1
	ds_load_u8 v66, v68 offset:1
	v_add_nc_u32_e32 v64, 1, v68
; %bb.96:                               ;   in Loop: Header=BB105_2 Depth=1
	s_wait_alu 0xfffe
	s_or_saveexec_b32 s9, s9
	v_mov_b32_e32 v65, v68
	v_mov_b32_e32 v67, v62
	s_wait_alu 0xfffe
	s_xor_b32 exec_lo, exec_lo, s9
	s_cbranch_execz .LBB105_1
; %bb.97:                               ;   in Loop: Header=BB105_2 Depth=1
	ds_load_u8 v67, v63 offset:1
	s_wait_dscnt 0x1
	v_dual_mov_b32 v65, v63 :: v_dual_add_nc_u32 v66, 1, v63
	s_delay_alu instid0(VALU_DEP_1)
	v_dual_mov_b32 v64, v68 :: v_dual_mov_b32 v63, v66
	v_mov_b32_e32 v66, v61
	s_branch .LBB105_1
.LBB105_98:
	s_add_nc_u64 s[0:1], s[14:15], s[16:17]
	s_wait_dscnt 0x2
	v_add_nc_u16 v2, v60, v56
	s_wait_alu 0xfffe
	v_add_co_u32 v0, s0, s0, v0
	s_wait_alu 0xf1ff
	v_add_co_ci_u32_e64 v1, null, s1, 0, s0
	s_wait_dscnt 0x1
	v_add_nc_u16 v3, v59, v55
	s_wait_dscnt 0x0
	v_add_nc_u16 v4, v57, v54
	s_clause 0x2
	global_store_b8 v[0:1], v2, off
	global_store_b8 v[0:1], v3, off offset:256
	global_store_b8 v[0:1], v4, off offset:512
	s_endpgm
	.section	.rodata,"a",@progbits
	.p2align	6, 0x0
	.amdhsa_kernel _Z17sort_pairs_kernelIhLj256ELj3EN10test_utils4lessELj10EEvPKT_PS2_T2_
		.amdhsa_group_segment_fixed_size 769
		.amdhsa_private_segment_fixed_size 0
		.amdhsa_kernarg_size 20
		.amdhsa_user_sgpr_count 2
		.amdhsa_user_sgpr_dispatch_ptr 0
		.amdhsa_user_sgpr_queue_ptr 0
		.amdhsa_user_sgpr_kernarg_segment_ptr 1
		.amdhsa_user_sgpr_dispatch_id 0
		.amdhsa_user_sgpr_private_segment_size 0
		.amdhsa_wavefront_size32 1
		.amdhsa_uses_dynamic_stack 0
		.amdhsa_enable_private_segment 0
		.amdhsa_system_sgpr_workgroup_id_x 1
		.amdhsa_system_sgpr_workgroup_id_y 0
		.amdhsa_system_sgpr_workgroup_id_z 0
		.amdhsa_system_sgpr_workgroup_info 0
		.amdhsa_system_vgpr_workitem_id 0
		.amdhsa_next_free_vgpr 72
		.amdhsa_next_free_sgpr 19
		.amdhsa_reserve_vcc 1
		.amdhsa_float_round_mode_32 0
		.amdhsa_float_round_mode_16_64 0
		.amdhsa_float_denorm_mode_32 3
		.amdhsa_float_denorm_mode_16_64 3
		.amdhsa_fp16_overflow 0
		.amdhsa_workgroup_processor_mode 1
		.amdhsa_memory_ordered 1
		.amdhsa_forward_progress 1
		.amdhsa_inst_pref_size 62
		.amdhsa_round_robin_scheduling 0
		.amdhsa_exception_fp_ieee_invalid_op 0
		.amdhsa_exception_fp_denorm_src 0
		.amdhsa_exception_fp_ieee_div_zero 0
		.amdhsa_exception_fp_ieee_overflow 0
		.amdhsa_exception_fp_ieee_underflow 0
		.amdhsa_exception_fp_ieee_inexact 0
		.amdhsa_exception_int_div_zero 0
	.end_amdhsa_kernel
	.section	.text._Z17sort_pairs_kernelIhLj256ELj3EN10test_utils4lessELj10EEvPKT_PS2_T2_,"axG",@progbits,_Z17sort_pairs_kernelIhLj256ELj3EN10test_utils4lessELj10EEvPKT_PS2_T2_,comdat
.Lfunc_end105:
	.size	_Z17sort_pairs_kernelIhLj256ELj3EN10test_utils4lessELj10EEvPKT_PS2_T2_, .Lfunc_end105-_Z17sort_pairs_kernelIhLj256ELj3EN10test_utils4lessELj10EEvPKT_PS2_T2_
                                        ; -- End function
	.set _Z17sort_pairs_kernelIhLj256ELj3EN10test_utils4lessELj10EEvPKT_PS2_T2_.num_vgpr, 72
	.set _Z17sort_pairs_kernelIhLj256ELj3EN10test_utils4lessELj10EEvPKT_PS2_T2_.num_agpr, 0
	.set _Z17sort_pairs_kernelIhLj256ELj3EN10test_utils4lessELj10EEvPKT_PS2_T2_.numbered_sgpr, 19
	.set _Z17sort_pairs_kernelIhLj256ELj3EN10test_utils4lessELj10EEvPKT_PS2_T2_.num_named_barrier, 0
	.set _Z17sort_pairs_kernelIhLj256ELj3EN10test_utils4lessELj10EEvPKT_PS2_T2_.private_seg_size, 0
	.set _Z17sort_pairs_kernelIhLj256ELj3EN10test_utils4lessELj10EEvPKT_PS2_T2_.uses_vcc, 1
	.set _Z17sort_pairs_kernelIhLj256ELj3EN10test_utils4lessELj10EEvPKT_PS2_T2_.uses_flat_scratch, 0
	.set _Z17sort_pairs_kernelIhLj256ELj3EN10test_utils4lessELj10EEvPKT_PS2_T2_.has_dyn_sized_stack, 0
	.set _Z17sort_pairs_kernelIhLj256ELj3EN10test_utils4lessELj10EEvPKT_PS2_T2_.has_recursion, 0
	.set _Z17sort_pairs_kernelIhLj256ELj3EN10test_utils4lessELj10EEvPKT_PS2_T2_.has_indirect_call, 0
	.section	.AMDGPU.csdata,"",@progbits
; Kernel info:
; codeLenInByte = 7816
; TotalNumSgprs: 21
; NumVgprs: 72
; ScratchSize: 0
; MemoryBound: 0
; FloatMode: 240
; IeeeMode: 1
; LDSByteSize: 769 bytes/workgroup (compile time only)
; SGPRBlocks: 0
; VGPRBlocks: 8
; NumSGPRsForWavesPerEU: 21
; NumVGPRsForWavesPerEU: 72
; Occupancy: 16
; WaveLimiterHint : 1
; COMPUTE_PGM_RSRC2:SCRATCH_EN: 0
; COMPUTE_PGM_RSRC2:USER_SGPR: 2
; COMPUTE_PGM_RSRC2:TRAP_HANDLER: 0
; COMPUTE_PGM_RSRC2:TGID_X_EN: 1
; COMPUTE_PGM_RSRC2:TGID_Y_EN: 0
; COMPUTE_PGM_RSRC2:TGID_Z_EN: 0
; COMPUTE_PGM_RSRC2:TIDIG_COMP_CNT: 0
	.section	.text._Z16sort_keys_kernelIhLj256ELj4EN10test_utils4lessELj10EEvPKT_PS2_T2_,"axG",@progbits,_Z16sort_keys_kernelIhLj256ELj4EN10test_utils4lessELj10EEvPKT_PS2_T2_,comdat
	.protected	_Z16sort_keys_kernelIhLj256ELj4EN10test_utils4lessELj10EEvPKT_PS2_T2_ ; -- Begin function _Z16sort_keys_kernelIhLj256ELj4EN10test_utils4lessELj10EEvPKT_PS2_T2_
	.globl	_Z16sort_keys_kernelIhLj256ELj4EN10test_utils4lessELj10EEvPKT_PS2_T2_
	.p2align	8
	.type	_Z16sort_keys_kernelIhLj256ELj4EN10test_utils4lessELj10EEvPKT_PS2_T2_,@function
_Z16sort_keys_kernelIhLj256ELj4EN10test_utils4lessELj10EEvPKT_PS2_T2_: ; @_Z16sort_keys_kernelIhLj256ELj4EN10test_utils4lessELj10EEvPKT_PS2_T2_
; %bb.0:
	s_load_b128 s[12:15], s[0:1], 0x0
	s_lshl_b32 s16, ttmp9, 10
	s_mov_b32 s17, 0
	v_lshlrev_b32_e32 v1, 2, v0
	s_delay_alu instid0(VALU_DEP_1)
	v_and_b32_e32 v2, 0x3f8, v1
	v_and_b32_e32 v3, 0x3f0, v1
	;; [unrolled: 1-line block ×5, first 2 shown]
	v_or_b32_e32 v11, 4, v2
	v_add_nc_u32_e32 v12, 8, v2
	v_or_b32_e32 v13, 8, v3
	v_add_nc_u32_e32 v14, 16, v3
	v_and_b32_e32 v5, 0x3c0, v1
	v_or_b32_e32 v15, 16, v4
	v_sub_nc_u32_e32 v50, v12, v11
	s_wait_kmcnt 0x0
	s_add_nc_u64 s[0:1], s[12:13], s[16:17]
	v_add_nc_u32_e32 v16, 32, v4
	s_clause 0x3
	global_load_u8 v46, v0, s[0:1] offset:256
	global_load_u8 v47, v0, s[0:1] offset:512
	global_load_u8 v48, v0, s[0:1]
	global_load_u8 v49, v0, s[0:1] offset:768
	v_sub_nc_u32_e32 v32, v11, v2
	v_sub_nc_u32_e32 v51, v14, v13
	;; [unrolled: 1-line block ×3, first 2 shown]
	v_cmp_ge_i32_e64 s0, v39, v50
	v_and_b32_e32 v41, 28, v1
	v_and_b32_e32 v6, 0x380, v1
	v_or_b32_e32 v17, 32, v5
	v_add_nc_u32_e32 v18, 64, v5
	v_add_nc_u32_e32 v25, v11, v39
	v_sub_nc_u32_e32 v33, v13, v3
	v_sub_nc_u32_e32 v52, v16, v15
	v_min_i32_e32 v32, v39, v32
	v_sub_nc_u32_e32 v58, v40, v51
	v_cndmask_b32_e64 v39, 0, v57, s0
	v_cmp_ge_i32_e64 s0, v40, v51
	v_and_b32_e32 v42, 60, v1
	v_and_b32_e32 v7, 0x300, v1
	v_or_b32_e32 v19, 64, v6
	v_add_nc_u32_e32 v20, 0x80, v6
	v_add_nc_u32_e32 v26, v13, v40
	v_sub_nc_u32_e32 v34, v15, v4
	v_sub_nc_u32_e32 v53, v18, v17
	v_min_i32_e32 v33, v40, v33
	v_sub_nc_u32_e32 v59, v41, v52
	s_wait_alu 0xf1ff
	v_cndmask_b32_e64 v40, 0, v58, s0
	v_cmp_ge_i32_e64 s0, v41, v52
	v_and_b32_e32 v43, 0x7c, v1
	v_and_b32_e32 v8, 0x200, v1
	v_or_b32_e32 v21, 0x80, v7
	v_add_nc_u32_e32 v22, 0x100, v7
	v_add_nc_u32_e32 v27, v15, v41
	v_sub_nc_u32_e32 v35, v17, v5
	v_sub_nc_u32_e32 v54, v20, v19
	v_min_i32_e32 v34, v41, v34
	v_sub_nc_u32_e32 v60, v42, v53
	s_wait_alu 0xf1ff
	v_cndmask_b32_e64 v41, 0, v59, s0
	v_cmp_ge_i32_e64 s0, v42, v53
	v_and_b32_e32 v44, 0xfc, v1
	v_or_b32_e32 v23, 0x100, v8
	v_add_nc_u32_e32 v24, 0x200, v8
	v_add_nc_u32_e32 v28, v17, v42
	v_sub_nc_u32_e32 v36, v19, v6
	v_sub_nc_u32_e32 v55, v22, v21
	v_min_i32_e32 v35, v42, v35
	v_sub_nc_u32_e32 v61, v43, v54
	s_wait_alu 0xf1ff
	v_cndmask_b32_e64 v42, 0, v60, s0
	v_cmp_ge_i32_e64 s0, v43, v54
	v_and_b32_e32 v45, 0x1fc, v1
	v_add_nc_u32_e32 v29, v19, v43
	v_sub_nc_u32_e32 v37, v21, v7
	v_sub_nc_u32_e32 v56, v24, v23
	v_min_i32_e32 v36, v43, v36
	v_sub_nc_u32_e32 v62, v44, v55
	s_wait_alu 0xf1ff
	v_cndmask_b32_e64 v43, 0, v61, s0
	v_cmp_ge_i32_e64 s0, v44, v55
	v_add_nc_u32_e32 v30, v21, v44
	v_sub_nc_u32_e32 v38, v23, v8
	v_min_i32_e32 v37, v44, v37
	v_sub_nc_u32_e32 v63, v45, v56
	s_wait_alu 0xf1ff
	v_cndmask_b32_e64 v44, 0, v62, s0
	v_cmp_ge_i32_e64 s0, v45, v56
	v_add_nc_u32_e32 v31, v23, v45
	v_min_i32_e32 v38, v45, v38
	v_subrev_nc_u32_e64 v9, 0x200, v1 clamp
	v_min_i32_e32 v10, 0x200, v1
	s_wait_alu 0xf1ff
	v_cndmask_b32_e64 v45, 0, v63, s0
	v_cmp_lt_i32_e64 s0, v39, v32
	v_cmp_lt_i32_e64 s1, v40, v33
	;; [unrolled: 1-line block ×7, first 2 shown]
	s_mov_b32 s13, s17
	v_cmp_lt_i32_e32 vcc_lo, v9, v10
	s_wait_loadcnt 0x1
	v_perm_b32 v46, v48, v46, 0xc0c0004
	s_wait_loadcnt 0x0
	v_perm_b32 v47, v47, v49, 0xc0c0004
	s_delay_alu instid0(VALU_DEP_1)
	v_lshl_or_b32 v51, v47, 16, v46
	v_add_nc_u32_e32 v46, 0x200, v1
	s_branch .LBB106_2
.LBB106_1:                              ;   in Loop: Header=BB106_2 Depth=1
	s_or_b32 exec_lo, exec_lo, s10
	s_wait_dscnt 0x0
	v_and_b32_e32 v56, 0xff, v54
	v_and_b32_e32 v58, 0xff, v57
	v_cmp_le_i32_e64 s10, 0x200, v55
	v_cmp_gt_i32_e64 s12, 0x400, v53
	v_cndmask_b32_e64 v47, v47, v48, s7
	v_cndmask_b32_e64 v48, v49, v50, s8
	v_cmp_lt_u16_e64 s11, v58, v56
	v_cndmask_b32_e64 v49, v51, v52, s9
	s_add_co_i32 s13, s13, 1
	v_and_b32_e32 v52, 0xff, v47
	v_lshlrev_b16 v51, 8, v48
	s_or_b32 s7, s10, s11
	v_and_b32_e32 v53, 0xff, v49
	s_wait_alu 0xfffe
	s_and_b32 s7, s12, s7
	s_cmp_eq_u32 s13, 10
	s_wait_alu 0xfffe
	v_cndmask_b32_e64 v50, v54, v57, s7
	v_or_b32_e32 v51, v52, v51
	s_delay_alu instid0(VALU_DEP_2) | instskip(NEXT) | instid1(VALU_DEP_2)
	v_lshlrev_b16 v54, 8, v50
	v_and_b32_e32 v51, 0xffff, v51
	s_delay_alu instid0(VALU_DEP_2) | instskip(NEXT) | instid1(VALU_DEP_1)
	v_or_b32_e32 v52, v53, v54
	v_lshlrev_b32_e32 v52, 16, v52
	s_delay_alu instid0(VALU_DEP_1)
	v_or_b32_e32 v51, v51, v52
	s_cbranch_scc1 .LBB106_130
.LBB106_2:                              ; =>This Loop Header: Depth=1
                                        ;     Child Loop BB106_4 Depth 2
                                        ;     Child Loop BB106_20 Depth 2
                                        ;     Child Loop BB106_36 Depth 2
                                        ;     Child Loop BB106_52 Depth 2
                                        ;     Child Loop BB106_68 Depth 2
                                        ;     Child Loop BB106_84 Depth 2
                                        ;     Child Loop BB106_100 Depth 2
                                        ;     Child Loop BB106_116 Depth 2
	s_delay_alu instid0(VALU_DEP_1) | instskip(SKIP_3) | instid1(VALU_DEP_3)
	v_lshrrev_b32_e32 v47, 8, v51
	v_and_b32_e32 v48, 0xff, v51
	v_perm_b32 v49, v51, v51, 0x7060405
	s_barrier_signal -1
	v_and_b32_e32 v47, 0xff, v47
	s_barrier_wait -1
	global_inv scope:SCOPE_SE
	v_cmp_lt_u16_e64 s7, v47, v48
	v_max_u16 v54, v47, v48
	v_min_u16 v47, v47, v48
	s_wait_alu 0xf1ff
	s_delay_alu instid0(VALU_DEP_3) | instskip(NEXT) | instid1(VALU_DEP_1)
	v_cndmask_b32_e64 v49, v51, v49, s7
	v_lshrrev_b32_e32 v50, 16, v49
	v_lshrrev_b32_e32 v52, 24, v49
	s_delay_alu instid0(VALU_DEP_2) | instskip(SKIP_1) | instid1(VALU_DEP_2)
	v_perm_b32 v51, 0, v50, 0xc0c0001
	v_and_b32_e32 v50, 0xff, v50
	v_lshlrev_b32_e32 v51, 16, v51
	s_delay_alu instid0(VALU_DEP_2) | instskip(NEXT) | instid1(VALU_DEP_2)
	v_cmp_lt_u16_e64 s7, v52, v50
	v_and_or_b32 v51, 0xffff, v49, v51
	s_wait_alu 0xf1ff
	s_delay_alu instid0(VALU_DEP_1) | instskip(SKIP_2) | instid1(VALU_DEP_3)
	v_cndmask_b32_e64 v49, v49, v51, s7
	v_min_u16 v51, v52, v50
	v_max_u16 v50, v52, v50
	v_lshrrev_b32_e32 v53, 16, v49
	s_delay_alu instid0(VALU_DEP_3)
	v_lshlrev_b16 v55, 8, v51
	v_and_b32_e32 v56, 0xff, v49
	v_max_u16 v57, v51, v54
	v_cmp_lt_u16_e64 s7, v51, v54
	v_and_b32_e32 v53, 0xffffff00, v53
	v_cmp_gt_u16_e64 s8, v54, v50
	v_or_b32_e32 v48, v56, v55
	v_lshlrev_b16 v55, 8, v47
	v_min_u16 v56, v51, v54
	v_or_b32_e32 v53, v54, v53
	v_lshlrev_b16 v52, 8, v57
	v_and_b32_e32 v48, 0xffff, v48
	s_delay_alu instid0(VALU_DEP_4) | instskip(NEXT) | instid1(VALU_DEP_4)
	v_or_b32_e32 v55, v56, v55
	v_lshlrev_b32_e32 v53, 16, v53
	s_delay_alu instid0(VALU_DEP_1) | instskip(NEXT) | instid1(VALU_DEP_3)
	v_or_b32_e32 v48, v48, v53
	v_and_b32_e32 v53, 0xffff, v55
	s_wait_alu 0xf1ff
	s_delay_alu instid0(VALU_DEP_2) | instskip(SKIP_2) | instid1(VALU_DEP_3)
	v_cndmask_b32_e64 v48, v49, v48, s7
	v_or_b32_e32 v49, v50, v52
	v_cmp_lt_u16_e64 s7, v51, v47
	v_and_or_b32 v52, 0xffff0000, v48, v53
	s_delay_alu instid0(VALU_DEP_3) | instskip(SKIP_1) | instid1(VALU_DEP_3)
	v_lshlrev_b32_e32 v49, 16, v49
	s_wait_alu 0xf1ff
	v_cndmask_b32_e64 v47, v56, v47, s7
	s_delay_alu instid0(VALU_DEP_3) | instskip(NEXT) | instid1(VALU_DEP_1)
	v_cndmask_b32_e64 v48, v48, v52, s7
	v_and_or_b32 v49, 0xffff, v48, v49
	s_delay_alu instid0(VALU_DEP_1) | instskip(SKIP_1) | instid1(VALU_DEP_2)
	v_cndmask_b32_e64 v48, v48, v49, s8
	v_cndmask_b32_e64 v49, v57, v50, s8
	v_lshrrev_b32_e32 v50, 16, v48
	v_and_b32_e32 v51, 0xff, v48
	s_delay_alu instid0(VALU_DEP_3) | instskip(SKIP_1) | instid1(VALU_DEP_4)
	v_lshlrev_b16 v52, 8, v49
	v_cmp_lt_u16_e64 s7, v49, v47
	v_and_b32_e32 v50, 0xffffff00, v50
	s_delay_alu instid0(VALU_DEP_3) | instskip(NEXT) | instid1(VALU_DEP_2)
	v_or_b32_e32 v51, v51, v52
	v_or_b32_e32 v50, v47, v50
	v_mov_b32_e32 v47, v39
	s_delay_alu instid0(VALU_DEP_3) | instskip(NEXT) | instid1(VALU_DEP_3)
	v_and_b32_e32 v51, 0xffff, v51
	v_lshlrev_b32_e32 v50, 16, v50
	s_delay_alu instid0(VALU_DEP_1) | instskip(SKIP_1) | instid1(VALU_DEP_1)
	v_or_b32_e32 v50, v51, v50
	s_wait_alu 0xf1ff
	v_cndmask_b32_e64 v48, v48, v50, s7
	ds_store_b32 v1, v48
	s_wait_loadcnt_dscnt 0x0
	s_barrier_signal -1
	s_barrier_wait -1
	global_inv scope:SCOPE_SE
	s_and_saveexec_b32 s8, s0
	s_cbranch_execz .LBB106_6
; %bb.3:                                ;   in Loop: Header=BB106_2 Depth=1
	v_dual_mov_b32 v47, v39 :: v_dual_mov_b32 v48, v32
	s_mov_b32 s9, 0
.LBB106_4:                              ;   Parent Loop BB106_2 Depth=1
                                        ; =>  This Inner Loop Header: Depth=2
	s_delay_alu instid0(VALU_DEP_1) | instskip(NEXT) | instid1(VALU_DEP_1)
	v_sub_nc_u32_e32 v49, v48, v47
	v_lshrrev_b32_e32 v49, 1, v49
	s_delay_alu instid0(VALU_DEP_1) | instskip(NEXT) | instid1(VALU_DEP_1)
	v_add_nc_u32_e32 v49, v49, v47
	v_add_nc_u32_e32 v50, v2, v49
	v_xad_u32 v51, v49, -1, v25
	v_add_nc_u32_e32 v52, 1, v49
	ds_load_u8 v50, v50
	ds_load_u8 v51, v51
	s_wait_dscnt 0x0
	v_cmp_lt_u16_e64 s7, v51, v50
	s_wait_alu 0xf1ff
	s_delay_alu instid0(VALU_DEP_1) | instskip(SKIP_1) | instid1(VALU_DEP_1)
	v_cndmask_b32_e64 v48, v48, v49, s7
	v_cndmask_b32_e64 v47, v52, v47, s7
	v_cmp_ge_i32_e64 s7, v47, v48
	s_wait_alu 0xfffe
	s_or_b32 s9, s7, s9
	s_wait_alu 0xfffe
	s_and_not1_b32 exec_lo, exec_lo, s9
	s_cbranch_execnz .LBB106_4
; %bb.5:                                ;   in Loop: Header=BB106_2 Depth=1
	s_or_b32 exec_lo, exec_lo, s9
.LBB106_6:                              ;   in Loop: Header=BB106_2 Depth=1
	s_wait_alu 0xfffe
	s_or_b32 exec_lo, exec_lo, s8
	v_add_nc_u32_e32 v52, v47, v2
	v_sub_nc_u32_e32 v51, v25, v47
	ds_load_u8 v47, v52
	ds_load_u8 v48, v51
	v_cmp_le_i32_e64 s7, v11, v52
	v_cmp_gt_i32_e64 s9, v12, v51
	s_wait_dscnt 0x1
	v_and_b32_e32 v49, 0xff, v47
	s_wait_dscnt 0x0
	v_and_b32_e32 v50, 0xff, v48
	s_delay_alu instid0(VALU_DEP_1)
	v_cmp_lt_u16_e64 s8, v50, v49
                                        ; implicit-def: $vgpr49
	s_or_b32 s7, s7, s8
	s_wait_alu 0xfffe
	s_and_b32 s7, s9, s7
	s_wait_alu 0xfffe
	s_xor_b32 s8, s7, -1
	s_wait_alu 0xfffe
	s_and_saveexec_b32 s9, s8
	s_wait_alu 0xfffe
	s_xor_b32 s8, exec_lo, s9
; %bb.7:                                ;   in Loop: Header=BB106_2 Depth=1
	ds_load_u8 v49, v52 offset:1
; %bb.8:                                ;   in Loop: Header=BB106_2 Depth=1
	s_wait_alu 0xfffe
	s_or_saveexec_b32 s8, s8
	v_mov_b32_e32 v50, v48
	s_wait_alu 0xfffe
	s_xor_b32 exec_lo, exec_lo, s8
	s_cbranch_execz .LBB106_10
; %bb.9:                                ;   in Loop: Header=BB106_2 Depth=1
	ds_load_u8 v50, v51 offset:1
	s_wait_dscnt 0x1
	v_mov_b32_e32 v49, v47
.LBB106_10:                             ;   in Loop: Header=BB106_2 Depth=1
	s_or_b32 exec_lo, exec_lo, s8
	v_add_nc_u32_e32 v53, 1, v52
	v_add_nc_u32_e32 v55, 1, v51
	s_wait_dscnt 0x0
	v_and_b32_e32 v56, 0xff, v49
	s_delay_alu instid0(VALU_DEP_3) | instskip(SKIP_2) | instid1(VALU_DEP_3)
	v_cndmask_b32_e64 v54, v53, v52, s7
	v_and_b32_e32 v52, 0xff, v50
	v_cndmask_b32_e64 v53, v51, v55, s7
                                        ; implicit-def: $vgpr51
	v_cmp_ge_i32_e64 s8, v54, v11
	s_delay_alu instid0(VALU_DEP_3) | instskip(NEXT) | instid1(VALU_DEP_3)
	v_cmp_lt_u16_e64 s9, v52, v56
	v_cmp_lt_i32_e64 s10, v53, v12
	s_or_b32 s8, s8, s9
	s_wait_alu 0xfffe
	s_and_b32 s8, s10, s8
	s_wait_alu 0xfffe
	s_xor_b32 s9, s8, -1
	s_wait_alu 0xfffe
	s_and_saveexec_b32 s10, s9
	s_delay_alu instid0(SALU_CYCLE_1)
	s_xor_b32 s9, exec_lo, s10
; %bb.11:                               ;   in Loop: Header=BB106_2 Depth=1
	ds_load_u8 v51, v54 offset:1
; %bb.12:                               ;   in Loop: Header=BB106_2 Depth=1
	s_wait_alu 0xfffe
	s_or_saveexec_b32 s9, s9
	v_mov_b32_e32 v52, v50
	s_wait_alu 0xfffe
	s_xor_b32 exec_lo, exec_lo, s9
	s_cbranch_execz .LBB106_14
; %bb.13:                               ;   in Loop: Header=BB106_2 Depth=1
	ds_load_u8 v52, v53 offset:1
	s_wait_dscnt 0x1
	v_mov_b32_e32 v51, v49
.LBB106_14:                             ;   in Loop: Header=BB106_2 Depth=1
	s_or_b32 exec_lo, exec_lo, s9
	v_add_nc_u32_e32 v55, 1, v54
	v_add_nc_u32_e32 v56, 1, v53
	s_wait_dscnt 0x0
	v_and_b32_e32 v57, 0xff, v51
	v_and_b32_e32 v58, 0xff, v52
	v_cndmask_b32_e64 v55, v55, v54, s8
	v_cndmask_b32_e64 v54, v53, v56, s8
                                        ; implicit-def: $vgpr53
	s_delay_alu instid0(VALU_DEP_3) | instskip(NEXT) | instid1(VALU_DEP_3)
	v_cmp_lt_u16_e64 s10, v58, v57
	v_cmp_ge_i32_e64 s9, v55, v11
	s_delay_alu instid0(VALU_DEP_3)
	v_cmp_lt_i32_e64 s11, v54, v12
	s_or_b32 s9, s9, s10
	s_wait_alu 0xfffe
	s_and_b32 s9, s11, s9
	s_wait_alu 0xfffe
	s_xor_b32 s10, s9, -1
	s_delay_alu instid0(SALU_CYCLE_1) | instskip(NEXT) | instid1(SALU_CYCLE_1)
	s_and_saveexec_b32 s11, s10
	s_xor_b32 s10, exec_lo, s11
; %bb.15:                               ;   in Loop: Header=BB106_2 Depth=1
	ds_load_u8 v53, v55 offset:1
; %bb.16:                               ;   in Loop: Header=BB106_2 Depth=1
	s_or_saveexec_b32 s10, s10
	v_mov_b32_e32 v56, v52
	s_xor_b32 exec_lo, exec_lo, s10
	s_cbranch_execz .LBB106_18
; %bb.17:                               ;   in Loop: Header=BB106_2 Depth=1
	ds_load_u8 v56, v54 offset:1
	s_wait_dscnt 0x1
	v_mov_b32_e32 v53, v51
.LBB106_18:                             ;   in Loop: Header=BB106_2 Depth=1
	s_or_b32 exec_lo, exec_lo, s10
	v_add_nc_u32_e32 v57, 1, v55
	v_add_nc_u32_e32 v58, 1, v54
	s_wait_dscnt 0x0
	v_and_b32_e32 v59, 0xff, v53
	v_and_b32_e32 v60, 0xff, v56
	v_cndmask_b32_e64 v51, v51, v52, s9
	v_cndmask_b32_e64 v55, v57, v55, s9
	;; [unrolled: 1-line block ×4, first 2 shown]
	v_cmp_lt_u16_e64 s8, v60, v59
	v_cndmask_b32_e64 v47, v47, v48, s7
	v_cmp_ge_i32_e64 s9, v55, v11
	v_cmp_lt_i32_e64 s7, v52, v12
	s_wait_loadcnt 0x0
	s_barrier_signal -1
	s_barrier_wait -1
	s_or_b32 s8, s9, s8
	global_inv scope:SCOPE_SE
	s_wait_alu 0xfffe
	s_and_b32 s7, s7, s8
	s_wait_alu 0xfffe
	v_cndmask_b32_e64 v48, v53, v56, s7
	ds_store_b8 v1, v47
	ds_store_b8 v1, v49 offset:1
	ds_store_b8 v1, v51 offset:2
	;; [unrolled: 1-line block ×3, first 2 shown]
	v_mov_b32_e32 v47, v40
	s_wait_loadcnt_dscnt 0x0
	s_barrier_signal -1
	s_barrier_wait -1
	global_inv scope:SCOPE_SE
	s_and_saveexec_b32 s8, s1
	s_cbranch_execz .LBB106_22
; %bb.19:                               ;   in Loop: Header=BB106_2 Depth=1
	v_dual_mov_b32 v47, v40 :: v_dual_mov_b32 v48, v33
	s_mov_b32 s9, 0
.LBB106_20:                             ;   Parent Loop BB106_2 Depth=1
                                        ; =>  This Inner Loop Header: Depth=2
	s_delay_alu instid0(VALU_DEP_1) | instskip(NEXT) | instid1(VALU_DEP_1)
	v_sub_nc_u32_e32 v49, v48, v47
	v_lshrrev_b32_e32 v49, 1, v49
	s_delay_alu instid0(VALU_DEP_1) | instskip(NEXT) | instid1(VALU_DEP_1)
	v_add_nc_u32_e32 v49, v49, v47
	v_add_nc_u32_e32 v50, v3, v49
	v_xad_u32 v51, v49, -1, v26
	v_add_nc_u32_e32 v52, 1, v49
	ds_load_u8 v50, v50
	ds_load_u8 v51, v51
	s_wait_dscnt 0x0
	v_cmp_lt_u16_e64 s7, v51, v50
	s_wait_alu 0xf1ff
	s_delay_alu instid0(VALU_DEP_1) | instskip(SKIP_1) | instid1(VALU_DEP_1)
	v_cndmask_b32_e64 v48, v48, v49, s7
	v_cndmask_b32_e64 v47, v52, v47, s7
	v_cmp_ge_i32_e64 s7, v47, v48
	s_wait_alu 0xfffe
	s_or_b32 s9, s7, s9
	s_wait_alu 0xfffe
	s_and_not1_b32 exec_lo, exec_lo, s9
	s_cbranch_execnz .LBB106_20
; %bb.21:                               ;   in Loop: Header=BB106_2 Depth=1
	s_or_b32 exec_lo, exec_lo, s9
.LBB106_22:                             ;   in Loop: Header=BB106_2 Depth=1
	s_wait_alu 0xfffe
	s_or_b32 exec_lo, exec_lo, s8
	v_add_nc_u32_e32 v52, v47, v3
	v_sub_nc_u32_e32 v51, v26, v47
	ds_load_u8 v47, v52
	ds_load_u8 v48, v51
	v_cmp_le_i32_e64 s7, v13, v52
	v_cmp_gt_i32_e64 s9, v14, v51
	s_wait_dscnt 0x1
	v_and_b32_e32 v49, 0xff, v47
	s_wait_dscnt 0x0
	v_and_b32_e32 v50, 0xff, v48
	s_delay_alu instid0(VALU_DEP_1)
	v_cmp_lt_u16_e64 s8, v50, v49
                                        ; implicit-def: $vgpr49
	s_or_b32 s7, s7, s8
	s_wait_alu 0xfffe
	s_and_b32 s7, s9, s7
	s_wait_alu 0xfffe
	s_xor_b32 s8, s7, -1
	s_wait_alu 0xfffe
	s_and_saveexec_b32 s9, s8
	s_wait_alu 0xfffe
	s_xor_b32 s8, exec_lo, s9
; %bb.23:                               ;   in Loop: Header=BB106_2 Depth=1
	ds_load_u8 v49, v52 offset:1
; %bb.24:                               ;   in Loop: Header=BB106_2 Depth=1
	s_wait_alu 0xfffe
	s_or_saveexec_b32 s8, s8
	v_mov_b32_e32 v50, v48
	s_wait_alu 0xfffe
	s_xor_b32 exec_lo, exec_lo, s8
	s_cbranch_execz .LBB106_26
; %bb.25:                               ;   in Loop: Header=BB106_2 Depth=1
	ds_load_u8 v50, v51 offset:1
	s_wait_dscnt 0x1
	v_mov_b32_e32 v49, v47
.LBB106_26:                             ;   in Loop: Header=BB106_2 Depth=1
	s_or_b32 exec_lo, exec_lo, s8
	v_add_nc_u32_e32 v53, 1, v52
	v_add_nc_u32_e32 v55, 1, v51
	s_wait_dscnt 0x0
	v_and_b32_e32 v56, 0xff, v49
	s_delay_alu instid0(VALU_DEP_3) | instskip(SKIP_2) | instid1(VALU_DEP_3)
	v_cndmask_b32_e64 v54, v53, v52, s7
	v_and_b32_e32 v52, 0xff, v50
	v_cndmask_b32_e64 v53, v51, v55, s7
                                        ; implicit-def: $vgpr51
	v_cmp_ge_i32_e64 s8, v54, v13
	s_delay_alu instid0(VALU_DEP_3) | instskip(NEXT) | instid1(VALU_DEP_3)
	v_cmp_lt_u16_e64 s9, v52, v56
	v_cmp_lt_i32_e64 s10, v53, v14
	s_or_b32 s8, s8, s9
	s_wait_alu 0xfffe
	s_and_b32 s8, s10, s8
	s_wait_alu 0xfffe
	s_xor_b32 s9, s8, -1
	s_wait_alu 0xfffe
	s_and_saveexec_b32 s10, s9
	s_delay_alu instid0(SALU_CYCLE_1)
	s_xor_b32 s9, exec_lo, s10
; %bb.27:                               ;   in Loop: Header=BB106_2 Depth=1
	ds_load_u8 v51, v54 offset:1
; %bb.28:                               ;   in Loop: Header=BB106_2 Depth=1
	s_wait_alu 0xfffe
	s_or_saveexec_b32 s9, s9
	v_mov_b32_e32 v52, v50
	s_wait_alu 0xfffe
	s_xor_b32 exec_lo, exec_lo, s9
	s_cbranch_execz .LBB106_30
; %bb.29:                               ;   in Loop: Header=BB106_2 Depth=1
	ds_load_u8 v52, v53 offset:1
	s_wait_dscnt 0x1
	v_mov_b32_e32 v51, v49
.LBB106_30:                             ;   in Loop: Header=BB106_2 Depth=1
	s_or_b32 exec_lo, exec_lo, s9
	v_add_nc_u32_e32 v55, 1, v54
	v_add_nc_u32_e32 v56, 1, v53
	s_wait_dscnt 0x0
	v_and_b32_e32 v57, 0xff, v51
	v_and_b32_e32 v58, 0xff, v52
	v_cndmask_b32_e64 v55, v55, v54, s8
	v_cndmask_b32_e64 v54, v53, v56, s8
                                        ; implicit-def: $vgpr53
	s_delay_alu instid0(VALU_DEP_3) | instskip(NEXT) | instid1(VALU_DEP_3)
	v_cmp_lt_u16_e64 s10, v58, v57
	v_cmp_ge_i32_e64 s9, v55, v13
	s_delay_alu instid0(VALU_DEP_3)
	v_cmp_lt_i32_e64 s11, v54, v14
	s_or_b32 s9, s9, s10
	s_wait_alu 0xfffe
	s_and_b32 s9, s11, s9
	s_wait_alu 0xfffe
	s_xor_b32 s10, s9, -1
	s_delay_alu instid0(SALU_CYCLE_1) | instskip(NEXT) | instid1(SALU_CYCLE_1)
	s_and_saveexec_b32 s11, s10
	s_xor_b32 s10, exec_lo, s11
; %bb.31:                               ;   in Loop: Header=BB106_2 Depth=1
	ds_load_u8 v53, v55 offset:1
; %bb.32:                               ;   in Loop: Header=BB106_2 Depth=1
	s_or_saveexec_b32 s10, s10
	v_mov_b32_e32 v56, v52
	s_xor_b32 exec_lo, exec_lo, s10
	s_cbranch_execz .LBB106_34
; %bb.33:                               ;   in Loop: Header=BB106_2 Depth=1
	ds_load_u8 v56, v54 offset:1
	s_wait_dscnt 0x1
	v_mov_b32_e32 v53, v51
.LBB106_34:                             ;   in Loop: Header=BB106_2 Depth=1
	s_or_b32 exec_lo, exec_lo, s10
	v_add_nc_u32_e32 v57, 1, v55
	v_add_nc_u32_e32 v58, 1, v54
	s_wait_dscnt 0x0
	v_and_b32_e32 v59, 0xff, v53
	v_and_b32_e32 v60, 0xff, v56
	v_cndmask_b32_e64 v51, v51, v52, s9
	v_cndmask_b32_e64 v55, v57, v55, s9
	;; [unrolled: 1-line block ×4, first 2 shown]
	v_cmp_lt_u16_e64 s8, v60, v59
	v_cndmask_b32_e64 v47, v47, v48, s7
	v_cmp_ge_i32_e64 s9, v55, v13
	v_cmp_lt_i32_e64 s7, v52, v14
	s_wait_loadcnt 0x0
	s_barrier_signal -1
	s_barrier_wait -1
	s_or_b32 s8, s9, s8
	global_inv scope:SCOPE_SE
	s_wait_alu 0xfffe
	s_and_b32 s7, s7, s8
	s_wait_alu 0xfffe
	v_cndmask_b32_e64 v48, v53, v56, s7
	ds_store_b8 v1, v47
	ds_store_b8 v1, v49 offset:1
	ds_store_b8 v1, v51 offset:2
	;; [unrolled: 1-line block ×3, first 2 shown]
	v_mov_b32_e32 v47, v41
	s_wait_loadcnt_dscnt 0x0
	s_barrier_signal -1
	s_barrier_wait -1
	global_inv scope:SCOPE_SE
	s_and_saveexec_b32 s8, s2
	s_cbranch_execz .LBB106_38
; %bb.35:                               ;   in Loop: Header=BB106_2 Depth=1
	v_dual_mov_b32 v47, v41 :: v_dual_mov_b32 v48, v34
	s_mov_b32 s9, 0
.LBB106_36:                             ;   Parent Loop BB106_2 Depth=1
                                        ; =>  This Inner Loop Header: Depth=2
	s_delay_alu instid0(VALU_DEP_1) | instskip(NEXT) | instid1(VALU_DEP_1)
	v_sub_nc_u32_e32 v49, v48, v47
	v_lshrrev_b32_e32 v49, 1, v49
	s_delay_alu instid0(VALU_DEP_1) | instskip(NEXT) | instid1(VALU_DEP_1)
	v_add_nc_u32_e32 v49, v49, v47
	v_add_nc_u32_e32 v50, v4, v49
	v_xad_u32 v51, v49, -1, v27
	v_add_nc_u32_e32 v52, 1, v49
	ds_load_u8 v50, v50
	ds_load_u8 v51, v51
	s_wait_dscnt 0x0
	v_cmp_lt_u16_e64 s7, v51, v50
	s_wait_alu 0xf1ff
	s_delay_alu instid0(VALU_DEP_1) | instskip(SKIP_1) | instid1(VALU_DEP_1)
	v_cndmask_b32_e64 v48, v48, v49, s7
	v_cndmask_b32_e64 v47, v52, v47, s7
	v_cmp_ge_i32_e64 s7, v47, v48
	s_wait_alu 0xfffe
	s_or_b32 s9, s7, s9
	s_wait_alu 0xfffe
	s_and_not1_b32 exec_lo, exec_lo, s9
	s_cbranch_execnz .LBB106_36
; %bb.37:                               ;   in Loop: Header=BB106_2 Depth=1
	s_or_b32 exec_lo, exec_lo, s9
.LBB106_38:                             ;   in Loop: Header=BB106_2 Depth=1
	s_wait_alu 0xfffe
	s_or_b32 exec_lo, exec_lo, s8
	v_add_nc_u32_e32 v52, v47, v4
	v_sub_nc_u32_e32 v51, v27, v47
	ds_load_u8 v47, v52
	ds_load_u8 v48, v51
	v_cmp_le_i32_e64 s7, v15, v52
	v_cmp_gt_i32_e64 s9, v16, v51
	s_wait_dscnt 0x1
	v_and_b32_e32 v49, 0xff, v47
	s_wait_dscnt 0x0
	v_and_b32_e32 v50, 0xff, v48
	s_delay_alu instid0(VALU_DEP_1)
	v_cmp_lt_u16_e64 s8, v50, v49
                                        ; implicit-def: $vgpr49
	s_or_b32 s7, s7, s8
	s_wait_alu 0xfffe
	s_and_b32 s7, s9, s7
	s_wait_alu 0xfffe
	s_xor_b32 s8, s7, -1
	s_wait_alu 0xfffe
	s_and_saveexec_b32 s9, s8
	s_wait_alu 0xfffe
	s_xor_b32 s8, exec_lo, s9
; %bb.39:                               ;   in Loop: Header=BB106_2 Depth=1
	ds_load_u8 v49, v52 offset:1
; %bb.40:                               ;   in Loop: Header=BB106_2 Depth=1
	s_wait_alu 0xfffe
	s_or_saveexec_b32 s8, s8
	v_mov_b32_e32 v50, v48
	s_wait_alu 0xfffe
	s_xor_b32 exec_lo, exec_lo, s8
	s_cbranch_execz .LBB106_42
; %bb.41:                               ;   in Loop: Header=BB106_2 Depth=1
	ds_load_u8 v50, v51 offset:1
	s_wait_dscnt 0x1
	v_mov_b32_e32 v49, v47
.LBB106_42:                             ;   in Loop: Header=BB106_2 Depth=1
	s_or_b32 exec_lo, exec_lo, s8
	v_add_nc_u32_e32 v53, 1, v52
	v_add_nc_u32_e32 v55, 1, v51
	s_wait_dscnt 0x0
	v_and_b32_e32 v56, 0xff, v49
	s_delay_alu instid0(VALU_DEP_3) | instskip(SKIP_2) | instid1(VALU_DEP_3)
	v_cndmask_b32_e64 v54, v53, v52, s7
	v_and_b32_e32 v52, 0xff, v50
	v_cndmask_b32_e64 v53, v51, v55, s7
                                        ; implicit-def: $vgpr51
	v_cmp_ge_i32_e64 s8, v54, v15
	s_delay_alu instid0(VALU_DEP_3) | instskip(NEXT) | instid1(VALU_DEP_3)
	v_cmp_lt_u16_e64 s9, v52, v56
	v_cmp_lt_i32_e64 s10, v53, v16
	s_or_b32 s8, s8, s9
	s_wait_alu 0xfffe
	s_and_b32 s8, s10, s8
	s_wait_alu 0xfffe
	s_xor_b32 s9, s8, -1
	s_wait_alu 0xfffe
	s_and_saveexec_b32 s10, s9
	s_delay_alu instid0(SALU_CYCLE_1)
	s_xor_b32 s9, exec_lo, s10
; %bb.43:                               ;   in Loop: Header=BB106_2 Depth=1
	ds_load_u8 v51, v54 offset:1
; %bb.44:                               ;   in Loop: Header=BB106_2 Depth=1
	s_wait_alu 0xfffe
	s_or_saveexec_b32 s9, s9
	v_mov_b32_e32 v52, v50
	s_wait_alu 0xfffe
	s_xor_b32 exec_lo, exec_lo, s9
	s_cbranch_execz .LBB106_46
; %bb.45:                               ;   in Loop: Header=BB106_2 Depth=1
	ds_load_u8 v52, v53 offset:1
	s_wait_dscnt 0x1
	v_mov_b32_e32 v51, v49
.LBB106_46:                             ;   in Loop: Header=BB106_2 Depth=1
	s_or_b32 exec_lo, exec_lo, s9
	v_add_nc_u32_e32 v55, 1, v54
	v_add_nc_u32_e32 v56, 1, v53
	s_wait_dscnt 0x0
	v_and_b32_e32 v57, 0xff, v51
	v_and_b32_e32 v58, 0xff, v52
	v_cndmask_b32_e64 v55, v55, v54, s8
	v_cndmask_b32_e64 v54, v53, v56, s8
                                        ; implicit-def: $vgpr53
	s_delay_alu instid0(VALU_DEP_3) | instskip(NEXT) | instid1(VALU_DEP_3)
	v_cmp_lt_u16_e64 s10, v58, v57
	v_cmp_ge_i32_e64 s9, v55, v15
	s_delay_alu instid0(VALU_DEP_3)
	v_cmp_lt_i32_e64 s11, v54, v16
	s_or_b32 s9, s9, s10
	s_wait_alu 0xfffe
	s_and_b32 s9, s11, s9
	s_wait_alu 0xfffe
	s_xor_b32 s10, s9, -1
	s_delay_alu instid0(SALU_CYCLE_1) | instskip(NEXT) | instid1(SALU_CYCLE_1)
	s_and_saveexec_b32 s11, s10
	s_xor_b32 s10, exec_lo, s11
; %bb.47:                               ;   in Loop: Header=BB106_2 Depth=1
	ds_load_u8 v53, v55 offset:1
; %bb.48:                               ;   in Loop: Header=BB106_2 Depth=1
	s_or_saveexec_b32 s10, s10
	v_mov_b32_e32 v56, v52
	s_xor_b32 exec_lo, exec_lo, s10
	s_cbranch_execz .LBB106_50
; %bb.49:                               ;   in Loop: Header=BB106_2 Depth=1
	ds_load_u8 v56, v54 offset:1
	s_wait_dscnt 0x1
	v_mov_b32_e32 v53, v51
.LBB106_50:                             ;   in Loop: Header=BB106_2 Depth=1
	s_or_b32 exec_lo, exec_lo, s10
	v_add_nc_u32_e32 v57, 1, v55
	v_add_nc_u32_e32 v58, 1, v54
	s_wait_dscnt 0x0
	v_and_b32_e32 v59, 0xff, v53
	v_and_b32_e32 v60, 0xff, v56
	v_cndmask_b32_e64 v51, v51, v52, s9
	v_cndmask_b32_e64 v55, v57, v55, s9
	;; [unrolled: 1-line block ×4, first 2 shown]
	v_cmp_lt_u16_e64 s8, v60, v59
	v_cndmask_b32_e64 v47, v47, v48, s7
	v_cmp_ge_i32_e64 s9, v55, v15
	v_cmp_lt_i32_e64 s7, v52, v16
	s_wait_loadcnt 0x0
	s_barrier_signal -1
	s_barrier_wait -1
	s_or_b32 s8, s9, s8
	global_inv scope:SCOPE_SE
	s_wait_alu 0xfffe
	s_and_b32 s7, s7, s8
	s_wait_alu 0xfffe
	v_cndmask_b32_e64 v48, v53, v56, s7
	ds_store_b8 v1, v47
	ds_store_b8 v1, v49 offset:1
	ds_store_b8 v1, v51 offset:2
	;; [unrolled: 1-line block ×3, first 2 shown]
	v_mov_b32_e32 v47, v42
	s_wait_loadcnt_dscnt 0x0
	s_barrier_signal -1
	s_barrier_wait -1
	global_inv scope:SCOPE_SE
	s_and_saveexec_b32 s8, s3
	s_cbranch_execz .LBB106_54
; %bb.51:                               ;   in Loop: Header=BB106_2 Depth=1
	v_dual_mov_b32 v47, v42 :: v_dual_mov_b32 v48, v35
	s_mov_b32 s9, 0
.LBB106_52:                             ;   Parent Loop BB106_2 Depth=1
                                        ; =>  This Inner Loop Header: Depth=2
	s_delay_alu instid0(VALU_DEP_1) | instskip(NEXT) | instid1(VALU_DEP_1)
	v_sub_nc_u32_e32 v49, v48, v47
	v_lshrrev_b32_e32 v49, 1, v49
	s_delay_alu instid0(VALU_DEP_1) | instskip(NEXT) | instid1(VALU_DEP_1)
	v_add_nc_u32_e32 v49, v49, v47
	v_add_nc_u32_e32 v50, v5, v49
	v_xad_u32 v51, v49, -1, v28
	v_add_nc_u32_e32 v52, 1, v49
	ds_load_u8 v50, v50
	ds_load_u8 v51, v51
	s_wait_dscnt 0x0
	v_cmp_lt_u16_e64 s7, v51, v50
	s_wait_alu 0xf1ff
	s_delay_alu instid0(VALU_DEP_1) | instskip(SKIP_1) | instid1(VALU_DEP_1)
	v_cndmask_b32_e64 v48, v48, v49, s7
	v_cndmask_b32_e64 v47, v52, v47, s7
	v_cmp_ge_i32_e64 s7, v47, v48
	s_wait_alu 0xfffe
	s_or_b32 s9, s7, s9
	s_wait_alu 0xfffe
	s_and_not1_b32 exec_lo, exec_lo, s9
	s_cbranch_execnz .LBB106_52
; %bb.53:                               ;   in Loop: Header=BB106_2 Depth=1
	s_or_b32 exec_lo, exec_lo, s9
.LBB106_54:                             ;   in Loop: Header=BB106_2 Depth=1
	s_wait_alu 0xfffe
	s_or_b32 exec_lo, exec_lo, s8
	v_add_nc_u32_e32 v52, v47, v5
	v_sub_nc_u32_e32 v51, v28, v47
	ds_load_u8 v47, v52
	ds_load_u8 v48, v51
	v_cmp_le_i32_e64 s7, v17, v52
	v_cmp_gt_i32_e64 s9, v18, v51
	s_wait_dscnt 0x1
	v_and_b32_e32 v49, 0xff, v47
	s_wait_dscnt 0x0
	v_and_b32_e32 v50, 0xff, v48
	s_delay_alu instid0(VALU_DEP_1)
	v_cmp_lt_u16_e64 s8, v50, v49
                                        ; implicit-def: $vgpr49
	s_or_b32 s7, s7, s8
	s_wait_alu 0xfffe
	s_and_b32 s7, s9, s7
	s_wait_alu 0xfffe
	s_xor_b32 s8, s7, -1
	s_wait_alu 0xfffe
	s_and_saveexec_b32 s9, s8
	s_wait_alu 0xfffe
	s_xor_b32 s8, exec_lo, s9
; %bb.55:                               ;   in Loop: Header=BB106_2 Depth=1
	ds_load_u8 v49, v52 offset:1
; %bb.56:                               ;   in Loop: Header=BB106_2 Depth=1
	s_wait_alu 0xfffe
	s_or_saveexec_b32 s8, s8
	v_mov_b32_e32 v50, v48
	s_wait_alu 0xfffe
	s_xor_b32 exec_lo, exec_lo, s8
	s_cbranch_execz .LBB106_58
; %bb.57:                               ;   in Loop: Header=BB106_2 Depth=1
	ds_load_u8 v50, v51 offset:1
	s_wait_dscnt 0x1
	v_mov_b32_e32 v49, v47
.LBB106_58:                             ;   in Loop: Header=BB106_2 Depth=1
	s_or_b32 exec_lo, exec_lo, s8
	v_add_nc_u32_e32 v53, 1, v52
	v_add_nc_u32_e32 v55, 1, v51
	s_wait_dscnt 0x0
	v_and_b32_e32 v56, 0xff, v49
	s_delay_alu instid0(VALU_DEP_3) | instskip(SKIP_2) | instid1(VALU_DEP_3)
	v_cndmask_b32_e64 v54, v53, v52, s7
	v_and_b32_e32 v52, 0xff, v50
	v_cndmask_b32_e64 v53, v51, v55, s7
                                        ; implicit-def: $vgpr51
	v_cmp_ge_i32_e64 s8, v54, v17
	s_delay_alu instid0(VALU_DEP_3) | instskip(NEXT) | instid1(VALU_DEP_3)
	v_cmp_lt_u16_e64 s9, v52, v56
	v_cmp_lt_i32_e64 s10, v53, v18
	s_or_b32 s8, s8, s9
	s_wait_alu 0xfffe
	s_and_b32 s8, s10, s8
	s_wait_alu 0xfffe
	s_xor_b32 s9, s8, -1
	s_wait_alu 0xfffe
	s_and_saveexec_b32 s10, s9
	s_delay_alu instid0(SALU_CYCLE_1)
	s_xor_b32 s9, exec_lo, s10
; %bb.59:                               ;   in Loop: Header=BB106_2 Depth=1
	ds_load_u8 v51, v54 offset:1
; %bb.60:                               ;   in Loop: Header=BB106_2 Depth=1
	s_wait_alu 0xfffe
	s_or_saveexec_b32 s9, s9
	v_mov_b32_e32 v52, v50
	s_wait_alu 0xfffe
	s_xor_b32 exec_lo, exec_lo, s9
	s_cbranch_execz .LBB106_62
; %bb.61:                               ;   in Loop: Header=BB106_2 Depth=1
	ds_load_u8 v52, v53 offset:1
	s_wait_dscnt 0x1
	v_mov_b32_e32 v51, v49
.LBB106_62:                             ;   in Loop: Header=BB106_2 Depth=1
	s_or_b32 exec_lo, exec_lo, s9
	v_add_nc_u32_e32 v55, 1, v54
	v_add_nc_u32_e32 v56, 1, v53
	s_wait_dscnt 0x0
	v_and_b32_e32 v57, 0xff, v51
	v_and_b32_e32 v58, 0xff, v52
	v_cndmask_b32_e64 v55, v55, v54, s8
	v_cndmask_b32_e64 v54, v53, v56, s8
                                        ; implicit-def: $vgpr53
	s_delay_alu instid0(VALU_DEP_3) | instskip(NEXT) | instid1(VALU_DEP_3)
	v_cmp_lt_u16_e64 s10, v58, v57
	v_cmp_ge_i32_e64 s9, v55, v17
	s_delay_alu instid0(VALU_DEP_3)
	v_cmp_lt_i32_e64 s11, v54, v18
	s_or_b32 s9, s9, s10
	s_wait_alu 0xfffe
	s_and_b32 s9, s11, s9
	s_wait_alu 0xfffe
	s_xor_b32 s10, s9, -1
	s_delay_alu instid0(SALU_CYCLE_1) | instskip(NEXT) | instid1(SALU_CYCLE_1)
	s_and_saveexec_b32 s11, s10
	s_xor_b32 s10, exec_lo, s11
; %bb.63:                               ;   in Loop: Header=BB106_2 Depth=1
	ds_load_u8 v53, v55 offset:1
; %bb.64:                               ;   in Loop: Header=BB106_2 Depth=1
	s_or_saveexec_b32 s10, s10
	v_mov_b32_e32 v56, v52
	s_xor_b32 exec_lo, exec_lo, s10
	s_cbranch_execz .LBB106_66
; %bb.65:                               ;   in Loop: Header=BB106_2 Depth=1
	ds_load_u8 v56, v54 offset:1
	s_wait_dscnt 0x1
	v_mov_b32_e32 v53, v51
.LBB106_66:                             ;   in Loop: Header=BB106_2 Depth=1
	s_or_b32 exec_lo, exec_lo, s10
	v_add_nc_u32_e32 v57, 1, v55
	v_add_nc_u32_e32 v58, 1, v54
	s_wait_dscnt 0x0
	v_and_b32_e32 v59, 0xff, v53
	v_and_b32_e32 v60, 0xff, v56
	v_cndmask_b32_e64 v51, v51, v52, s9
	v_cndmask_b32_e64 v55, v57, v55, s9
	;; [unrolled: 1-line block ×4, first 2 shown]
	v_cmp_lt_u16_e64 s8, v60, v59
	v_cndmask_b32_e64 v47, v47, v48, s7
	v_cmp_ge_i32_e64 s9, v55, v17
	v_cmp_lt_i32_e64 s7, v52, v18
	s_wait_loadcnt 0x0
	s_barrier_signal -1
	s_barrier_wait -1
	s_or_b32 s8, s9, s8
	global_inv scope:SCOPE_SE
	s_wait_alu 0xfffe
	s_and_b32 s7, s7, s8
	s_wait_alu 0xfffe
	v_cndmask_b32_e64 v48, v53, v56, s7
	ds_store_b8 v1, v47
	ds_store_b8 v1, v49 offset:1
	ds_store_b8 v1, v51 offset:2
	;; [unrolled: 1-line block ×3, first 2 shown]
	v_mov_b32_e32 v47, v43
	s_wait_loadcnt_dscnt 0x0
	s_barrier_signal -1
	s_barrier_wait -1
	global_inv scope:SCOPE_SE
	s_and_saveexec_b32 s8, s4
	s_cbranch_execz .LBB106_70
; %bb.67:                               ;   in Loop: Header=BB106_2 Depth=1
	v_dual_mov_b32 v47, v43 :: v_dual_mov_b32 v48, v36
	s_mov_b32 s9, 0
.LBB106_68:                             ;   Parent Loop BB106_2 Depth=1
                                        ; =>  This Inner Loop Header: Depth=2
	s_delay_alu instid0(VALU_DEP_1) | instskip(NEXT) | instid1(VALU_DEP_1)
	v_sub_nc_u32_e32 v49, v48, v47
	v_lshrrev_b32_e32 v49, 1, v49
	s_delay_alu instid0(VALU_DEP_1) | instskip(NEXT) | instid1(VALU_DEP_1)
	v_add_nc_u32_e32 v49, v49, v47
	v_add_nc_u32_e32 v50, v6, v49
	v_xad_u32 v51, v49, -1, v29
	v_add_nc_u32_e32 v52, 1, v49
	ds_load_u8 v50, v50
	ds_load_u8 v51, v51
	s_wait_dscnt 0x0
	v_cmp_lt_u16_e64 s7, v51, v50
	s_wait_alu 0xf1ff
	s_delay_alu instid0(VALU_DEP_1) | instskip(SKIP_1) | instid1(VALU_DEP_1)
	v_cndmask_b32_e64 v48, v48, v49, s7
	v_cndmask_b32_e64 v47, v52, v47, s7
	v_cmp_ge_i32_e64 s7, v47, v48
	s_wait_alu 0xfffe
	s_or_b32 s9, s7, s9
	s_wait_alu 0xfffe
	s_and_not1_b32 exec_lo, exec_lo, s9
	s_cbranch_execnz .LBB106_68
; %bb.69:                               ;   in Loop: Header=BB106_2 Depth=1
	s_or_b32 exec_lo, exec_lo, s9
.LBB106_70:                             ;   in Loop: Header=BB106_2 Depth=1
	s_wait_alu 0xfffe
	s_or_b32 exec_lo, exec_lo, s8
	v_add_nc_u32_e32 v52, v47, v6
	v_sub_nc_u32_e32 v51, v29, v47
	ds_load_u8 v47, v52
	ds_load_u8 v48, v51
	v_cmp_le_i32_e64 s7, v19, v52
	v_cmp_gt_i32_e64 s9, v20, v51
	s_wait_dscnt 0x1
	v_and_b32_e32 v49, 0xff, v47
	s_wait_dscnt 0x0
	v_and_b32_e32 v50, 0xff, v48
	s_delay_alu instid0(VALU_DEP_1)
	v_cmp_lt_u16_e64 s8, v50, v49
                                        ; implicit-def: $vgpr49
	s_or_b32 s7, s7, s8
	s_wait_alu 0xfffe
	s_and_b32 s7, s9, s7
	s_wait_alu 0xfffe
	s_xor_b32 s8, s7, -1
	s_wait_alu 0xfffe
	s_and_saveexec_b32 s9, s8
	s_wait_alu 0xfffe
	s_xor_b32 s8, exec_lo, s9
; %bb.71:                               ;   in Loop: Header=BB106_2 Depth=1
	ds_load_u8 v49, v52 offset:1
; %bb.72:                               ;   in Loop: Header=BB106_2 Depth=1
	s_wait_alu 0xfffe
	s_or_saveexec_b32 s8, s8
	v_mov_b32_e32 v50, v48
	s_wait_alu 0xfffe
	s_xor_b32 exec_lo, exec_lo, s8
	s_cbranch_execz .LBB106_74
; %bb.73:                               ;   in Loop: Header=BB106_2 Depth=1
	ds_load_u8 v50, v51 offset:1
	s_wait_dscnt 0x1
	v_mov_b32_e32 v49, v47
.LBB106_74:                             ;   in Loop: Header=BB106_2 Depth=1
	s_or_b32 exec_lo, exec_lo, s8
	v_add_nc_u32_e32 v53, 1, v52
	v_add_nc_u32_e32 v55, 1, v51
	s_wait_dscnt 0x0
	v_and_b32_e32 v56, 0xff, v49
	s_delay_alu instid0(VALU_DEP_3) | instskip(SKIP_2) | instid1(VALU_DEP_3)
	v_cndmask_b32_e64 v54, v53, v52, s7
	v_and_b32_e32 v52, 0xff, v50
	v_cndmask_b32_e64 v53, v51, v55, s7
                                        ; implicit-def: $vgpr51
	v_cmp_ge_i32_e64 s8, v54, v19
	s_delay_alu instid0(VALU_DEP_3) | instskip(NEXT) | instid1(VALU_DEP_3)
	v_cmp_lt_u16_e64 s9, v52, v56
	v_cmp_lt_i32_e64 s10, v53, v20
	s_or_b32 s8, s8, s9
	s_wait_alu 0xfffe
	s_and_b32 s8, s10, s8
	s_wait_alu 0xfffe
	s_xor_b32 s9, s8, -1
	s_wait_alu 0xfffe
	s_and_saveexec_b32 s10, s9
	s_delay_alu instid0(SALU_CYCLE_1)
	s_xor_b32 s9, exec_lo, s10
; %bb.75:                               ;   in Loop: Header=BB106_2 Depth=1
	ds_load_u8 v51, v54 offset:1
; %bb.76:                               ;   in Loop: Header=BB106_2 Depth=1
	s_wait_alu 0xfffe
	s_or_saveexec_b32 s9, s9
	v_mov_b32_e32 v52, v50
	s_wait_alu 0xfffe
	s_xor_b32 exec_lo, exec_lo, s9
	s_cbranch_execz .LBB106_78
; %bb.77:                               ;   in Loop: Header=BB106_2 Depth=1
	ds_load_u8 v52, v53 offset:1
	s_wait_dscnt 0x1
	v_mov_b32_e32 v51, v49
.LBB106_78:                             ;   in Loop: Header=BB106_2 Depth=1
	s_or_b32 exec_lo, exec_lo, s9
	v_add_nc_u32_e32 v55, 1, v54
	v_add_nc_u32_e32 v56, 1, v53
	s_wait_dscnt 0x0
	v_and_b32_e32 v57, 0xff, v51
	v_and_b32_e32 v58, 0xff, v52
	v_cndmask_b32_e64 v55, v55, v54, s8
	v_cndmask_b32_e64 v54, v53, v56, s8
                                        ; implicit-def: $vgpr53
	s_delay_alu instid0(VALU_DEP_3) | instskip(NEXT) | instid1(VALU_DEP_3)
	v_cmp_lt_u16_e64 s10, v58, v57
	v_cmp_ge_i32_e64 s9, v55, v19
	s_delay_alu instid0(VALU_DEP_3)
	v_cmp_lt_i32_e64 s11, v54, v20
	s_or_b32 s9, s9, s10
	s_wait_alu 0xfffe
	s_and_b32 s9, s11, s9
	s_wait_alu 0xfffe
	s_xor_b32 s10, s9, -1
	s_delay_alu instid0(SALU_CYCLE_1) | instskip(NEXT) | instid1(SALU_CYCLE_1)
	s_and_saveexec_b32 s11, s10
	s_xor_b32 s10, exec_lo, s11
; %bb.79:                               ;   in Loop: Header=BB106_2 Depth=1
	ds_load_u8 v53, v55 offset:1
; %bb.80:                               ;   in Loop: Header=BB106_2 Depth=1
	s_or_saveexec_b32 s10, s10
	v_mov_b32_e32 v56, v52
	s_xor_b32 exec_lo, exec_lo, s10
	s_cbranch_execz .LBB106_82
; %bb.81:                               ;   in Loop: Header=BB106_2 Depth=1
	ds_load_u8 v56, v54 offset:1
	s_wait_dscnt 0x1
	v_mov_b32_e32 v53, v51
.LBB106_82:                             ;   in Loop: Header=BB106_2 Depth=1
	s_or_b32 exec_lo, exec_lo, s10
	v_add_nc_u32_e32 v57, 1, v55
	v_add_nc_u32_e32 v58, 1, v54
	s_wait_dscnt 0x0
	v_and_b32_e32 v59, 0xff, v53
	v_and_b32_e32 v60, 0xff, v56
	v_cndmask_b32_e64 v51, v51, v52, s9
	v_cndmask_b32_e64 v55, v57, v55, s9
	;; [unrolled: 1-line block ×4, first 2 shown]
	v_cmp_lt_u16_e64 s8, v60, v59
	v_cndmask_b32_e64 v47, v47, v48, s7
	v_cmp_ge_i32_e64 s9, v55, v19
	v_cmp_lt_i32_e64 s7, v52, v20
	s_wait_loadcnt 0x0
	s_barrier_signal -1
	s_barrier_wait -1
	s_or_b32 s8, s9, s8
	global_inv scope:SCOPE_SE
	s_wait_alu 0xfffe
	s_and_b32 s7, s7, s8
	s_wait_alu 0xfffe
	v_cndmask_b32_e64 v48, v53, v56, s7
	ds_store_b8 v1, v47
	ds_store_b8 v1, v49 offset:1
	ds_store_b8 v1, v51 offset:2
	;; [unrolled: 1-line block ×3, first 2 shown]
	v_mov_b32_e32 v47, v44
	s_wait_loadcnt_dscnt 0x0
	s_barrier_signal -1
	s_barrier_wait -1
	global_inv scope:SCOPE_SE
	s_and_saveexec_b32 s8, s5
	s_cbranch_execz .LBB106_86
; %bb.83:                               ;   in Loop: Header=BB106_2 Depth=1
	v_dual_mov_b32 v47, v44 :: v_dual_mov_b32 v48, v37
	s_mov_b32 s9, 0
.LBB106_84:                             ;   Parent Loop BB106_2 Depth=1
                                        ; =>  This Inner Loop Header: Depth=2
	s_delay_alu instid0(VALU_DEP_1) | instskip(NEXT) | instid1(VALU_DEP_1)
	v_sub_nc_u32_e32 v49, v48, v47
	v_lshrrev_b32_e32 v49, 1, v49
	s_delay_alu instid0(VALU_DEP_1) | instskip(NEXT) | instid1(VALU_DEP_1)
	v_add_nc_u32_e32 v49, v49, v47
	v_add_nc_u32_e32 v50, v7, v49
	v_xad_u32 v51, v49, -1, v30
	v_add_nc_u32_e32 v52, 1, v49
	ds_load_u8 v50, v50
	ds_load_u8 v51, v51
	s_wait_dscnt 0x0
	v_cmp_lt_u16_e64 s7, v51, v50
	s_wait_alu 0xf1ff
	s_delay_alu instid0(VALU_DEP_1) | instskip(SKIP_1) | instid1(VALU_DEP_1)
	v_cndmask_b32_e64 v48, v48, v49, s7
	v_cndmask_b32_e64 v47, v52, v47, s7
	v_cmp_ge_i32_e64 s7, v47, v48
	s_wait_alu 0xfffe
	s_or_b32 s9, s7, s9
	s_wait_alu 0xfffe
	s_and_not1_b32 exec_lo, exec_lo, s9
	s_cbranch_execnz .LBB106_84
; %bb.85:                               ;   in Loop: Header=BB106_2 Depth=1
	s_or_b32 exec_lo, exec_lo, s9
.LBB106_86:                             ;   in Loop: Header=BB106_2 Depth=1
	s_wait_alu 0xfffe
	s_or_b32 exec_lo, exec_lo, s8
	v_add_nc_u32_e32 v52, v47, v7
	v_sub_nc_u32_e32 v51, v30, v47
	ds_load_u8 v47, v52
	ds_load_u8 v48, v51
	v_cmp_le_i32_e64 s7, v21, v52
	v_cmp_gt_i32_e64 s9, v22, v51
	s_wait_dscnt 0x1
	v_and_b32_e32 v49, 0xff, v47
	s_wait_dscnt 0x0
	v_and_b32_e32 v50, 0xff, v48
	s_delay_alu instid0(VALU_DEP_1)
	v_cmp_lt_u16_e64 s8, v50, v49
                                        ; implicit-def: $vgpr49
	s_or_b32 s7, s7, s8
	s_wait_alu 0xfffe
	s_and_b32 s7, s9, s7
	s_wait_alu 0xfffe
	s_xor_b32 s8, s7, -1
	s_wait_alu 0xfffe
	s_and_saveexec_b32 s9, s8
	s_wait_alu 0xfffe
	s_xor_b32 s8, exec_lo, s9
; %bb.87:                               ;   in Loop: Header=BB106_2 Depth=1
	ds_load_u8 v49, v52 offset:1
; %bb.88:                               ;   in Loop: Header=BB106_2 Depth=1
	s_wait_alu 0xfffe
	s_or_saveexec_b32 s8, s8
	v_mov_b32_e32 v50, v48
	s_wait_alu 0xfffe
	s_xor_b32 exec_lo, exec_lo, s8
	s_cbranch_execz .LBB106_90
; %bb.89:                               ;   in Loop: Header=BB106_2 Depth=1
	ds_load_u8 v50, v51 offset:1
	s_wait_dscnt 0x1
	v_mov_b32_e32 v49, v47
.LBB106_90:                             ;   in Loop: Header=BB106_2 Depth=1
	s_or_b32 exec_lo, exec_lo, s8
	v_add_nc_u32_e32 v53, 1, v52
	v_add_nc_u32_e32 v55, 1, v51
	s_wait_dscnt 0x0
	v_and_b32_e32 v56, 0xff, v49
	s_delay_alu instid0(VALU_DEP_3) | instskip(SKIP_2) | instid1(VALU_DEP_3)
	v_cndmask_b32_e64 v54, v53, v52, s7
	v_and_b32_e32 v52, 0xff, v50
	v_cndmask_b32_e64 v53, v51, v55, s7
                                        ; implicit-def: $vgpr51
	v_cmp_ge_i32_e64 s8, v54, v21
	s_delay_alu instid0(VALU_DEP_3) | instskip(NEXT) | instid1(VALU_DEP_3)
	v_cmp_lt_u16_e64 s9, v52, v56
	v_cmp_lt_i32_e64 s10, v53, v22
	s_or_b32 s8, s8, s9
	s_wait_alu 0xfffe
	s_and_b32 s8, s10, s8
	s_wait_alu 0xfffe
	s_xor_b32 s9, s8, -1
	s_wait_alu 0xfffe
	s_and_saveexec_b32 s10, s9
	s_delay_alu instid0(SALU_CYCLE_1)
	s_xor_b32 s9, exec_lo, s10
; %bb.91:                               ;   in Loop: Header=BB106_2 Depth=1
	ds_load_u8 v51, v54 offset:1
; %bb.92:                               ;   in Loop: Header=BB106_2 Depth=1
	s_wait_alu 0xfffe
	s_or_saveexec_b32 s9, s9
	v_mov_b32_e32 v52, v50
	s_wait_alu 0xfffe
	s_xor_b32 exec_lo, exec_lo, s9
	s_cbranch_execz .LBB106_94
; %bb.93:                               ;   in Loop: Header=BB106_2 Depth=1
	ds_load_u8 v52, v53 offset:1
	s_wait_dscnt 0x1
	v_mov_b32_e32 v51, v49
.LBB106_94:                             ;   in Loop: Header=BB106_2 Depth=1
	s_or_b32 exec_lo, exec_lo, s9
	v_add_nc_u32_e32 v55, 1, v54
	v_add_nc_u32_e32 v56, 1, v53
	s_wait_dscnt 0x0
	v_and_b32_e32 v57, 0xff, v51
	v_and_b32_e32 v58, 0xff, v52
	v_cndmask_b32_e64 v55, v55, v54, s8
	v_cndmask_b32_e64 v54, v53, v56, s8
                                        ; implicit-def: $vgpr53
	s_delay_alu instid0(VALU_DEP_3) | instskip(NEXT) | instid1(VALU_DEP_3)
	v_cmp_lt_u16_e64 s10, v58, v57
	v_cmp_ge_i32_e64 s9, v55, v21
	s_delay_alu instid0(VALU_DEP_3)
	v_cmp_lt_i32_e64 s11, v54, v22
	s_or_b32 s9, s9, s10
	s_wait_alu 0xfffe
	s_and_b32 s9, s11, s9
	s_wait_alu 0xfffe
	s_xor_b32 s10, s9, -1
	s_delay_alu instid0(SALU_CYCLE_1) | instskip(NEXT) | instid1(SALU_CYCLE_1)
	s_and_saveexec_b32 s11, s10
	s_xor_b32 s10, exec_lo, s11
; %bb.95:                               ;   in Loop: Header=BB106_2 Depth=1
	ds_load_u8 v53, v55 offset:1
; %bb.96:                               ;   in Loop: Header=BB106_2 Depth=1
	s_or_saveexec_b32 s10, s10
	v_mov_b32_e32 v56, v52
	s_xor_b32 exec_lo, exec_lo, s10
	s_cbranch_execz .LBB106_98
; %bb.97:                               ;   in Loop: Header=BB106_2 Depth=1
	ds_load_u8 v56, v54 offset:1
	s_wait_dscnt 0x1
	v_mov_b32_e32 v53, v51
.LBB106_98:                             ;   in Loop: Header=BB106_2 Depth=1
	s_or_b32 exec_lo, exec_lo, s10
	v_add_nc_u32_e32 v57, 1, v55
	v_add_nc_u32_e32 v58, 1, v54
	s_wait_dscnt 0x0
	v_and_b32_e32 v59, 0xff, v53
	v_and_b32_e32 v60, 0xff, v56
	v_cndmask_b32_e64 v51, v51, v52, s9
	v_cndmask_b32_e64 v55, v57, v55, s9
	;; [unrolled: 1-line block ×4, first 2 shown]
	v_cmp_lt_u16_e64 s8, v60, v59
	v_cndmask_b32_e64 v47, v47, v48, s7
	v_cmp_ge_i32_e64 s9, v55, v21
	v_cmp_lt_i32_e64 s7, v52, v22
	s_wait_loadcnt 0x0
	s_barrier_signal -1
	s_barrier_wait -1
	s_or_b32 s8, s9, s8
	global_inv scope:SCOPE_SE
	s_wait_alu 0xfffe
	s_and_b32 s7, s7, s8
	s_wait_alu 0xfffe
	v_cndmask_b32_e64 v48, v53, v56, s7
	ds_store_b8 v1, v47
	ds_store_b8 v1, v49 offset:1
	ds_store_b8 v1, v51 offset:2
	ds_store_b8 v1, v48 offset:3
	v_mov_b32_e32 v47, v45
	s_wait_loadcnt_dscnt 0x0
	s_barrier_signal -1
	s_barrier_wait -1
	global_inv scope:SCOPE_SE
	s_and_saveexec_b32 s8, s6
	s_cbranch_execz .LBB106_102
; %bb.99:                               ;   in Loop: Header=BB106_2 Depth=1
	v_dual_mov_b32 v47, v45 :: v_dual_mov_b32 v48, v38
	s_mov_b32 s9, 0
.LBB106_100:                            ;   Parent Loop BB106_2 Depth=1
                                        ; =>  This Inner Loop Header: Depth=2
	s_delay_alu instid0(VALU_DEP_1) | instskip(NEXT) | instid1(VALU_DEP_1)
	v_sub_nc_u32_e32 v49, v48, v47
	v_lshrrev_b32_e32 v49, 1, v49
	s_delay_alu instid0(VALU_DEP_1) | instskip(NEXT) | instid1(VALU_DEP_1)
	v_add_nc_u32_e32 v49, v49, v47
	v_add_nc_u32_e32 v50, v8, v49
	v_xad_u32 v51, v49, -1, v31
	v_add_nc_u32_e32 v52, 1, v49
	ds_load_u8 v50, v50
	ds_load_u8 v51, v51
	s_wait_dscnt 0x0
	v_cmp_lt_u16_e64 s7, v51, v50
	s_wait_alu 0xf1ff
	s_delay_alu instid0(VALU_DEP_1) | instskip(SKIP_1) | instid1(VALU_DEP_1)
	v_cndmask_b32_e64 v48, v48, v49, s7
	v_cndmask_b32_e64 v47, v52, v47, s7
	v_cmp_ge_i32_e64 s7, v47, v48
	s_wait_alu 0xfffe
	s_or_b32 s9, s7, s9
	s_wait_alu 0xfffe
	s_and_not1_b32 exec_lo, exec_lo, s9
	s_cbranch_execnz .LBB106_100
; %bb.101:                              ;   in Loop: Header=BB106_2 Depth=1
	s_or_b32 exec_lo, exec_lo, s9
.LBB106_102:                            ;   in Loop: Header=BB106_2 Depth=1
	s_wait_alu 0xfffe
	s_or_b32 exec_lo, exec_lo, s8
	v_add_nc_u32_e32 v52, v47, v8
	v_sub_nc_u32_e32 v51, v31, v47
	ds_load_u8 v47, v52
	ds_load_u8 v48, v51
	v_cmp_le_i32_e64 s7, v23, v52
	v_cmp_gt_i32_e64 s9, v24, v51
	s_wait_dscnt 0x1
	v_and_b32_e32 v49, 0xff, v47
	s_wait_dscnt 0x0
	v_and_b32_e32 v50, 0xff, v48
	s_delay_alu instid0(VALU_DEP_1)
	v_cmp_lt_u16_e64 s8, v50, v49
                                        ; implicit-def: $vgpr49
	s_or_b32 s7, s7, s8
	s_wait_alu 0xfffe
	s_and_b32 s7, s9, s7
	s_wait_alu 0xfffe
	s_xor_b32 s8, s7, -1
	s_wait_alu 0xfffe
	s_and_saveexec_b32 s9, s8
	s_wait_alu 0xfffe
	s_xor_b32 s8, exec_lo, s9
; %bb.103:                              ;   in Loop: Header=BB106_2 Depth=1
	ds_load_u8 v49, v52 offset:1
; %bb.104:                              ;   in Loop: Header=BB106_2 Depth=1
	s_wait_alu 0xfffe
	s_or_saveexec_b32 s8, s8
	v_mov_b32_e32 v50, v48
	s_wait_alu 0xfffe
	s_xor_b32 exec_lo, exec_lo, s8
	s_cbranch_execz .LBB106_106
; %bb.105:                              ;   in Loop: Header=BB106_2 Depth=1
	ds_load_u8 v50, v51 offset:1
	s_wait_dscnt 0x1
	v_mov_b32_e32 v49, v47
.LBB106_106:                            ;   in Loop: Header=BB106_2 Depth=1
	s_or_b32 exec_lo, exec_lo, s8
	v_add_nc_u32_e32 v53, 1, v52
	v_add_nc_u32_e32 v55, 1, v51
	s_wait_dscnt 0x0
	v_and_b32_e32 v56, 0xff, v49
	s_delay_alu instid0(VALU_DEP_3) | instskip(SKIP_2) | instid1(VALU_DEP_3)
	v_cndmask_b32_e64 v54, v53, v52, s7
	v_and_b32_e32 v52, 0xff, v50
	v_cndmask_b32_e64 v53, v51, v55, s7
                                        ; implicit-def: $vgpr51
	v_cmp_ge_i32_e64 s8, v54, v23
	s_delay_alu instid0(VALU_DEP_3) | instskip(NEXT) | instid1(VALU_DEP_3)
	v_cmp_lt_u16_e64 s9, v52, v56
	v_cmp_lt_i32_e64 s10, v53, v24
	s_or_b32 s8, s8, s9
	s_wait_alu 0xfffe
	s_and_b32 s8, s10, s8
	s_wait_alu 0xfffe
	s_xor_b32 s9, s8, -1
	s_wait_alu 0xfffe
	s_and_saveexec_b32 s10, s9
	s_delay_alu instid0(SALU_CYCLE_1)
	s_xor_b32 s9, exec_lo, s10
; %bb.107:                              ;   in Loop: Header=BB106_2 Depth=1
	ds_load_u8 v51, v54 offset:1
; %bb.108:                              ;   in Loop: Header=BB106_2 Depth=1
	s_wait_alu 0xfffe
	s_or_saveexec_b32 s9, s9
	v_mov_b32_e32 v52, v50
	s_wait_alu 0xfffe
	s_xor_b32 exec_lo, exec_lo, s9
	s_cbranch_execz .LBB106_110
; %bb.109:                              ;   in Loop: Header=BB106_2 Depth=1
	ds_load_u8 v52, v53 offset:1
	s_wait_dscnt 0x1
	v_mov_b32_e32 v51, v49
.LBB106_110:                            ;   in Loop: Header=BB106_2 Depth=1
	s_or_b32 exec_lo, exec_lo, s9
	v_add_nc_u32_e32 v55, 1, v54
	v_add_nc_u32_e32 v56, 1, v53
	s_wait_dscnt 0x0
	v_and_b32_e32 v57, 0xff, v51
	v_and_b32_e32 v58, 0xff, v52
	v_cndmask_b32_e64 v55, v55, v54, s8
	v_cndmask_b32_e64 v54, v53, v56, s8
                                        ; implicit-def: $vgpr53
	s_delay_alu instid0(VALU_DEP_3) | instskip(NEXT) | instid1(VALU_DEP_3)
	v_cmp_lt_u16_e64 s10, v58, v57
	v_cmp_ge_i32_e64 s9, v55, v23
	s_delay_alu instid0(VALU_DEP_3)
	v_cmp_lt_i32_e64 s11, v54, v24
	s_or_b32 s9, s9, s10
	s_wait_alu 0xfffe
	s_and_b32 s9, s11, s9
	s_wait_alu 0xfffe
	s_xor_b32 s10, s9, -1
	s_delay_alu instid0(SALU_CYCLE_1) | instskip(NEXT) | instid1(SALU_CYCLE_1)
	s_and_saveexec_b32 s11, s10
	s_xor_b32 s10, exec_lo, s11
; %bb.111:                              ;   in Loop: Header=BB106_2 Depth=1
	ds_load_u8 v53, v55 offset:1
; %bb.112:                              ;   in Loop: Header=BB106_2 Depth=1
	s_or_saveexec_b32 s10, s10
	v_mov_b32_e32 v56, v52
	s_xor_b32 exec_lo, exec_lo, s10
	s_cbranch_execz .LBB106_114
; %bb.113:                              ;   in Loop: Header=BB106_2 Depth=1
	ds_load_u8 v56, v54 offset:1
	s_wait_dscnt 0x1
	v_mov_b32_e32 v53, v51
.LBB106_114:                            ;   in Loop: Header=BB106_2 Depth=1
	s_or_b32 exec_lo, exec_lo, s10
	v_add_nc_u32_e32 v57, 1, v55
	v_add_nc_u32_e32 v58, 1, v54
	s_wait_dscnt 0x0
	v_and_b32_e32 v59, 0xff, v53
	v_and_b32_e32 v60, 0xff, v56
	v_cndmask_b32_e64 v51, v51, v52, s9
	v_cndmask_b32_e64 v55, v57, v55, s9
	;; [unrolled: 1-line block ×4, first 2 shown]
	v_cmp_lt_u16_e64 s8, v60, v59
	v_cndmask_b32_e64 v47, v47, v48, s7
	v_cmp_ge_i32_e64 s9, v55, v23
	v_cmp_lt_i32_e64 s7, v52, v24
	s_wait_loadcnt 0x0
	s_barrier_signal -1
	s_barrier_wait -1
	s_or_b32 s8, s9, s8
	global_inv scope:SCOPE_SE
	s_wait_alu 0xfffe
	s_and_b32 s7, s7, s8
	s_wait_alu 0xfffe
	v_cndmask_b32_e64 v48, v53, v56, s7
	ds_store_b8 v1, v47
	ds_store_b8 v1, v49 offset:1
	ds_store_b8 v1, v51 offset:2
	;; [unrolled: 1-line block ×3, first 2 shown]
	v_mov_b32_e32 v51, v9
	s_wait_loadcnt_dscnt 0x0
	s_barrier_signal -1
	s_barrier_wait -1
	global_inv scope:SCOPE_SE
	s_and_saveexec_b32 s8, vcc_lo
	s_cbranch_execz .LBB106_118
; %bb.115:                              ;   in Loop: Header=BB106_2 Depth=1
	v_mov_b32_e32 v51, v9
	v_mov_b32_e32 v47, v10
	s_mov_b32 s9, 0
.LBB106_116:                            ;   Parent Loop BB106_2 Depth=1
                                        ; =>  This Inner Loop Header: Depth=2
	s_delay_alu instid0(VALU_DEP_1) | instskip(NEXT) | instid1(VALU_DEP_1)
	v_sub_nc_u32_e32 v48, v47, v51
	v_lshrrev_b32_e32 v48, 1, v48
	s_delay_alu instid0(VALU_DEP_1) | instskip(NEXT) | instid1(VALU_DEP_1)
	v_add_nc_u32_e32 v48, v48, v51
	v_xad_u32 v49, v48, -1, v46
	v_add_nc_u32_e32 v52, 1, v48
	ds_load_u8 v50, v48
	ds_load_u8 v49, v49
	s_wait_dscnt 0x0
	v_cmp_lt_u16_e64 s7, v49, v50
	s_wait_alu 0xf1ff
	s_delay_alu instid0(VALU_DEP_1) | instskip(SKIP_1) | instid1(VALU_DEP_1)
	v_cndmask_b32_e64 v47, v47, v48, s7
	v_cndmask_b32_e64 v51, v52, v51, s7
	v_cmp_ge_i32_e64 s7, v51, v47
	s_wait_alu 0xfffe
	s_or_b32 s9, s7, s9
	s_wait_alu 0xfffe
	s_and_not1_b32 exec_lo, exec_lo, s9
	s_cbranch_execnz .LBB106_116
; %bb.117:                              ;   in Loop: Header=BB106_2 Depth=1
	s_or_b32 exec_lo, exec_lo, s9
.LBB106_118:                            ;   in Loop: Header=BB106_2 Depth=1
	s_wait_alu 0xfffe
	s_or_b32 exec_lo, exec_lo, s8
	v_sub_nc_u32_e32 v52, v46, v51
	v_cmp_le_i32_e64 s7, 0x200, v51
	ds_load_u8 v47, v51
	ds_load_u8 v48, v52
	v_cmp_gt_i32_e64 s9, 0x400, v52
	s_wait_dscnt 0x1
	v_and_b32_e32 v49, 0xff, v47
	s_wait_dscnt 0x0
	v_and_b32_e32 v50, 0xff, v48
	s_delay_alu instid0(VALU_DEP_1)
	v_cmp_lt_u16_e64 s8, v50, v49
                                        ; implicit-def: $vgpr49
	s_or_b32 s7, s7, s8
	s_wait_alu 0xfffe
	s_and_b32 s7, s9, s7
	s_wait_alu 0xfffe
	s_xor_b32 s8, s7, -1
	s_wait_alu 0xfffe
	s_and_saveexec_b32 s9, s8
	s_wait_alu 0xfffe
	s_xor_b32 s8, exec_lo, s9
; %bb.119:                              ;   in Loop: Header=BB106_2 Depth=1
	ds_load_u8 v49, v51 offset:1
; %bb.120:                              ;   in Loop: Header=BB106_2 Depth=1
	s_wait_alu 0xfffe
	s_or_saveexec_b32 s8, s8
	v_mov_b32_e32 v50, v48
	s_wait_alu 0xfffe
	s_xor_b32 exec_lo, exec_lo, s8
	s_cbranch_execz .LBB106_122
; %bb.121:                              ;   in Loop: Header=BB106_2 Depth=1
	ds_load_u8 v50, v52 offset:1
	s_wait_dscnt 0x1
	v_mov_b32_e32 v49, v47
.LBB106_122:                            ;   in Loop: Header=BB106_2 Depth=1
	s_or_b32 exec_lo, exec_lo, s8
	v_add_nc_u32_e32 v53, 1, v51
	v_add_nc_u32_e32 v55, 1, v52
	s_wait_dscnt 0x0
	v_and_b32_e32 v56, 0xff, v49
	s_delay_alu instid0(VALU_DEP_3) | instskip(SKIP_2) | instid1(VALU_DEP_3)
	v_cndmask_b32_e64 v54, v53, v51, s7
	v_and_b32_e32 v51, 0xff, v50
	v_cndmask_b32_e64 v53, v52, v55, s7
	v_cmp_le_i32_e64 s8, 0x200, v54
	s_delay_alu instid0(VALU_DEP_3) | instskip(NEXT) | instid1(VALU_DEP_3)
	v_cmp_lt_u16_e64 s9, v51, v56
	v_cmp_gt_i32_e64 s10, 0x400, v53
                                        ; implicit-def: $vgpr51
	s_or_b32 s8, s8, s9
	s_wait_alu 0xfffe
	s_and_b32 s8, s10, s8
	s_wait_alu 0xfffe
	s_xor_b32 s9, s8, -1
	s_wait_alu 0xfffe
	s_and_saveexec_b32 s10, s9
	s_delay_alu instid0(SALU_CYCLE_1)
	s_xor_b32 s9, exec_lo, s10
; %bb.123:                              ;   in Loop: Header=BB106_2 Depth=1
	ds_load_u8 v51, v54 offset:1
; %bb.124:                              ;   in Loop: Header=BB106_2 Depth=1
	s_wait_alu 0xfffe
	s_or_saveexec_b32 s9, s9
	v_mov_b32_e32 v52, v50
	s_wait_alu 0xfffe
	s_xor_b32 exec_lo, exec_lo, s9
	s_cbranch_execz .LBB106_126
; %bb.125:                              ;   in Loop: Header=BB106_2 Depth=1
	ds_load_u8 v52, v53 offset:1
	s_wait_dscnt 0x1
	v_mov_b32_e32 v51, v49
.LBB106_126:                            ;   in Loop: Header=BB106_2 Depth=1
	s_or_b32 exec_lo, exec_lo, s9
	v_add_nc_u32_e32 v55, 1, v54
	v_add_nc_u32_e32 v57, 1, v53
	s_wait_dscnt 0x0
	v_and_b32_e32 v58, 0xff, v51
	s_delay_alu instid0(VALU_DEP_3) | instskip(SKIP_2) | instid1(VALU_DEP_3)
	v_cndmask_b32_e64 v56, v55, v54, s8
	v_and_b32_e32 v54, 0xff, v52
	v_cndmask_b32_e64 v53, v53, v57, s8
                                        ; implicit-def: $vgpr55
	v_cmp_le_i32_e64 s9, 0x200, v56
	s_delay_alu instid0(VALU_DEP_3) | instskip(NEXT) | instid1(VALU_DEP_3)
	v_cmp_lt_u16_e64 s10, v54, v58
	v_cmp_gt_i32_e64 s11, 0x400, v53
                                        ; implicit-def: $vgpr54
	s_or_b32 s9, s9, s10
	s_wait_alu 0xfffe
	s_and_b32 s9, s11, s9
	s_wait_alu 0xfffe
	s_xor_b32 s10, s9, -1
	s_delay_alu instid0(SALU_CYCLE_1) | instskip(NEXT) | instid1(SALU_CYCLE_1)
	s_and_saveexec_b32 s11, s10
	s_xor_b32 s10, exec_lo, s11
; %bb.127:                              ;   in Loop: Header=BB106_2 Depth=1
	ds_load_u8 v54, v56 offset:1
	v_add_nc_u32_e32 v55, 1, v56
                                        ; implicit-def: $vgpr56
; %bb.128:                              ;   in Loop: Header=BB106_2 Depth=1
	s_or_saveexec_b32 s10, s10
	v_mov_b32_e32 v57, v52
	s_xor_b32 exec_lo, exec_lo, s10
	s_cbranch_execz .LBB106_1
; %bb.129:                              ;   in Loop: Header=BB106_2 Depth=1
	ds_load_u8 v57, v53 offset:1
	s_wait_dscnt 0x1
	v_dual_mov_b32 v54, v51 :: v_dual_add_nc_u32 v53, 1, v53
	v_mov_b32_e32 v55, v56
	s_branch .LBB106_1
.LBB106_130:
	s_add_nc_u64 s[0:1], s[14:15], s[16:17]
	s_wait_alu 0xfffe
	v_add_co_u32 v0, s0, s0, v0
	s_wait_alu 0xf1ff
	v_add_co_ci_u32_e64 v1, null, s1, 0, s0
	s_clause 0x3
	global_store_b8 v[0:1], v47, off
	global_store_b8 v[0:1], v48, off offset:256
	global_store_b8 v[0:1], v49, off offset:512
	;; [unrolled: 1-line block ×3, first 2 shown]
	s_endpgm
	.section	.rodata,"a",@progbits
	.p2align	6, 0x0
	.amdhsa_kernel _Z16sort_keys_kernelIhLj256ELj4EN10test_utils4lessELj10EEvPKT_PS2_T2_
		.amdhsa_group_segment_fixed_size 1025
		.amdhsa_private_segment_fixed_size 0
		.amdhsa_kernarg_size 20
		.amdhsa_user_sgpr_count 2
		.amdhsa_user_sgpr_dispatch_ptr 0
		.amdhsa_user_sgpr_queue_ptr 0
		.amdhsa_user_sgpr_kernarg_segment_ptr 1
		.amdhsa_user_sgpr_dispatch_id 0
		.amdhsa_user_sgpr_private_segment_size 0
		.amdhsa_wavefront_size32 1
		.amdhsa_uses_dynamic_stack 0
		.amdhsa_enable_private_segment 0
		.amdhsa_system_sgpr_workgroup_id_x 1
		.amdhsa_system_sgpr_workgroup_id_y 0
		.amdhsa_system_sgpr_workgroup_id_z 0
		.amdhsa_system_sgpr_workgroup_info 0
		.amdhsa_system_vgpr_workitem_id 0
		.amdhsa_next_free_vgpr 64
		.amdhsa_next_free_sgpr 18
		.amdhsa_reserve_vcc 1
		.amdhsa_float_round_mode_32 0
		.amdhsa_float_round_mode_16_64 0
		.amdhsa_float_denorm_mode_32 3
		.amdhsa_float_denorm_mode_16_64 3
		.amdhsa_fp16_overflow 0
		.amdhsa_workgroup_processor_mode 1
		.amdhsa_memory_ordered 1
		.amdhsa_forward_progress 1
		.amdhsa_inst_pref_size 62
		.amdhsa_round_robin_scheduling 0
		.amdhsa_exception_fp_ieee_invalid_op 0
		.amdhsa_exception_fp_denorm_src 0
		.amdhsa_exception_fp_ieee_div_zero 0
		.amdhsa_exception_fp_ieee_overflow 0
		.amdhsa_exception_fp_ieee_underflow 0
		.amdhsa_exception_fp_ieee_inexact 0
		.amdhsa_exception_int_div_zero 0
	.end_amdhsa_kernel
	.section	.text._Z16sort_keys_kernelIhLj256ELj4EN10test_utils4lessELj10EEvPKT_PS2_T2_,"axG",@progbits,_Z16sort_keys_kernelIhLj256ELj4EN10test_utils4lessELj10EEvPKT_PS2_T2_,comdat
.Lfunc_end106:
	.size	_Z16sort_keys_kernelIhLj256ELj4EN10test_utils4lessELj10EEvPKT_PS2_T2_, .Lfunc_end106-_Z16sort_keys_kernelIhLj256ELj4EN10test_utils4lessELj10EEvPKT_PS2_T2_
                                        ; -- End function
	.set _Z16sort_keys_kernelIhLj256ELj4EN10test_utils4lessELj10EEvPKT_PS2_T2_.num_vgpr, 64
	.set _Z16sort_keys_kernelIhLj256ELj4EN10test_utils4lessELj10EEvPKT_PS2_T2_.num_agpr, 0
	.set _Z16sort_keys_kernelIhLj256ELj4EN10test_utils4lessELj10EEvPKT_PS2_T2_.numbered_sgpr, 18
	.set _Z16sort_keys_kernelIhLj256ELj4EN10test_utils4lessELj10EEvPKT_PS2_T2_.num_named_barrier, 0
	.set _Z16sort_keys_kernelIhLj256ELj4EN10test_utils4lessELj10EEvPKT_PS2_T2_.private_seg_size, 0
	.set _Z16sort_keys_kernelIhLj256ELj4EN10test_utils4lessELj10EEvPKT_PS2_T2_.uses_vcc, 1
	.set _Z16sort_keys_kernelIhLj256ELj4EN10test_utils4lessELj10EEvPKT_PS2_T2_.uses_flat_scratch, 0
	.set _Z16sort_keys_kernelIhLj256ELj4EN10test_utils4lessELj10EEvPKT_PS2_T2_.has_dyn_sized_stack, 0
	.set _Z16sort_keys_kernelIhLj256ELj4EN10test_utils4lessELj10EEvPKT_PS2_T2_.has_recursion, 0
	.set _Z16sort_keys_kernelIhLj256ELj4EN10test_utils4lessELj10EEvPKT_PS2_T2_.has_indirect_call, 0
	.section	.AMDGPU.csdata,"",@progbits
; Kernel info:
; codeLenInByte = 7932
; TotalNumSgprs: 20
; NumVgprs: 64
; ScratchSize: 0
; MemoryBound: 0
; FloatMode: 240
; IeeeMode: 1
; LDSByteSize: 1025 bytes/workgroup (compile time only)
; SGPRBlocks: 0
; VGPRBlocks: 7
; NumSGPRsForWavesPerEU: 20
; NumVGPRsForWavesPerEU: 64
; Occupancy: 16
; WaveLimiterHint : 1
; COMPUTE_PGM_RSRC2:SCRATCH_EN: 0
; COMPUTE_PGM_RSRC2:USER_SGPR: 2
; COMPUTE_PGM_RSRC2:TRAP_HANDLER: 0
; COMPUTE_PGM_RSRC2:TGID_X_EN: 1
; COMPUTE_PGM_RSRC2:TGID_Y_EN: 0
; COMPUTE_PGM_RSRC2:TGID_Z_EN: 0
; COMPUTE_PGM_RSRC2:TIDIG_COMP_CNT: 0
	.section	.text._Z17sort_pairs_kernelIhLj256ELj4EN10test_utils4lessELj10EEvPKT_PS2_T2_,"axG",@progbits,_Z17sort_pairs_kernelIhLj256ELj4EN10test_utils4lessELj10EEvPKT_PS2_T2_,comdat
	.protected	_Z17sort_pairs_kernelIhLj256ELj4EN10test_utils4lessELj10EEvPKT_PS2_T2_ ; -- Begin function _Z17sort_pairs_kernelIhLj256ELj4EN10test_utils4lessELj10EEvPKT_PS2_T2_
	.globl	_Z17sort_pairs_kernelIhLj256ELj4EN10test_utils4lessELj10EEvPKT_PS2_T2_
	.p2align	8
	.type	_Z17sort_pairs_kernelIhLj256ELj4EN10test_utils4lessELj10EEvPKT_PS2_T2_,@function
_Z17sort_pairs_kernelIhLj256ELj4EN10test_utils4lessELj10EEvPKT_PS2_T2_: ; @_Z17sort_pairs_kernelIhLj256ELj4EN10test_utils4lessELj10EEvPKT_PS2_T2_
; %bb.0:
	s_load_b128 s[16:19], s[0:1], 0x0
	s_lshl_b32 s20, ttmp9, 10
	s_mov_b32 s21, 0
	v_lshlrev_b32_e32 v1, 2, v0
	s_mov_b32 s22, s21
	s_delay_alu instid0(VALU_DEP_1)
	v_and_b32_e32 v2, 0x3f8, v1
	v_and_b32_e32 v3, 0x3f0, v1
	;; [unrolled: 1-line block ×5, first 2 shown]
	v_or_b32_e32 v11, 4, v2
	v_add_nc_u32_e32 v12, 8, v2
	v_or_b32_e32 v13, 8, v3
	v_add_nc_u32_e32 v14, 16, v3
	v_and_b32_e32 v5, 0x3c0, v1
	v_or_b32_e32 v15, 16, v4
	v_sub_nc_u32_e32 v46, v12, v11
	s_wait_kmcnt 0x0
	s_add_nc_u64 s[0:1], s[16:17], s[20:21]
	v_add_nc_u32_e32 v16, 32, v4
	s_clause 0x3
	global_load_u8 v53, v0, s[0:1]
	global_load_u8 v52, v0, s[0:1] offset:256
	global_load_u8 v54, v0, s[0:1] offset:512
	;; [unrolled: 1-line block ×3, first 2 shown]
	v_sub_nc_u32_e32 v32, v11, v2
	v_sub_nc_u32_e32 v47, v14, v13
	;; [unrolled: 1-line block ×3, first 2 shown]
	v_cmp_ge_i32_e64 s0, v39, v46
	v_and_b32_e32 v41, 28, v1
	v_and_b32_e32 v6, 0x380, v1
	v_or_b32_e32 v17, 32, v5
	v_add_nc_u32_e32 v18, 64, v5
	v_add_nc_u32_e32 v25, v11, v39
	v_sub_nc_u32_e32 v33, v13, v3
	v_sub_nc_u32_e32 v48, v16, v15
	v_min_i32_e32 v32, v39, v32
	v_sub_nc_u32_e32 v58, v40, v47
	v_cndmask_b32_e64 v39, 0, v57, s0
	v_cmp_ge_i32_e64 s0, v40, v47
	v_and_b32_e32 v42, 60, v1
	v_and_b32_e32 v7, 0x300, v1
	v_or_b32_e32 v19, 64, v6
	v_add_nc_u32_e32 v20, 0x80, v6
	v_add_nc_u32_e32 v26, v13, v40
	v_sub_nc_u32_e32 v34, v15, v4
	v_sub_nc_u32_e32 v49, v18, v17
	v_min_i32_e32 v33, v40, v33
	v_sub_nc_u32_e32 v59, v41, v48
	s_wait_alu 0xf1ff
	v_cndmask_b32_e64 v40, 0, v58, s0
	v_cmp_ge_i32_e64 s0, v41, v48
	v_and_b32_e32 v43, 0x7c, v1
	v_and_b32_e32 v8, 0x200, v1
	v_or_b32_e32 v21, 0x80, v7
	v_add_nc_u32_e32 v22, 0x100, v7
	v_add_nc_u32_e32 v27, v15, v41
	v_sub_nc_u32_e32 v35, v17, v5
	v_sub_nc_u32_e32 v50, v20, v19
	v_min_i32_e32 v34, v41, v34
	v_sub_nc_u32_e32 v60, v42, v49
	s_wait_alu 0xf1ff
	v_cndmask_b32_e64 v41, 0, v59, s0
	v_cmp_ge_i32_e64 s0, v42, v49
	v_and_b32_e32 v44, 0xfc, v1
	v_or_b32_e32 v23, 0x100, v8
	v_add_nc_u32_e32 v24, 0x200, v8
	v_add_nc_u32_e32 v28, v17, v42
	v_sub_nc_u32_e32 v36, v19, v6
	v_sub_nc_u32_e32 v55, v22, v21
	v_min_i32_e32 v35, v42, v35
	v_sub_nc_u32_e32 v61, v43, v50
	s_wait_alu 0xf1ff
	v_cndmask_b32_e64 v42, 0, v60, s0
	v_cmp_ge_i32_e64 s0, v43, v50
	v_and_b32_e32 v45, 0x1fc, v1
	v_add_nc_u32_e32 v29, v19, v43
	v_sub_nc_u32_e32 v37, v21, v7
	v_sub_nc_u32_e32 v56, v24, v23
	v_min_i32_e32 v36, v43, v36
	v_sub_nc_u32_e32 v62, v44, v55
	s_wait_alu 0xf1ff
	v_cndmask_b32_e64 v43, 0, v61, s0
	v_cmp_ge_i32_e64 s0, v44, v55
	v_add_nc_u32_e32 v30, v21, v44
	v_sub_nc_u32_e32 v38, v23, v8
	v_min_i32_e32 v37, v44, v37
	v_sub_nc_u32_e32 v63, v45, v56
	s_wait_alu 0xf1ff
	v_cndmask_b32_e64 v44, 0, v62, s0
	v_cmp_ge_i32_e64 s0, v45, v56
	v_add_nc_u32_e32 v31, v23, v45
	v_min_i32_e32 v38, v45, v38
	v_subrev_nc_u32_e64 v9, 0x200, v1 clamp
	v_min_i32_e32 v10, 0x200, v1
	s_wait_alu 0xf1ff
	v_cndmask_b32_e64 v45, 0, v63, s0
	v_cmp_lt_i32_e64 s0, v39, v32
	v_cmp_lt_i32_e64 s1, v40, v33
	;; [unrolled: 1-line block ×7, first 2 shown]
	v_add_nc_u32_e32 v46, 0x200, v1
	v_cmp_lt_i32_e32 vcc_lo, v9, v10
	s_wait_loadcnt 0x3
	v_add_nc_u16 v50, v53, 1
	s_wait_loadcnt 0x2
	v_add_nc_u16 v49, v52, 1
	;; [unrolled: 2-line block ×4, first 2 shown]
	s_branch .LBB107_2
.LBB107_1:                              ;   in Loop: Header=BB107_2 Depth=1
	s_or_b32 exec_lo, exec_lo, s10
	s_wait_dscnt 0x0
	s_delay_alu instid0(VALU_DEP_1)
	v_and_b32_e32 v66, 0xff, v63
	v_and_b32_e32 v67, 0xff, v65
	v_cmp_le_i32_e64 s10, 0x200, v62
	v_cmp_gt_i32_e64 s12, 0x400, v61
	v_cndmask_b32_e64 v56, v51, v56, s7
	v_cndmask_b32_e64 v59, v59, v60, s8
	v_cmp_lt_u16_e64 s11, v67, v66
	s_wait_loadcnt 0x0
	s_barrier_signal -1
	s_barrier_wait -1
	global_inv scope:SCOPE_SE
	s_or_b32 s10, s10, s11
	ds_store_b8 v1, v47
	ds_store_b8 v1, v49 offset:1
	ds_store_b8 v1, v50 offset:2
	;; [unrolled: 1-line block ×3, first 2 shown]
	s_wait_alu 0xfffe
	s_and_b32 s10, s12, s10
	s_wait_loadcnt_dscnt 0x0
	s_wait_alu 0xfffe
	v_cndmask_b32_e64 v60, v62, v61, s10
	s_barrier_signal -1
	s_barrier_wait -1
	global_inv scope:SCOPE_SE
	ds_load_u8 v50, v56
	ds_load_u8 v47, v64
	;; [unrolled: 1-line block ×4, first 2 shown]
	v_cndmask_b32_e64 v51, v63, v65, s10
	v_cndmask_b32_e64 v53, v52, v53, s7
	;; [unrolled: 1-line block ×4, first 2 shown]
	s_add_co_i32 s22, s22, 1
	s_delay_alu instid0(SALU_CYCLE_1)
	s_cmp_eq_u32 s22, 10
	s_cbranch_scc1 .LBB107_130
.LBB107_2:                              ; =>This Loop Header: Depth=1
                                        ;     Child Loop BB107_4 Depth 2
                                        ;     Child Loop BB107_20 Depth 2
	;; [unrolled: 1-line block ×8, first 2 shown]
	s_delay_alu instid0(VALU_DEP_1)
	v_perm_b32 v51, v54, v51, 0xc0c0004
	v_perm_b32 v54, v52, v53, 0xc0c0004
	;; [unrolled: 1-line block ×3, first 2 shown]
	v_and_b32_e32 v53, 0xff, v53
	v_and_b32_e32 v52, 0xff, v52
	v_lshlrev_b32_e32 v51, 16, v51
	s_barrier_signal -1
	s_barrier_wait -1
	s_delay_alu instid0(VALU_DEP_2) | instskip(NEXT) | instid1(VALU_DEP_2)
	v_cmp_lt_u16_e64 s7, v52, v53
	v_or_b32_e32 v54, v54, v51
	v_or_b32_e32 v51, v55, v51
	global_inv scope:SCOPE_SE
	s_wait_alu 0xf1ff
	v_cndmask_b32_e64 v51, v51, v54, s7
	s_delay_alu instid0(VALU_DEP_1) | instskip(SKIP_1) | instid1(VALU_DEP_2)
	v_lshrrev_b32_e32 v52, 16, v51
	v_lshrrev_b32_e32 v54, 24, v51
	v_perm_b32 v53, 0, v52, 0xc0c0001
	v_and_b32_e32 v52, 0xff, v52
	s_delay_alu instid0(VALU_DEP_2) | instskip(NEXT) | instid1(VALU_DEP_2)
	v_lshlrev_b32_e32 v53, 16, v53
	v_cmp_lt_u16_e64 s8, v54, v52
	v_min_u16 v52, v54, v52
	s_delay_alu instid0(VALU_DEP_3) | instskip(NEXT) | instid1(VALU_DEP_2)
	v_and_or_b32 v53, 0xffff, v51, v53
	v_lshlrev_b16 v54, 8, v52
	s_wait_alu 0xf1ff
	s_delay_alu instid0(VALU_DEP_2) | instskip(NEXT) | instid1(VALU_DEP_1)
	v_cndmask_b32_e64 v51, v51, v53, s8
	v_lshrrev_b32_e32 v53, 16, v51
	v_lshrrev_b16 v55, 8, v51
	v_and_b32_e32 v56, 0xff, v51
	s_delay_alu instid0(VALU_DEP_3) | instskip(NEXT) | instid1(VALU_DEP_2)
	v_and_b32_e32 v53, 0xffffff00, v53
	v_or_b32_e32 v54, v56, v54
	s_delay_alu instid0(VALU_DEP_2) | instskip(SKIP_1) | instid1(VALU_DEP_3)
	v_or_b32_e32 v53, v55, v53
	v_lshrrev_b32_e32 v55, 8, v51
	v_and_b32_e32 v54, 0xffff, v54
	s_delay_alu instid0(VALU_DEP_3) | instskip(NEXT) | instid1(VALU_DEP_3)
	v_lshlrev_b32_e32 v53, 16, v53
	v_and_b32_e32 v55, 0xff, v55
	s_delay_alu instid0(VALU_DEP_2) | instskip(NEXT) | instid1(VALU_DEP_2)
	v_or_b32_e32 v53, v54, v53
	v_cmp_lt_u16_e64 s9, v52, v55
	v_min_u16 v52, v52, v55
	s_wait_alu 0xf1ff
	s_delay_alu instid0(VALU_DEP_2) | instskip(NEXT) | instid1(VALU_DEP_1)
	v_cndmask_b32_e64 v51, v51, v53, s9
	v_lshlrev_b16 v53, 8, v51
	v_and_b32_e32 v54, 0xff, v51
	s_delay_alu instid0(VALU_DEP_2) | instskip(NEXT) | instid1(VALU_DEP_2)
	v_or_b32_e32 v53, v52, v53
	v_cmp_lt_u16_e64 s11, v52, v54
	s_delay_alu instid0(VALU_DEP_2) | instskip(NEXT) | instid1(VALU_DEP_1)
	v_and_b32_e32 v53, 0xffff, v53
	v_and_or_b32 v53, 0xffff0000, v51, v53
	s_wait_alu 0xf1ff
	s_delay_alu instid0(VALU_DEP_1) | instskip(NEXT) | instid1(VALU_DEP_1)
	v_cndmask_b32_e64 v51, v51, v53, s11
	v_lshrrev_b32_e32 v52, 16, v51
	v_lshrrev_b32_e32 v54, 24, v51
	s_delay_alu instid0(VALU_DEP_2) | instskip(SKIP_1) | instid1(VALU_DEP_2)
	v_perm_b32 v53, 0, v52, 0xc0c0001
	v_and_b32_e32 v52, 0xff, v52
	v_lshlrev_b32_e32 v53, 16, v53
	s_delay_alu instid0(VALU_DEP_2) | instskip(SKIP_1) | instid1(VALU_DEP_3)
	v_cmp_lt_u16_e64 s10, v54, v52
	v_min_u16 v52, v54, v52
	v_and_or_b32 v53, 0xffff, v51, v53
	s_delay_alu instid0(VALU_DEP_2) | instskip(SKIP_1) | instid1(VALU_DEP_2)
	v_lshlrev_b16 v54, 8, v52
	s_wait_alu 0xf1ff
	v_cndmask_b32_e64 v51, v51, v53, s10
	s_delay_alu instid0(VALU_DEP_1) | instskip(SKIP_2) | instid1(VALU_DEP_3)
	v_lshrrev_b32_e32 v53, 16, v51
	v_lshrrev_b16 v55, 8, v51
	v_and_b32_e32 v56, 0xff, v51
	v_and_b32_e32 v53, 0xffffff00, v53
	s_delay_alu instid0(VALU_DEP_2) | instskip(NEXT) | instid1(VALU_DEP_2)
	v_or_b32_e32 v54, v56, v54
	v_or_b32_e32 v53, v55, v53
	v_lshrrev_b32_e32 v55, 8, v51
	s_delay_alu instid0(VALU_DEP_3) | instskip(NEXT) | instid1(VALU_DEP_3)
	v_and_b32_e32 v54, 0xffff, v54
	v_lshlrev_b32_e32 v53, 16, v53
	s_delay_alu instid0(VALU_DEP_3) | instskip(NEXT) | instid1(VALU_DEP_2)
	v_and_b32_e32 v55, 0xff, v55
	v_or_b32_e32 v53, v54, v53
	s_delay_alu instid0(VALU_DEP_2) | instskip(SKIP_1) | instid1(VALU_DEP_1)
	v_cmp_lt_u16_e64 s12, v52, v55
	s_wait_alu 0xf1ff
	v_cndmask_b32_e64 v52, v51, v53, s12
	v_mov_b32_e32 v51, v39
	ds_store_b32 v1, v52
	s_wait_loadcnt_dscnt 0x0
	s_barrier_signal -1
	s_barrier_wait -1
	global_inv scope:SCOPE_SE
	s_and_saveexec_b32 s14, s0
	s_cbranch_execz .LBB107_6
; %bb.3:                                ;   in Loop: Header=BB107_2 Depth=1
	v_dual_mov_b32 v51, v39 :: v_dual_mov_b32 v52, v32
	s_mov_b32 s15, 0
.LBB107_4:                              ;   Parent Loop BB107_2 Depth=1
                                        ; =>  This Inner Loop Header: Depth=2
	s_delay_alu instid0(VALU_DEP_1) | instskip(NEXT) | instid1(VALU_DEP_1)
	v_sub_nc_u32_e32 v53, v52, v51
	v_lshrrev_b32_e32 v53, 1, v53
	s_delay_alu instid0(VALU_DEP_1) | instskip(NEXT) | instid1(VALU_DEP_1)
	v_add_nc_u32_e32 v53, v53, v51
	v_add_nc_u32_e32 v54, v2, v53
	v_xad_u32 v55, v53, -1, v25
	v_add_nc_u32_e32 v56, 1, v53
	ds_load_u8 v54, v54
	ds_load_u8 v55, v55
	s_wait_dscnt 0x0
	v_cmp_lt_u16_e64 s13, v55, v54
	s_wait_alu 0xf1ff
	s_delay_alu instid0(VALU_DEP_1) | instskip(SKIP_1) | instid1(VALU_DEP_1)
	v_cndmask_b32_e64 v52, v52, v53, s13
	v_cndmask_b32_e64 v51, v56, v51, s13
	v_cmp_ge_i32_e64 s13, v51, v52
	s_wait_alu 0xfffe
	s_or_b32 s15, s13, s15
	s_wait_alu 0xfffe
	s_and_not1_b32 exec_lo, exec_lo, s15
	s_cbranch_execnz .LBB107_4
; %bb.5:                                ;   in Loop: Header=BB107_2 Depth=1
	s_or_b32 exec_lo, exec_lo, s15
.LBB107_6:                              ;   in Loop: Header=BB107_2 Depth=1
	s_wait_alu 0xfffe
	s_or_b32 exec_lo, exec_lo, s14
	v_add_nc_u32_e32 v55, v51, v2
	v_sub_nc_u32_e32 v56, v25, v51
	ds_load_u8 v51, v55
	ds_load_u8 v52, v56
	v_cmp_le_i32_e64 s13, v11, v55
	v_cmp_gt_i32_e64 s15, v12, v56
	s_wait_dscnt 0x1
	v_and_b32_e32 v53, 0xff, v51
	s_wait_dscnt 0x0
	v_and_b32_e32 v54, 0xff, v52
	s_delay_alu instid0(VALU_DEP_1)
	v_cmp_lt_u16_e64 s14, v54, v53
                                        ; implicit-def: $vgpr53
	s_or_b32 s13, s13, s14
	s_wait_alu 0xfffe
	s_and_b32 s13, s15, s13
	s_wait_alu 0xfffe
	s_xor_b32 s14, s13, -1
	s_wait_alu 0xfffe
	s_and_saveexec_b32 s15, s14
	s_wait_alu 0xfffe
	s_xor_b32 s14, exec_lo, s15
; %bb.7:                                ;   in Loop: Header=BB107_2 Depth=1
	ds_load_u8 v53, v55 offset:1
; %bb.8:                                ;   in Loop: Header=BB107_2 Depth=1
	s_wait_alu 0xfffe
	s_or_saveexec_b32 s14, s14
	v_mov_b32_e32 v54, v52
	s_wait_alu 0xfffe
	s_xor_b32 exec_lo, exec_lo, s14
	s_cbranch_execz .LBB107_10
; %bb.9:                                ;   in Loop: Header=BB107_2 Depth=1
	ds_load_u8 v54, v56 offset:1
	s_wait_dscnt 0x1
	v_mov_b32_e32 v53, v51
.LBB107_10:                             ;   in Loop: Header=BB107_2 Depth=1
	s_or_b32 exec_lo, exec_lo, s14
	v_add_nc_u32_e32 v57, 1, v55
	v_add_nc_u32_e32 v58, 1, v56
	s_wait_dscnt 0x0
	v_and_b32_e32 v61, 0xff, v53
	s_delay_alu instid0(VALU_DEP_3) | instskip(SKIP_2) | instid1(VALU_DEP_3)
	v_cndmask_b32_e64 v59, v57, v55, s13
	v_and_b32_e32 v57, 0xff, v54
	v_cndmask_b32_e64 v60, v56, v58, s13
	v_cmp_ge_i32_e64 s14, v59, v11
	s_delay_alu instid0(VALU_DEP_3) | instskip(NEXT) | instid1(VALU_DEP_3)
	v_cmp_lt_u16_e64 s15, v57, v61
	v_cmp_lt_i32_e64 s16, v60, v12
                                        ; implicit-def: $vgpr57
	s_or_b32 s14, s14, s15
	s_wait_alu 0xfffe
	s_and_b32 s14, s16, s14
	s_wait_alu 0xfffe
	s_xor_b32 s15, s14, -1
	s_wait_alu 0xfffe
	s_and_saveexec_b32 s16, s15
	s_delay_alu instid0(SALU_CYCLE_1)
	s_xor_b32 s15, exec_lo, s16
; %bb.11:                               ;   in Loop: Header=BB107_2 Depth=1
	ds_load_u8 v57, v59 offset:1
; %bb.12:                               ;   in Loop: Header=BB107_2 Depth=1
	s_wait_alu 0xfffe
	s_or_saveexec_b32 s15, s15
	v_mov_b32_e32 v58, v54
	s_wait_alu 0xfffe
	s_xor_b32 exec_lo, exec_lo, s15
	s_cbranch_execz .LBB107_14
; %bb.13:                               ;   in Loop: Header=BB107_2 Depth=1
	ds_load_u8 v58, v60 offset:1
	s_wait_dscnt 0x1
	v_mov_b32_e32 v57, v53
.LBB107_14:                             ;   in Loop: Header=BB107_2 Depth=1
	s_or_b32 exec_lo, exec_lo, s15
	v_add_nc_u32_e32 v61, 1, v59
	v_add_nc_u32_e32 v62, 1, v60
	s_wait_dscnt 0x0
	v_and_b32_e32 v64, 0xff, v57
	s_delay_alu instid0(VALU_DEP_3) | instskip(SKIP_2) | instid1(VALU_DEP_3)
	v_cndmask_b32_e64 v63, v61, v59, s14
	v_and_b32_e32 v61, 0xff, v58
	v_cndmask_b32_e64 v62, v60, v62, s14
	v_cmp_ge_i32_e64 s15, v63, v11
	s_delay_alu instid0(VALU_DEP_3) | instskip(NEXT) | instid1(VALU_DEP_3)
	v_cmp_lt_u16_e64 s16, v61, v64
	v_cmp_lt_i32_e64 s17, v62, v12
                                        ; implicit-def: $vgpr61
	s_or_b32 s15, s15, s16
	s_wait_alu 0xfffe
	s_and_b32 s15, s17, s15
	s_wait_alu 0xfffe
	s_xor_b32 s16, s15, -1
	s_delay_alu instid0(SALU_CYCLE_1) | instskip(NEXT) | instid1(SALU_CYCLE_1)
	s_and_saveexec_b32 s17, s16
	s_xor_b32 s16, exec_lo, s17
; %bb.15:                               ;   in Loop: Header=BB107_2 Depth=1
	ds_load_u8 v61, v63 offset:1
; %bb.16:                               ;   in Loop: Header=BB107_2 Depth=1
	s_or_saveexec_b32 s16, s16
	v_mov_b32_e32 v64, v58
	s_xor_b32 exec_lo, exec_lo, s16
	s_cbranch_execz .LBB107_18
; %bb.17:                               ;   in Loop: Header=BB107_2 Depth=1
	ds_load_u8 v64, v62 offset:1
	s_wait_dscnt 0x1
	v_mov_b32_e32 v61, v57
.LBB107_18:                             ;   in Loop: Header=BB107_2 Depth=1
	s_or_b32 exec_lo, exec_lo, s16
	v_perm_b32 v65, v49, v50, 0xc0c0004
	v_perm_b32 v49, v50, v49, 0xc0c0004
	;; [unrolled: 1-line block ×3, first 2 shown]
	v_add_nc_u32_e32 v50, 1, v63
	v_cndmask_b32_e64 v59, v59, v60, s14
	v_cndmask_b32_e64 v55, v55, v56, s13
	;; [unrolled: 1-line block ×3, first 2 shown]
	v_perm_b32 v49, 0, v47, 0xc0c0001
	s_wait_dscnt 0x0
	v_and_b32_e32 v56, 0xff, v61
	v_and_b32_e32 v60, 0xff, v64
	v_cndmask_b32_e64 v50, v50, v63, s15
	v_lshl_or_b32 v47, v47, 16, v48
	v_lshlrev_b32_e32 v48, 16, v49
	v_add_nc_u32_e32 v49, 1, v62
	v_cmp_lt_u16_e64 s7, v60, v56
	v_cndmask_b32_e64 v65, v63, v62, s15
	s_wait_loadcnt 0x0
	v_and_or_b32 v48, 0xffff, v47, v48
	s_barrier_signal -1
	s_barrier_wait -1
	global_inv scope:SCOPE_SE
	v_cndmask_b32_e64 v51, v51, v52, s13
	v_cndmask_b32_e64 v47, v47, v48, s8
	v_cmp_ge_i32_e64 s8, v50, v11
	v_cndmask_b32_e64 v53, v53, v54, s14
	s_delay_alu instid0(VALU_DEP_3) | instskip(SKIP_1) | instid1(VALU_DEP_1)
	v_perm_b32 v48, v47, v47, 0x7050604
	s_or_b32 s7, s8, s7
	v_cndmask_b32_e64 v47, v47, v48, s9
	s_delay_alu instid0(VALU_DEP_1) | instskip(NEXT) | instid1(VALU_DEP_1)
	v_perm_b32 v48, 0, v47, 0xc0c0001
	v_and_or_b32 v48, 0xffff0000, v47, v48
	s_delay_alu instid0(VALU_DEP_1) | instskip(NEXT) | instid1(VALU_DEP_1)
	v_cndmask_b32_e64 v47, v47, v48, s11
	v_lshrrev_b32_e32 v48, 16, v47
	s_delay_alu instid0(VALU_DEP_1) | instskip(NEXT) | instid1(VALU_DEP_1)
	v_perm_b32 v48, 0, v48, 0xc0c0001
	v_lshlrev_b32_e32 v48, 16, v48
	s_delay_alu instid0(VALU_DEP_1) | instskip(NEXT) | instid1(VALU_DEP_1)
	v_and_or_b32 v48, 0xffff, v47, v48
	v_cndmask_b32_e64 v47, v47, v48, s10
	v_cndmask_b32_e64 v48, v62, v49, s15
	s_delay_alu instid0(VALU_DEP_2) | instskip(NEXT) | instid1(VALU_DEP_2)
	v_perm_b32 v49, v47, v47, 0x7050604
	v_cmp_lt_i32_e64 s9, v48, v12
	s_delay_alu instid0(VALU_DEP_2)
	v_cndmask_b32_e64 v47, v47, v49, s12
	s_wait_alu 0xfffe
	s_and_b32 s7, s9, s7
	s_wait_alu 0xfffe
	v_cndmask_b32_e64 v48, v50, v48, s7
	v_cndmask_b32_e64 v56, v61, v64, s7
	ds_store_b32 v1, v47
	s_wait_loadcnt_dscnt 0x0
	s_barrier_signal -1
	s_barrier_wait -1
	global_inv scope:SCOPE_SE
	ds_load_u8 v47, v55
	ds_load_u8 v48, v48
	;; [unrolled: 1-line block ×4, first 2 shown]
	v_cndmask_b32_e64 v55, v57, v58, s15
	s_wait_loadcnt_dscnt 0x0
	s_barrier_signal -1
	s_barrier_wait -1
	global_inv scope:SCOPE_SE
	ds_store_b8 v1, v51
	ds_store_b8 v1, v53 offset:1
	ds_store_b8 v1, v55 offset:2
	;; [unrolled: 1-line block ×3, first 2 shown]
	v_mov_b32_e32 v51, v40
	s_wait_loadcnt_dscnt 0x0
	s_barrier_signal -1
	s_barrier_wait -1
	global_inv scope:SCOPE_SE
	s_and_saveexec_b32 s8, s1
	s_cbranch_execz .LBB107_22
; %bb.19:                               ;   in Loop: Header=BB107_2 Depth=1
	v_dual_mov_b32 v51, v40 :: v_dual_mov_b32 v52, v33
	s_mov_b32 s9, 0
.LBB107_20:                             ;   Parent Loop BB107_2 Depth=1
                                        ; =>  This Inner Loop Header: Depth=2
	s_delay_alu instid0(VALU_DEP_1) | instskip(NEXT) | instid1(VALU_DEP_1)
	v_sub_nc_u32_e32 v53, v52, v51
	v_lshrrev_b32_e32 v53, 1, v53
	s_delay_alu instid0(VALU_DEP_1) | instskip(NEXT) | instid1(VALU_DEP_1)
	v_add_nc_u32_e32 v53, v53, v51
	v_add_nc_u32_e32 v54, v3, v53
	v_xad_u32 v55, v53, -1, v26
	v_add_nc_u32_e32 v56, 1, v53
	ds_load_u8 v54, v54
	ds_load_u8 v55, v55
	s_wait_dscnt 0x0
	v_cmp_lt_u16_e64 s7, v55, v54
	s_wait_alu 0xf1ff
	s_delay_alu instid0(VALU_DEP_1) | instskip(SKIP_1) | instid1(VALU_DEP_1)
	v_cndmask_b32_e64 v52, v52, v53, s7
	v_cndmask_b32_e64 v51, v56, v51, s7
	v_cmp_ge_i32_e64 s7, v51, v52
	s_wait_alu 0xfffe
	s_or_b32 s9, s7, s9
	s_wait_alu 0xfffe
	s_and_not1_b32 exec_lo, exec_lo, s9
	s_cbranch_execnz .LBB107_20
; %bb.21:                               ;   in Loop: Header=BB107_2 Depth=1
	s_or_b32 exec_lo, exec_lo, s9
.LBB107_22:                             ;   in Loop: Header=BB107_2 Depth=1
	s_wait_alu 0xfffe
	s_or_b32 exec_lo, exec_lo, s8
	v_add_nc_u32_e32 v54, v51, v3
	v_sub_nc_u32_e32 v56, v26, v51
	ds_load_u8 v51, v54
	ds_load_u8 v52, v56
	v_cmp_le_i32_e64 s7, v13, v54
	v_cmp_gt_i32_e64 s9, v14, v56
	s_wait_dscnt 0x1
	v_and_b32_e32 v53, 0xff, v51
	s_wait_dscnt 0x0
	v_and_b32_e32 v55, 0xff, v52
	s_delay_alu instid0(VALU_DEP_1)
	v_cmp_lt_u16_e64 s8, v55, v53
                                        ; implicit-def: $vgpr53
	s_or_b32 s7, s7, s8
	s_wait_alu 0xfffe
	s_and_b32 s7, s9, s7
	s_wait_alu 0xfffe
	s_xor_b32 s8, s7, -1
	s_wait_alu 0xfffe
	s_and_saveexec_b32 s9, s8
	s_wait_alu 0xfffe
	s_xor_b32 s8, exec_lo, s9
; %bb.23:                               ;   in Loop: Header=BB107_2 Depth=1
	ds_load_u8 v53, v54 offset:1
; %bb.24:                               ;   in Loop: Header=BB107_2 Depth=1
	s_wait_alu 0xfffe
	s_or_saveexec_b32 s8, s8
	v_mov_b32_e32 v55, v52
	s_wait_alu 0xfffe
	s_xor_b32 exec_lo, exec_lo, s8
	s_cbranch_execz .LBB107_26
; %bb.25:                               ;   in Loop: Header=BB107_2 Depth=1
	ds_load_u8 v55, v56 offset:1
	s_wait_dscnt 0x1
	v_mov_b32_e32 v53, v51
.LBB107_26:                             ;   in Loop: Header=BB107_2 Depth=1
	s_or_b32 exec_lo, exec_lo, s8
	v_add_nc_u32_e32 v57, 1, v54
	v_add_nc_u32_e32 v58, 1, v56
	s_wait_dscnt 0x0
	v_and_b32_e32 v61, 0xff, v53
	s_delay_alu instid0(VALU_DEP_3) | instskip(SKIP_2) | instid1(VALU_DEP_3)
	v_cndmask_b32_e64 v59, v57, v54, s7
	v_and_b32_e32 v57, 0xff, v55
	v_cndmask_b32_e64 v60, v56, v58, s7
	v_cmp_ge_i32_e64 s8, v59, v13
	s_delay_alu instid0(VALU_DEP_3) | instskip(NEXT) | instid1(VALU_DEP_3)
	v_cmp_lt_u16_e64 s9, v57, v61
	v_cmp_lt_i32_e64 s10, v60, v14
                                        ; implicit-def: $vgpr57
	s_or_b32 s8, s8, s9
	s_wait_alu 0xfffe
	s_and_b32 s8, s10, s8
	s_wait_alu 0xfffe
	s_xor_b32 s9, s8, -1
	s_wait_alu 0xfffe
	s_and_saveexec_b32 s10, s9
	s_wait_alu 0xfffe
	s_xor_b32 s9, exec_lo, s10
; %bb.27:                               ;   in Loop: Header=BB107_2 Depth=1
	ds_load_u8 v57, v59 offset:1
; %bb.28:                               ;   in Loop: Header=BB107_2 Depth=1
	s_wait_alu 0xfffe
	s_or_saveexec_b32 s9, s9
	v_mov_b32_e32 v58, v55
	s_wait_alu 0xfffe
	s_xor_b32 exec_lo, exec_lo, s9
	s_cbranch_execz .LBB107_30
; %bb.29:                               ;   in Loop: Header=BB107_2 Depth=1
	ds_load_u8 v58, v60 offset:1
	s_wait_dscnt 0x1
	v_mov_b32_e32 v57, v53
.LBB107_30:                             ;   in Loop: Header=BB107_2 Depth=1
	s_or_b32 exec_lo, exec_lo, s9
	v_add_nc_u32_e32 v61, 1, v59
	v_add_nc_u32_e32 v62, 1, v60
	s_wait_dscnt 0x0
	v_and_b32_e32 v64, 0xff, v57
	s_delay_alu instid0(VALU_DEP_3) | instskip(SKIP_2) | instid1(VALU_DEP_3)
	v_cndmask_b32_e64 v63, v61, v59, s8
	v_and_b32_e32 v61, 0xff, v58
	v_cndmask_b32_e64 v62, v60, v62, s8
	v_cmp_ge_i32_e64 s9, v63, v13
	s_delay_alu instid0(VALU_DEP_3) | instskip(NEXT) | instid1(VALU_DEP_3)
	v_cmp_lt_u16_e64 s10, v61, v64
	v_cmp_lt_i32_e64 s11, v62, v14
                                        ; implicit-def: $vgpr61
	s_or_b32 s9, s9, s10
	s_wait_alu 0xfffe
	s_and_b32 s9, s11, s9
	s_wait_alu 0xfffe
	s_xor_b32 s10, s9, -1
	s_wait_alu 0xfffe
	s_and_saveexec_b32 s11, s10
	s_wait_alu 0xfffe
	s_xor_b32 s10, exec_lo, s11
; %bb.31:                               ;   in Loop: Header=BB107_2 Depth=1
	ds_load_u8 v61, v63 offset:1
; %bb.32:                               ;   in Loop: Header=BB107_2 Depth=1
	s_wait_alu 0xfffe
	s_or_saveexec_b32 s10, s10
	v_mov_b32_e32 v64, v58
	s_wait_alu 0xfffe
	s_xor_b32 exec_lo, exec_lo, s10
	s_cbranch_execz .LBB107_34
; %bb.33:                               ;   in Loop: Header=BB107_2 Depth=1
	ds_load_u8 v64, v62 offset:1
	s_wait_dscnt 0x1
	v_mov_b32_e32 v61, v57
.LBB107_34:                             ;   in Loop: Header=BB107_2 Depth=1
	s_or_b32 exec_lo, exec_lo, s10
	v_add_nc_u32_e32 v65, 1, v63
	v_add_nc_u32_e32 v66, 1, v62
	v_cndmask_b32_e64 v67, v63, v62, s9
	s_wait_dscnt 0x0
	v_and_b32_e32 v68, 0xff, v61
	v_and_b32_e32 v69, 0xff, v64
	v_cndmask_b32_e64 v63, v65, v63, s9
	v_cndmask_b32_e64 v59, v59, v60, s8
	;; [unrolled: 1-line block ×4, first 2 shown]
	v_cmp_lt_u16_e64 s10, v69, v68
	v_cmp_ge_i32_e64 s11, v63, v13
	s_wait_loadcnt 0x0
	v_cmp_lt_i32_e64 s12, v60, v14
	s_barrier_signal -1
	s_barrier_wait -1
	s_or_b32 s10, s11, s10
	global_inv scope:SCOPE_SE
	s_wait_alu 0xfffe
	s_and_b32 s10, s12, s10
	ds_store_b8 v1, v47
	ds_store_b8 v1, v49 offset:1
	ds_store_b8 v1, v50 offset:2
	;; [unrolled: 1-line block ×3, first 2 shown]
	s_wait_alu 0xfffe
	v_cndmask_b32_e64 v60, v63, v60, s10
	s_wait_loadcnt_dscnt 0x0
	s_barrier_signal -1
	s_barrier_wait -1
	global_inv scope:SCOPE_SE
	ds_load_u8 v47, v54
	ds_load_u8 v48, v60
	;; [unrolled: 1-line block ×4, first 2 shown]
	v_cndmask_b32_e64 v51, v51, v52, s7
	v_cndmask_b32_e64 v53, v53, v55, s8
	;; [unrolled: 1-line block ×4, first 2 shown]
	s_wait_loadcnt_dscnt 0x0
	s_barrier_signal -1
	s_barrier_wait -1
	global_inv scope:SCOPE_SE
	ds_store_b8 v1, v51
	ds_store_b8 v1, v53 offset:1
	ds_store_b8 v1, v54 offset:2
	;; [unrolled: 1-line block ×3, first 2 shown]
	v_mov_b32_e32 v51, v41
	s_wait_loadcnt_dscnt 0x0
	s_barrier_signal -1
	s_barrier_wait -1
	global_inv scope:SCOPE_SE
	s_and_saveexec_b32 s8, s2
	s_cbranch_execz .LBB107_38
; %bb.35:                               ;   in Loop: Header=BB107_2 Depth=1
	v_dual_mov_b32 v51, v41 :: v_dual_mov_b32 v52, v34
	s_mov_b32 s9, 0
.LBB107_36:                             ;   Parent Loop BB107_2 Depth=1
                                        ; =>  This Inner Loop Header: Depth=2
	s_delay_alu instid0(VALU_DEP_1) | instskip(NEXT) | instid1(VALU_DEP_1)
	v_sub_nc_u32_e32 v53, v52, v51
	v_lshrrev_b32_e32 v53, 1, v53
	s_delay_alu instid0(VALU_DEP_1) | instskip(NEXT) | instid1(VALU_DEP_1)
	v_add_nc_u32_e32 v53, v53, v51
	v_add_nc_u32_e32 v54, v4, v53
	v_xad_u32 v55, v53, -1, v27
	v_add_nc_u32_e32 v56, 1, v53
	ds_load_u8 v54, v54
	ds_load_u8 v55, v55
	s_wait_dscnt 0x0
	v_cmp_lt_u16_e64 s7, v55, v54
	s_wait_alu 0xf1ff
	s_delay_alu instid0(VALU_DEP_1) | instskip(SKIP_1) | instid1(VALU_DEP_1)
	v_cndmask_b32_e64 v52, v52, v53, s7
	v_cndmask_b32_e64 v51, v56, v51, s7
	v_cmp_ge_i32_e64 s7, v51, v52
	s_wait_alu 0xfffe
	s_or_b32 s9, s7, s9
	s_wait_alu 0xfffe
	s_and_not1_b32 exec_lo, exec_lo, s9
	s_cbranch_execnz .LBB107_36
; %bb.37:                               ;   in Loop: Header=BB107_2 Depth=1
	s_or_b32 exec_lo, exec_lo, s9
.LBB107_38:                             ;   in Loop: Header=BB107_2 Depth=1
	s_wait_alu 0xfffe
	s_or_b32 exec_lo, exec_lo, s8
	v_add_nc_u32_e32 v54, v51, v4
	v_sub_nc_u32_e32 v56, v27, v51
	ds_load_u8 v51, v54
	ds_load_u8 v52, v56
	v_cmp_le_i32_e64 s7, v15, v54
	v_cmp_gt_i32_e64 s9, v16, v56
	s_wait_dscnt 0x1
	v_and_b32_e32 v53, 0xff, v51
	s_wait_dscnt 0x0
	v_and_b32_e32 v55, 0xff, v52
	s_delay_alu instid0(VALU_DEP_1)
	v_cmp_lt_u16_e64 s8, v55, v53
                                        ; implicit-def: $vgpr53
	s_or_b32 s7, s7, s8
	s_wait_alu 0xfffe
	s_and_b32 s7, s9, s7
	s_wait_alu 0xfffe
	s_xor_b32 s8, s7, -1
	s_wait_alu 0xfffe
	s_and_saveexec_b32 s9, s8
	s_wait_alu 0xfffe
	s_xor_b32 s8, exec_lo, s9
; %bb.39:                               ;   in Loop: Header=BB107_2 Depth=1
	ds_load_u8 v53, v54 offset:1
; %bb.40:                               ;   in Loop: Header=BB107_2 Depth=1
	s_wait_alu 0xfffe
	s_or_saveexec_b32 s8, s8
	v_mov_b32_e32 v55, v52
	s_wait_alu 0xfffe
	s_xor_b32 exec_lo, exec_lo, s8
	s_cbranch_execz .LBB107_42
; %bb.41:                               ;   in Loop: Header=BB107_2 Depth=1
	ds_load_u8 v55, v56 offset:1
	s_wait_dscnt 0x1
	v_mov_b32_e32 v53, v51
.LBB107_42:                             ;   in Loop: Header=BB107_2 Depth=1
	s_or_b32 exec_lo, exec_lo, s8
	v_add_nc_u32_e32 v57, 1, v54
	v_add_nc_u32_e32 v58, 1, v56
	s_wait_dscnt 0x0
	v_and_b32_e32 v61, 0xff, v53
	s_delay_alu instid0(VALU_DEP_3) | instskip(SKIP_2) | instid1(VALU_DEP_3)
	v_cndmask_b32_e64 v59, v57, v54, s7
	v_and_b32_e32 v57, 0xff, v55
	v_cndmask_b32_e64 v60, v56, v58, s7
	v_cmp_ge_i32_e64 s8, v59, v15
	s_delay_alu instid0(VALU_DEP_3) | instskip(NEXT) | instid1(VALU_DEP_3)
	v_cmp_lt_u16_e64 s9, v57, v61
	v_cmp_lt_i32_e64 s10, v60, v16
                                        ; implicit-def: $vgpr57
	s_or_b32 s8, s8, s9
	s_wait_alu 0xfffe
	s_and_b32 s8, s10, s8
	s_wait_alu 0xfffe
	s_xor_b32 s9, s8, -1
	s_wait_alu 0xfffe
	s_and_saveexec_b32 s10, s9
	s_wait_alu 0xfffe
	s_xor_b32 s9, exec_lo, s10
; %bb.43:                               ;   in Loop: Header=BB107_2 Depth=1
	ds_load_u8 v57, v59 offset:1
; %bb.44:                               ;   in Loop: Header=BB107_2 Depth=1
	s_wait_alu 0xfffe
	s_or_saveexec_b32 s9, s9
	v_mov_b32_e32 v58, v55
	s_wait_alu 0xfffe
	s_xor_b32 exec_lo, exec_lo, s9
	s_cbranch_execz .LBB107_46
; %bb.45:                               ;   in Loop: Header=BB107_2 Depth=1
	ds_load_u8 v58, v60 offset:1
	s_wait_dscnt 0x1
	v_mov_b32_e32 v57, v53
.LBB107_46:                             ;   in Loop: Header=BB107_2 Depth=1
	s_or_b32 exec_lo, exec_lo, s9
	v_add_nc_u32_e32 v61, 1, v59
	v_add_nc_u32_e32 v62, 1, v60
	s_wait_dscnt 0x0
	v_and_b32_e32 v64, 0xff, v57
	s_delay_alu instid0(VALU_DEP_3) | instskip(SKIP_2) | instid1(VALU_DEP_3)
	v_cndmask_b32_e64 v63, v61, v59, s8
	v_and_b32_e32 v61, 0xff, v58
	v_cndmask_b32_e64 v62, v60, v62, s8
	v_cmp_ge_i32_e64 s9, v63, v15
	s_delay_alu instid0(VALU_DEP_3) | instskip(NEXT) | instid1(VALU_DEP_3)
	v_cmp_lt_u16_e64 s10, v61, v64
	v_cmp_lt_i32_e64 s11, v62, v16
                                        ; implicit-def: $vgpr61
	s_or_b32 s9, s9, s10
	s_wait_alu 0xfffe
	s_and_b32 s9, s11, s9
	s_wait_alu 0xfffe
	s_xor_b32 s10, s9, -1
	s_wait_alu 0xfffe
	s_and_saveexec_b32 s11, s10
	s_wait_alu 0xfffe
	s_xor_b32 s10, exec_lo, s11
; %bb.47:                               ;   in Loop: Header=BB107_2 Depth=1
	ds_load_u8 v61, v63 offset:1
; %bb.48:                               ;   in Loop: Header=BB107_2 Depth=1
	s_wait_alu 0xfffe
	s_or_saveexec_b32 s10, s10
	v_mov_b32_e32 v64, v58
	s_wait_alu 0xfffe
	s_xor_b32 exec_lo, exec_lo, s10
	s_cbranch_execz .LBB107_50
; %bb.49:                               ;   in Loop: Header=BB107_2 Depth=1
	ds_load_u8 v64, v62 offset:1
	s_wait_dscnt 0x1
	v_mov_b32_e32 v61, v57
.LBB107_50:                             ;   in Loop: Header=BB107_2 Depth=1
	s_or_b32 exec_lo, exec_lo, s10
	v_add_nc_u32_e32 v65, 1, v63
	v_add_nc_u32_e32 v66, 1, v62
	v_cndmask_b32_e64 v67, v63, v62, s9
	s_wait_dscnt 0x0
	v_and_b32_e32 v68, 0xff, v61
	v_and_b32_e32 v69, 0xff, v64
	v_cndmask_b32_e64 v63, v65, v63, s9
	v_cndmask_b32_e64 v59, v59, v60, s8
	;; [unrolled: 1-line block ×4, first 2 shown]
	v_cmp_lt_u16_e64 s10, v69, v68
	v_cmp_ge_i32_e64 s11, v63, v15
	s_wait_loadcnt 0x0
	v_cmp_lt_i32_e64 s12, v60, v16
	s_barrier_signal -1
	s_barrier_wait -1
	s_or_b32 s10, s11, s10
	global_inv scope:SCOPE_SE
	s_wait_alu 0xfffe
	s_and_b32 s10, s12, s10
	ds_store_b8 v1, v47
	ds_store_b8 v1, v49 offset:1
	ds_store_b8 v1, v50 offset:2
	;; [unrolled: 1-line block ×3, first 2 shown]
	s_wait_alu 0xfffe
	v_cndmask_b32_e64 v60, v63, v60, s10
	s_wait_loadcnt_dscnt 0x0
	s_barrier_signal -1
	s_barrier_wait -1
	global_inv scope:SCOPE_SE
	ds_load_u8 v47, v54
	ds_load_u8 v48, v60
	;; [unrolled: 1-line block ×4, first 2 shown]
	v_cndmask_b32_e64 v51, v51, v52, s7
	v_cndmask_b32_e64 v53, v53, v55, s8
	v_cndmask_b32_e64 v54, v57, v58, s9
	v_cndmask_b32_e64 v56, v61, v64, s10
	s_wait_loadcnt_dscnt 0x0
	s_barrier_signal -1
	s_barrier_wait -1
	global_inv scope:SCOPE_SE
	ds_store_b8 v1, v51
	ds_store_b8 v1, v53 offset:1
	ds_store_b8 v1, v54 offset:2
	;; [unrolled: 1-line block ×3, first 2 shown]
	v_mov_b32_e32 v51, v42
	s_wait_loadcnt_dscnt 0x0
	s_barrier_signal -1
	s_barrier_wait -1
	global_inv scope:SCOPE_SE
	s_and_saveexec_b32 s8, s3
	s_cbranch_execz .LBB107_54
; %bb.51:                               ;   in Loop: Header=BB107_2 Depth=1
	v_dual_mov_b32 v51, v42 :: v_dual_mov_b32 v52, v35
	s_mov_b32 s9, 0
.LBB107_52:                             ;   Parent Loop BB107_2 Depth=1
                                        ; =>  This Inner Loop Header: Depth=2
	s_delay_alu instid0(VALU_DEP_1) | instskip(NEXT) | instid1(VALU_DEP_1)
	v_sub_nc_u32_e32 v53, v52, v51
	v_lshrrev_b32_e32 v53, 1, v53
	s_delay_alu instid0(VALU_DEP_1) | instskip(NEXT) | instid1(VALU_DEP_1)
	v_add_nc_u32_e32 v53, v53, v51
	v_add_nc_u32_e32 v54, v5, v53
	v_xad_u32 v55, v53, -1, v28
	v_add_nc_u32_e32 v56, 1, v53
	ds_load_u8 v54, v54
	ds_load_u8 v55, v55
	s_wait_dscnt 0x0
	v_cmp_lt_u16_e64 s7, v55, v54
	s_wait_alu 0xf1ff
	s_delay_alu instid0(VALU_DEP_1) | instskip(SKIP_1) | instid1(VALU_DEP_1)
	v_cndmask_b32_e64 v52, v52, v53, s7
	v_cndmask_b32_e64 v51, v56, v51, s7
	v_cmp_ge_i32_e64 s7, v51, v52
	s_wait_alu 0xfffe
	s_or_b32 s9, s7, s9
	s_wait_alu 0xfffe
	s_and_not1_b32 exec_lo, exec_lo, s9
	s_cbranch_execnz .LBB107_52
; %bb.53:                               ;   in Loop: Header=BB107_2 Depth=1
	s_or_b32 exec_lo, exec_lo, s9
.LBB107_54:                             ;   in Loop: Header=BB107_2 Depth=1
	s_wait_alu 0xfffe
	s_or_b32 exec_lo, exec_lo, s8
	v_add_nc_u32_e32 v54, v51, v5
	v_sub_nc_u32_e32 v56, v28, v51
	ds_load_u8 v51, v54
	ds_load_u8 v52, v56
	v_cmp_le_i32_e64 s7, v17, v54
	v_cmp_gt_i32_e64 s9, v18, v56
	s_wait_dscnt 0x1
	v_and_b32_e32 v53, 0xff, v51
	s_wait_dscnt 0x0
	v_and_b32_e32 v55, 0xff, v52
	s_delay_alu instid0(VALU_DEP_1)
	v_cmp_lt_u16_e64 s8, v55, v53
                                        ; implicit-def: $vgpr53
	s_or_b32 s7, s7, s8
	s_wait_alu 0xfffe
	s_and_b32 s7, s9, s7
	s_wait_alu 0xfffe
	s_xor_b32 s8, s7, -1
	s_wait_alu 0xfffe
	s_and_saveexec_b32 s9, s8
	s_wait_alu 0xfffe
	s_xor_b32 s8, exec_lo, s9
; %bb.55:                               ;   in Loop: Header=BB107_2 Depth=1
	ds_load_u8 v53, v54 offset:1
; %bb.56:                               ;   in Loop: Header=BB107_2 Depth=1
	s_wait_alu 0xfffe
	s_or_saveexec_b32 s8, s8
	v_mov_b32_e32 v55, v52
	s_wait_alu 0xfffe
	s_xor_b32 exec_lo, exec_lo, s8
	s_cbranch_execz .LBB107_58
; %bb.57:                               ;   in Loop: Header=BB107_2 Depth=1
	ds_load_u8 v55, v56 offset:1
	s_wait_dscnt 0x1
	v_mov_b32_e32 v53, v51
.LBB107_58:                             ;   in Loop: Header=BB107_2 Depth=1
	s_or_b32 exec_lo, exec_lo, s8
	v_add_nc_u32_e32 v57, 1, v54
	v_add_nc_u32_e32 v58, 1, v56
	s_wait_dscnt 0x0
	v_and_b32_e32 v61, 0xff, v53
	s_delay_alu instid0(VALU_DEP_3) | instskip(SKIP_2) | instid1(VALU_DEP_3)
	v_cndmask_b32_e64 v59, v57, v54, s7
	v_and_b32_e32 v57, 0xff, v55
	v_cndmask_b32_e64 v60, v56, v58, s7
	v_cmp_ge_i32_e64 s8, v59, v17
	s_delay_alu instid0(VALU_DEP_3) | instskip(NEXT) | instid1(VALU_DEP_3)
	v_cmp_lt_u16_e64 s9, v57, v61
	v_cmp_lt_i32_e64 s10, v60, v18
                                        ; implicit-def: $vgpr57
	s_or_b32 s8, s8, s9
	s_wait_alu 0xfffe
	s_and_b32 s8, s10, s8
	s_wait_alu 0xfffe
	s_xor_b32 s9, s8, -1
	s_wait_alu 0xfffe
	s_and_saveexec_b32 s10, s9
	s_wait_alu 0xfffe
	s_xor_b32 s9, exec_lo, s10
; %bb.59:                               ;   in Loop: Header=BB107_2 Depth=1
	ds_load_u8 v57, v59 offset:1
; %bb.60:                               ;   in Loop: Header=BB107_2 Depth=1
	s_wait_alu 0xfffe
	s_or_saveexec_b32 s9, s9
	v_mov_b32_e32 v58, v55
	s_wait_alu 0xfffe
	s_xor_b32 exec_lo, exec_lo, s9
	s_cbranch_execz .LBB107_62
; %bb.61:                               ;   in Loop: Header=BB107_2 Depth=1
	ds_load_u8 v58, v60 offset:1
	s_wait_dscnt 0x1
	v_mov_b32_e32 v57, v53
.LBB107_62:                             ;   in Loop: Header=BB107_2 Depth=1
	s_or_b32 exec_lo, exec_lo, s9
	v_add_nc_u32_e32 v61, 1, v59
	v_add_nc_u32_e32 v62, 1, v60
	s_wait_dscnt 0x0
	v_and_b32_e32 v64, 0xff, v57
	s_delay_alu instid0(VALU_DEP_3) | instskip(SKIP_2) | instid1(VALU_DEP_3)
	v_cndmask_b32_e64 v63, v61, v59, s8
	v_and_b32_e32 v61, 0xff, v58
	v_cndmask_b32_e64 v62, v60, v62, s8
	v_cmp_ge_i32_e64 s9, v63, v17
	s_delay_alu instid0(VALU_DEP_3) | instskip(NEXT) | instid1(VALU_DEP_3)
	v_cmp_lt_u16_e64 s10, v61, v64
	v_cmp_lt_i32_e64 s11, v62, v18
                                        ; implicit-def: $vgpr61
	s_or_b32 s9, s9, s10
	s_wait_alu 0xfffe
	s_and_b32 s9, s11, s9
	s_wait_alu 0xfffe
	s_xor_b32 s10, s9, -1
	s_wait_alu 0xfffe
	s_and_saveexec_b32 s11, s10
	s_wait_alu 0xfffe
	s_xor_b32 s10, exec_lo, s11
; %bb.63:                               ;   in Loop: Header=BB107_2 Depth=1
	ds_load_u8 v61, v63 offset:1
; %bb.64:                               ;   in Loop: Header=BB107_2 Depth=1
	s_wait_alu 0xfffe
	s_or_saveexec_b32 s10, s10
	v_mov_b32_e32 v64, v58
	s_wait_alu 0xfffe
	s_xor_b32 exec_lo, exec_lo, s10
	s_cbranch_execz .LBB107_66
; %bb.65:                               ;   in Loop: Header=BB107_2 Depth=1
	ds_load_u8 v64, v62 offset:1
	s_wait_dscnt 0x1
	v_mov_b32_e32 v61, v57
.LBB107_66:                             ;   in Loop: Header=BB107_2 Depth=1
	s_or_b32 exec_lo, exec_lo, s10
	v_add_nc_u32_e32 v65, 1, v63
	v_add_nc_u32_e32 v66, 1, v62
	v_cndmask_b32_e64 v67, v63, v62, s9
	s_wait_dscnt 0x0
	v_and_b32_e32 v68, 0xff, v61
	v_and_b32_e32 v69, 0xff, v64
	v_cndmask_b32_e64 v63, v65, v63, s9
	v_cndmask_b32_e64 v59, v59, v60, s8
	;; [unrolled: 1-line block ×4, first 2 shown]
	v_cmp_lt_u16_e64 s10, v69, v68
	v_cmp_ge_i32_e64 s11, v63, v17
	s_wait_loadcnt 0x0
	v_cmp_lt_i32_e64 s12, v60, v18
	s_barrier_signal -1
	s_barrier_wait -1
	s_or_b32 s10, s11, s10
	global_inv scope:SCOPE_SE
	s_wait_alu 0xfffe
	s_and_b32 s10, s12, s10
	ds_store_b8 v1, v47
	ds_store_b8 v1, v49 offset:1
	ds_store_b8 v1, v50 offset:2
	;; [unrolled: 1-line block ×3, first 2 shown]
	s_wait_alu 0xfffe
	v_cndmask_b32_e64 v60, v63, v60, s10
	s_wait_loadcnt_dscnt 0x0
	s_barrier_signal -1
	s_barrier_wait -1
	global_inv scope:SCOPE_SE
	ds_load_u8 v47, v54
	ds_load_u8 v48, v60
	;; [unrolled: 1-line block ×4, first 2 shown]
	v_cndmask_b32_e64 v51, v51, v52, s7
	v_cndmask_b32_e64 v53, v53, v55, s8
	;; [unrolled: 1-line block ×4, first 2 shown]
	s_wait_loadcnt_dscnt 0x0
	s_barrier_signal -1
	s_barrier_wait -1
	global_inv scope:SCOPE_SE
	ds_store_b8 v1, v51
	ds_store_b8 v1, v53 offset:1
	ds_store_b8 v1, v54 offset:2
	;; [unrolled: 1-line block ×3, first 2 shown]
	v_mov_b32_e32 v51, v43
	s_wait_loadcnt_dscnt 0x0
	s_barrier_signal -1
	s_barrier_wait -1
	global_inv scope:SCOPE_SE
	s_and_saveexec_b32 s8, s4
	s_cbranch_execz .LBB107_70
; %bb.67:                               ;   in Loop: Header=BB107_2 Depth=1
	v_dual_mov_b32 v51, v43 :: v_dual_mov_b32 v52, v36
	s_mov_b32 s9, 0
.LBB107_68:                             ;   Parent Loop BB107_2 Depth=1
                                        ; =>  This Inner Loop Header: Depth=2
	s_delay_alu instid0(VALU_DEP_1) | instskip(NEXT) | instid1(VALU_DEP_1)
	v_sub_nc_u32_e32 v53, v52, v51
	v_lshrrev_b32_e32 v53, 1, v53
	s_delay_alu instid0(VALU_DEP_1) | instskip(NEXT) | instid1(VALU_DEP_1)
	v_add_nc_u32_e32 v53, v53, v51
	v_add_nc_u32_e32 v54, v6, v53
	v_xad_u32 v55, v53, -1, v29
	v_add_nc_u32_e32 v56, 1, v53
	ds_load_u8 v54, v54
	ds_load_u8 v55, v55
	s_wait_dscnt 0x0
	v_cmp_lt_u16_e64 s7, v55, v54
	s_wait_alu 0xf1ff
	s_delay_alu instid0(VALU_DEP_1) | instskip(SKIP_1) | instid1(VALU_DEP_1)
	v_cndmask_b32_e64 v52, v52, v53, s7
	v_cndmask_b32_e64 v51, v56, v51, s7
	v_cmp_ge_i32_e64 s7, v51, v52
	s_wait_alu 0xfffe
	s_or_b32 s9, s7, s9
	s_wait_alu 0xfffe
	s_and_not1_b32 exec_lo, exec_lo, s9
	s_cbranch_execnz .LBB107_68
; %bb.69:                               ;   in Loop: Header=BB107_2 Depth=1
	s_or_b32 exec_lo, exec_lo, s9
.LBB107_70:                             ;   in Loop: Header=BB107_2 Depth=1
	s_wait_alu 0xfffe
	s_or_b32 exec_lo, exec_lo, s8
	v_add_nc_u32_e32 v54, v51, v6
	v_sub_nc_u32_e32 v56, v29, v51
	ds_load_u8 v51, v54
	ds_load_u8 v52, v56
	v_cmp_le_i32_e64 s7, v19, v54
	v_cmp_gt_i32_e64 s9, v20, v56
	s_wait_dscnt 0x1
	v_and_b32_e32 v53, 0xff, v51
	s_wait_dscnt 0x0
	v_and_b32_e32 v55, 0xff, v52
	s_delay_alu instid0(VALU_DEP_1)
	v_cmp_lt_u16_e64 s8, v55, v53
                                        ; implicit-def: $vgpr53
	s_or_b32 s7, s7, s8
	s_wait_alu 0xfffe
	s_and_b32 s7, s9, s7
	s_wait_alu 0xfffe
	s_xor_b32 s8, s7, -1
	s_wait_alu 0xfffe
	s_and_saveexec_b32 s9, s8
	s_wait_alu 0xfffe
	s_xor_b32 s8, exec_lo, s9
; %bb.71:                               ;   in Loop: Header=BB107_2 Depth=1
	ds_load_u8 v53, v54 offset:1
; %bb.72:                               ;   in Loop: Header=BB107_2 Depth=1
	s_wait_alu 0xfffe
	s_or_saveexec_b32 s8, s8
	v_mov_b32_e32 v55, v52
	s_wait_alu 0xfffe
	s_xor_b32 exec_lo, exec_lo, s8
	s_cbranch_execz .LBB107_74
; %bb.73:                               ;   in Loop: Header=BB107_2 Depth=1
	ds_load_u8 v55, v56 offset:1
	s_wait_dscnt 0x1
	v_mov_b32_e32 v53, v51
.LBB107_74:                             ;   in Loop: Header=BB107_2 Depth=1
	s_or_b32 exec_lo, exec_lo, s8
	v_add_nc_u32_e32 v57, 1, v54
	v_add_nc_u32_e32 v58, 1, v56
	s_wait_dscnt 0x0
	v_and_b32_e32 v61, 0xff, v53
	s_delay_alu instid0(VALU_DEP_3) | instskip(SKIP_2) | instid1(VALU_DEP_3)
	v_cndmask_b32_e64 v59, v57, v54, s7
	v_and_b32_e32 v57, 0xff, v55
	v_cndmask_b32_e64 v60, v56, v58, s7
	v_cmp_ge_i32_e64 s8, v59, v19
	s_delay_alu instid0(VALU_DEP_3) | instskip(NEXT) | instid1(VALU_DEP_3)
	v_cmp_lt_u16_e64 s9, v57, v61
	v_cmp_lt_i32_e64 s10, v60, v20
                                        ; implicit-def: $vgpr57
	s_or_b32 s8, s8, s9
	s_wait_alu 0xfffe
	s_and_b32 s8, s10, s8
	s_wait_alu 0xfffe
	s_xor_b32 s9, s8, -1
	s_wait_alu 0xfffe
	s_and_saveexec_b32 s10, s9
	s_wait_alu 0xfffe
	s_xor_b32 s9, exec_lo, s10
; %bb.75:                               ;   in Loop: Header=BB107_2 Depth=1
	ds_load_u8 v57, v59 offset:1
; %bb.76:                               ;   in Loop: Header=BB107_2 Depth=1
	s_wait_alu 0xfffe
	s_or_saveexec_b32 s9, s9
	v_mov_b32_e32 v58, v55
	s_wait_alu 0xfffe
	s_xor_b32 exec_lo, exec_lo, s9
	s_cbranch_execz .LBB107_78
; %bb.77:                               ;   in Loop: Header=BB107_2 Depth=1
	ds_load_u8 v58, v60 offset:1
	s_wait_dscnt 0x1
	v_mov_b32_e32 v57, v53
.LBB107_78:                             ;   in Loop: Header=BB107_2 Depth=1
	s_or_b32 exec_lo, exec_lo, s9
	v_add_nc_u32_e32 v61, 1, v59
	v_add_nc_u32_e32 v62, 1, v60
	s_wait_dscnt 0x0
	v_and_b32_e32 v64, 0xff, v57
	s_delay_alu instid0(VALU_DEP_3) | instskip(SKIP_2) | instid1(VALU_DEP_3)
	v_cndmask_b32_e64 v63, v61, v59, s8
	v_and_b32_e32 v61, 0xff, v58
	v_cndmask_b32_e64 v62, v60, v62, s8
	v_cmp_ge_i32_e64 s9, v63, v19
	s_delay_alu instid0(VALU_DEP_3) | instskip(NEXT) | instid1(VALU_DEP_3)
	v_cmp_lt_u16_e64 s10, v61, v64
	v_cmp_lt_i32_e64 s11, v62, v20
                                        ; implicit-def: $vgpr61
	s_or_b32 s9, s9, s10
	s_wait_alu 0xfffe
	s_and_b32 s9, s11, s9
	s_wait_alu 0xfffe
	s_xor_b32 s10, s9, -1
	s_wait_alu 0xfffe
	s_and_saveexec_b32 s11, s10
	s_wait_alu 0xfffe
	s_xor_b32 s10, exec_lo, s11
; %bb.79:                               ;   in Loop: Header=BB107_2 Depth=1
	ds_load_u8 v61, v63 offset:1
; %bb.80:                               ;   in Loop: Header=BB107_2 Depth=1
	s_wait_alu 0xfffe
	s_or_saveexec_b32 s10, s10
	v_mov_b32_e32 v64, v58
	s_wait_alu 0xfffe
	s_xor_b32 exec_lo, exec_lo, s10
	s_cbranch_execz .LBB107_82
; %bb.81:                               ;   in Loop: Header=BB107_2 Depth=1
	ds_load_u8 v64, v62 offset:1
	s_wait_dscnt 0x1
	v_mov_b32_e32 v61, v57
.LBB107_82:                             ;   in Loop: Header=BB107_2 Depth=1
	s_or_b32 exec_lo, exec_lo, s10
	v_add_nc_u32_e32 v65, 1, v63
	v_add_nc_u32_e32 v66, 1, v62
	v_cndmask_b32_e64 v67, v63, v62, s9
	s_wait_dscnt 0x0
	v_and_b32_e32 v68, 0xff, v61
	v_and_b32_e32 v69, 0xff, v64
	v_cndmask_b32_e64 v63, v65, v63, s9
	v_cndmask_b32_e64 v59, v59, v60, s8
	;; [unrolled: 1-line block ×4, first 2 shown]
	v_cmp_lt_u16_e64 s10, v69, v68
	v_cmp_ge_i32_e64 s11, v63, v19
	s_wait_loadcnt 0x0
	v_cmp_lt_i32_e64 s12, v60, v20
	s_barrier_signal -1
	s_barrier_wait -1
	s_or_b32 s10, s11, s10
	global_inv scope:SCOPE_SE
	s_wait_alu 0xfffe
	s_and_b32 s10, s12, s10
	ds_store_b8 v1, v47
	ds_store_b8 v1, v49 offset:1
	ds_store_b8 v1, v50 offset:2
	;; [unrolled: 1-line block ×3, first 2 shown]
	s_wait_alu 0xfffe
	v_cndmask_b32_e64 v60, v63, v60, s10
	s_wait_loadcnt_dscnt 0x0
	s_barrier_signal -1
	s_barrier_wait -1
	global_inv scope:SCOPE_SE
	ds_load_u8 v47, v54
	ds_load_u8 v48, v60
	;; [unrolled: 1-line block ×4, first 2 shown]
	v_cndmask_b32_e64 v51, v51, v52, s7
	v_cndmask_b32_e64 v53, v53, v55, s8
	;; [unrolled: 1-line block ×4, first 2 shown]
	s_wait_loadcnt_dscnt 0x0
	s_barrier_signal -1
	s_barrier_wait -1
	global_inv scope:SCOPE_SE
	ds_store_b8 v1, v51
	ds_store_b8 v1, v53 offset:1
	ds_store_b8 v1, v54 offset:2
	;; [unrolled: 1-line block ×3, first 2 shown]
	v_mov_b32_e32 v51, v44
	s_wait_loadcnt_dscnt 0x0
	s_barrier_signal -1
	s_barrier_wait -1
	global_inv scope:SCOPE_SE
	s_and_saveexec_b32 s8, s5
	s_cbranch_execz .LBB107_86
; %bb.83:                               ;   in Loop: Header=BB107_2 Depth=1
	v_dual_mov_b32 v51, v44 :: v_dual_mov_b32 v52, v37
	s_mov_b32 s9, 0
.LBB107_84:                             ;   Parent Loop BB107_2 Depth=1
                                        ; =>  This Inner Loop Header: Depth=2
	s_delay_alu instid0(VALU_DEP_1) | instskip(NEXT) | instid1(VALU_DEP_1)
	v_sub_nc_u32_e32 v53, v52, v51
	v_lshrrev_b32_e32 v53, 1, v53
	s_delay_alu instid0(VALU_DEP_1) | instskip(NEXT) | instid1(VALU_DEP_1)
	v_add_nc_u32_e32 v53, v53, v51
	v_add_nc_u32_e32 v54, v7, v53
	v_xad_u32 v55, v53, -1, v30
	v_add_nc_u32_e32 v56, 1, v53
	ds_load_u8 v54, v54
	ds_load_u8 v55, v55
	s_wait_dscnt 0x0
	v_cmp_lt_u16_e64 s7, v55, v54
	s_wait_alu 0xf1ff
	s_delay_alu instid0(VALU_DEP_1) | instskip(SKIP_1) | instid1(VALU_DEP_1)
	v_cndmask_b32_e64 v52, v52, v53, s7
	v_cndmask_b32_e64 v51, v56, v51, s7
	v_cmp_ge_i32_e64 s7, v51, v52
	s_wait_alu 0xfffe
	s_or_b32 s9, s7, s9
	s_wait_alu 0xfffe
	s_and_not1_b32 exec_lo, exec_lo, s9
	s_cbranch_execnz .LBB107_84
; %bb.85:                               ;   in Loop: Header=BB107_2 Depth=1
	s_or_b32 exec_lo, exec_lo, s9
.LBB107_86:                             ;   in Loop: Header=BB107_2 Depth=1
	s_wait_alu 0xfffe
	s_or_b32 exec_lo, exec_lo, s8
	v_add_nc_u32_e32 v54, v51, v7
	v_sub_nc_u32_e32 v56, v30, v51
	ds_load_u8 v51, v54
	ds_load_u8 v52, v56
	v_cmp_le_i32_e64 s7, v21, v54
	v_cmp_gt_i32_e64 s9, v22, v56
	s_wait_dscnt 0x1
	v_and_b32_e32 v53, 0xff, v51
	s_wait_dscnt 0x0
	v_and_b32_e32 v55, 0xff, v52
	s_delay_alu instid0(VALU_DEP_1)
	v_cmp_lt_u16_e64 s8, v55, v53
                                        ; implicit-def: $vgpr53
	s_or_b32 s7, s7, s8
	s_wait_alu 0xfffe
	s_and_b32 s7, s9, s7
	s_wait_alu 0xfffe
	s_xor_b32 s8, s7, -1
	s_wait_alu 0xfffe
	s_and_saveexec_b32 s9, s8
	s_wait_alu 0xfffe
	s_xor_b32 s8, exec_lo, s9
; %bb.87:                               ;   in Loop: Header=BB107_2 Depth=1
	ds_load_u8 v53, v54 offset:1
; %bb.88:                               ;   in Loop: Header=BB107_2 Depth=1
	s_wait_alu 0xfffe
	s_or_saveexec_b32 s8, s8
	v_mov_b32_e32 v55, v52
	s_wait_alu 0xfffe
	s_xor_b32 exec_lo, exec_lo, s8
	s_cbranch_execz .LBB107_90
; %bb.89:                               ;   in Loop: Header=BB107_2 Depth=1
	ds_load_u8 v55, v56 offset:1
	s_wait_dscnt 0x1
	v_mov_b32_e32 v53, v51
.LBB107_90:                             ;   in Loop: Header=BB107_2 Depth=1
	s_or_b32 exec_lo, exec_lo, s8
	v_add_nc_u32_e32 v57, 1, v54
	v_add_nc_u32_e32 v58, 1, v56
	s_wait_dscnt 0x0
	v_and_b32_e32 v61, 0xff, v53
	s_delay_alu instid0(VALU_DEP_3) | instskip(SKIP_2) | instid1(VALU_DEP_3)
	v_cndmask_b32_e64 v59, v57, v54, s7
	v_and_b32_e32 v57, 0xff, v55
	v_cndmask_b32_e64 v60, v56, v58, s7
	v_cmp_ge_i32_e64 s8, v59, v21
	s_delay_alu instid0(VALU_DEP_3) | instskip(NEXT) | instid1(VALU_DEP_3)
	v_cmp_lt_u16_e64 s9, v57, v61
	v_cmp_lt_i32_e64 s10, v60, v22
                                        ; implicit-def: $vgpr57
	s_or_b32 s8, s8, s9
	s_wait_alu 0xfffe
	s_and_b32 s8, s10, s8
	s_wait_alu 0xfffe
	s_xor_b32 s9, s8, -1
	s_wait_alu 0xfffe
	s_and_saveexec_b32 s10, s9
	s_wait_alu 0xfffe
	s_xor_b32 s9, exec_lo, s10
; %bb.91:                               ;   in Loop: Header=BB107_2 Depth=1
	ds_load_u8 v57, v59 offset:1
; %bb.92:                               ;   in Loop: Header=BB107_2 Depth=1
	s_wait_alu 0xfffe
	s_or_saveexec_b32 s9, s9
	v_mov_b32_e32 v58, v55
	s_wait_alu 0xfffe
	s_xor_b32 exec_lo, exec_lo, s9
	s_cbranch_execz .LBB107_94
; %bb.93:                               ;   in Loop: Header=BB107_2 Depth=1
	ds_load_u8 v58, v60 offset:1
	s_wait_dscnt 0x1
	v_mov_b32_e32 v57, v53
.LBB107_94:                             ;   in Loop: Header=BB107_2 Depth=1
	s_or_b32 exec_lo, exec_lo, s9
	v_add_nc_u32_e32 v61, 1, v59
	v_add_nc_u32_e32 v62, 1, v60
	s_wait_dscnt 0x0
	v_and_b32_e32 v64, 0xff, v57
	s_delay_alu instid0(VALU_DEP_3) | instskip(SKIP_2) | instid1(VALU_DEP_3)
	v_cndmask_b32_e64 v63, v61, v59, s8
	v_and_b32_e32 v61, 0xff, v58
	v_cndmask_b32_e64 v62, v60, v62, s8
	v_cmp_ge_i32_e64 s9, v63, v21
	s_delay_alu instid0(VALU_DEP_3) | instskip(NEXT) | instid1(VALU_DEP_3)
	v_cmp_lt_u16_e64 s10, v61, v64
	v_cmp_lt_i32_e64 s11, v62, v22
                                        ; implicit-def: $vgpr61
	s_or_b32 s9, s9, s10
	s_wait_alu 0xfffe
	s_and_b32 s9, s11, s9
	s_wait_alu 0xfffe
	s_xor_b32 s10, s9, -1
	s_wait_alu 0xfffe
	s_and_saveexec_b32 s11, s10
	s_wait_alu 0xfffe
	s_xor_b32 s10, exec_lo, s11
; %bb.95:                               ;   in Loop: Header=BB107_2 Depth=1
	ds_load_u8 v61, v63 offset:1
; %bb.96:                               ;   in Loop: Header=BB107_2 Depth=1
	s_wait_alu 0xfffe
	s_or_saveexec_b32 s10, s10
	v_mov_b32_e32 v64, v58
	s_wait_alu 0xfffe
	s_xor_b32 exec_lo, exec_lo, s10
	s_cbranch_execz .LBB107_98
; %bb.97:                               ;   in Loop: Header=BB107_2 Depth=1
	ds_load_u8 v64, v62 offset:1
	s_wait_dscnt 0x1
	v_mov_b32_e32 v61, v57
.LBB107_98:                             ;   in Loop: Header=BB107_2 Depth=1
	s_or_b32 exec_lo, exec_lo, s10
	v_add_nc_u32_e32 v65, 1, v63
	v_add_nc_u32_e32 v66, 1, v62
	v_cndmask_b32_e64 v67, v63, v62, s9
	s_wait_dscnt 0x0
	v_and_b32_e32 v68, 0xff, v61
	v_and_b32_e32 v69, 0xff, v64
	v_cndmask_b32_e64 v63, v65, v63, s9
	v_cndmask_b32_e64 v59, v59, v60, s8
	;; [unrolled: 1-line block ×4, first 2 shown]
	v_cmp_lt_u16_e64 s10, v69, v68
	v_cmp_ge_i32_e64 s11, v63, v21
	s_wait_loadcnt 0x0
	v_cmp_lt_i32_e64 s12, v60, v22
	s_barrier_signal -1
	s_barrier_wait -1
	s_or_b32 s10, s11, s10
	global_inv scope:SCOPE_SE
	s_wait_alu 0xfffe
	s_and_b32 s10, s12, s10
	ds_store_b8 v1, v47
	ds_store_b8 v1, v49 offset:1
	ds_store_b8 v1, v50 offset:2
	;; [unrolled: 1-line block ×3, first 2 shown]
	s_wait_alu 0xfffe
	v_cndmask_b32_e64 v60, v63, v60, s10
	s_wait_loadcnt_dscnt 0x0
	s_barrier_signal -1
	s_barrier_wait -1
	global_inv scope:SCOPE_SE
	ds_load_u8 v47, v54
	ds_load_u8 v48, v60
	;; [unrolled: 1-line block ×4, first 2 shown]
	v_cndmask_b32_e64 v51, v51, v52, s7
	v_cndmask_b32_e64 v53, v53, v55, s8
	;; [unrolled: 1-line block ×4, first 2 shown]
	s_wait_loadcnt_dscnt 0x0
	s_barrier_signal -1
	s_barrier_wait -1
	global_inv scope:SCOPE_SE
	ds_store_b8 v1, v51
	ds_store_b8 v1, v53 offset:1
	ds_store_b8 v1, v54 offset:2
	;; [unrolled: 1-line block ×3, first 2 shown]
	v_mov_b32_e32 v51, v45
	s_wait_loadcnt_dscnt 0x0
	s_barrier_signal -1
	s_barrier_wait -1
	global_inv scope:SCOPE_SE
	s_and_saveexec_b32 s8, s6
	s_cbranch_execz .LBB107_102
; %bb.99:                               ;   in Loop: Header=BB107_2 Depth=1
	v_dual_mov_b32 v51, v45 :: v_dual_mov_b32 v52, v38
	s_mov_b32 s9, 0
.LBB107_100:                            ;   Parent Loop BB107_2 Depth=1
                                        ; =>  This Inner Loop Header: Depth=2
	s_delay_alu instid0(VALU_DEP_1) | instskip(NEXT) | instid1(VALU_DEP_1)
	v_sub_nc_u32_e32 v53, v52, v51
	v_lshrrev_b32_e32 v53, 1, v53
	s_delay_alu instid0(VALU_DEP_1) | instskip(NEXT) | instid1(VALU_DEP_1)
	v_add_nc_u32_e32 v53, v53, v51
	v_add_nc_u32_e32 v54, v8, v53
	v_xad_u32 v55, v53, -1, v31
	v_add_nc_u32_e32 v56, 1, v53
	ds_load_u8 v54, v54
	ds_load_u8 v55, v55
	s_wait_dscnt 0x0
	v_cmp_lt_u16_e64 s7, v55, v54
	s_wait_alu 0xf1ff
	s_delay_alu instid0(VALU_DEP_1) | instskip(SKIP_1) | instid1(VALU_DEP_1)
	v_cndmask_b32_e64 v52, v52, v53, s7
	v_cndmask_b32_e64 v51, v56, v51, s7
	v_cmp_ge_i32_e64 s7, v51, v52
	s_wait_alu 0xfffe
	s_or_b32 s9, s7, s9
	s_wait_alu 0xfffe
	s_and_not1_b32 exec_lo, exec_lo, s9
	s_cbranch_execnz .LBB107_100
; %bb.101:                              ;   in Loop: Header=BB107_2 Depth=1
	s_or_b32 exec_lo, exec_lo, s9
.LBB107_102:                            ;   in Loop: Header=BB107_2 Depth=1
	s_wait_alu 0xfffe
	s_or_b32 exec_lo, exec_lo, s8
	v_add_nc_u32_e32 v54, v51, v8
	v_sub_nc_u32_e32 v56, v31, v51
	ds_load_u8 v51, v54
	ds_load_u8 v52, v56
	v_cmp_le_i32_e64 s7, v23, v54
	v_cmp_gt_i32_e64 s9, v24, v56
	s_wait_dscnt 0x1
	v_and_b32_e32 v53, 0xff, v51
	s_wait_dscnt 0x0
	v_and_b32_e32 v55, 0xff, v52
	s_delay_alu instid0(VALU_DEP_1)
	v_cmp_lt_u16_e64 s8, v55, v53
                                        ; implicit-def: $vgpr53
	s_or_b32 s7, s7, s8
	s_wait_alu 0xfffe
	s_and_b32 s7, s9, s7
	s_wait_alu 0xfffe
	s_xor_b32 s8, s7, -1
	s_wait_alu 0xfffe
	s_and_saveexec_b32 s9, s8
	s_wait_alu 0xfffe
	s_xor_b32 s8, exec_lo, s9
; %bb.103:                              ;   in Loop: Header=BB107_2 Depth=1
	ds_load_u8 v53, v54 offset:1
; %bb.104:                              ;   in Loop: Header=BB107_2 Depth=1
	s_wait_alu 0xfffe
	s_or_saveexec_b32 s8, s8
	v_mov_b32_e32 v55, v52
	s_wait_alu 0xfffe
	s_xor_b32 exec_lo, exec_lo, s8
	s_cbranch_execz .LBB107_106
; %bb.105:                              ;   in Loop: Header=BB107_2 Depth=1
	ds_load_u8 v55, v56 offset:1
	s_wait_dscnt 0x1
	v_mov_b32_e32 v53, v51
.LBB107_106:                            ;   in Loop: Header=BB107_2 Depth=1
	s_or_b32 exec_lo, exec_lo, s8
	v_add_nc_u32_e32 v57, 1, v54
	v_add_nc_u32_e32 v58, 1, v56
	s_wait_dscnt 0x0
	v_and_b32_e32 v61, 0xff, v53
	s_delay_alu instid0(VALU_DEP_3) | instskip(SKIP_2) | instid1(VALU_DEP_3)
	v_cndmask_b32_e64 v59, v57, v54, s7
	v_and_b32_e32 v57, 0xff, v55
	v_cndmask_b32_e64 v60, v56, v58, s7
	v_cmp_ge_i32_e64 s8, v59, v23
	s_delay_alu instid0(VALU_DEP_3) | instskip(NEXT) | instid1(VALU_DEP_3)
	v_cmp_lt_u16_e64 s9, v57, v61
	v_cmp_lt_i32_e64 s10, v60, v24
                                        ; implicit-def: $vgpr57
	s_or_b32 s8, s8, s9
	s_wait_alu 0xfffe
	s_and_b32 s8, s10, s8
	s_wait_alu 0xfffe
	s_xor_b32 s9, s8, -1
	s_wait_alu 0xfffe
	s_and_saveexec_b32 s10, s9
	s_wait_alu 0xfffe
	s_xor_b32 s9, exec_lo, s10
; %bb.107:                              ;   in Loop: Header=BB107_2 Depth=1
	ds_load_u8 v57, v59 offset:1
; %bb.108:                              ;   in Loop: Header=BB107_2 Depth=1
	s_wait_alu 0xfffe
	s_or_saveexec_b32 s9, s9
	v_mov_b32_e32 v58, v55
	s_wait_alu 0xfffe
	s_xor_b32 exec_lo, exec_lo, s9
	s_cbranch_execz .LBB107_110
; %bb.109:                              ;   in Loop: Header=BB107_2 Depth=1
	ds_load_u8 v58, v60 offset:1
	s_wait_dscnt 0x1
	v_mov_b32_e32 v57, v53
.LBB107_110:                            ;   in Loop: Header=BB107_2 Depth=1
	s_or_b32 exec_lo, exec_lo, s9
	v_add_nc_u32_e32 v61, 1, v59
	v_add_nc_u32_e32 v62, 1, v60
	s_wait_dscnt 0x0
	v_and_b32_e32 v64, 0xff, v57
	s_delay_alu instid0(VALU_DEP_3) | instskip(SKIP_2) | instid1(VALU_DEP_3)
	v_cndmask_b32_e64 v63, v61, v59, s8
	v_and_b32_e32 v61, 0xff, v58
	v_cndmask_b32_e64 v62, v60, v62, s8
	v_cmp_ge_i32_e64 s9, v63, v23
	s_delay_alu instid0(VALU_DEP_3) | instskip(NEXT) | instid1(VALU_DEP_3)
	v_cmp_lt_u16_e64 s10, v61, v64
	v_cmp_lt_i32_e64 s11, v62, v24
                                        ; implicit-def: $vgpr61
	s_or_b32 s9, s9, s10
	s_wait_alu 0xfffe
	s_and_b32 s9, s11, s9
	s_wait_alu 0xfffe
	s_xor_b32 s10, s9, -1
	s_wait_alu 0xfffe
	s_and_saveexec_b32 s11, s10
	s_wait_alu 0xfffe
	s_xor_b32 s10, exec_lo, s11
; %bb.111:                              ;   in Loop: Header=BB107_2 Depth=1
	ds_load_u8 v61, v63 offset:1
; %bb.112:                              ;   in Loop: Header=BB107_2 Depth=1
	s_wait_alu 0xfffe
	s_or_saveexec_b32 s10, s10
	v_mov_b32_e32 v64, v58
	s_wait_alu 0xfffe
	s_xor_b32 exec_lo, exec_lo, s10
	s_cbranch_execz .LBB107_114
; %bb.113:                              ;   in Loop: Header=BB107_2 Depth=1
	ds_load_u8 v64, v62 offset:1
	s_wait_dscnt 0x1
	v_mov_b32_e32 v61, v57
.LBB107_114:                            ;   in Loop: Header=BB107_2 Depth=1
	s_or_b32 exec_lo, exec_lo, s10
	v_add_nc_u32_e32 v65, 1, v63
	v_add_nc_u32_e32 v66, 1, v62
	v_cndmask_b32_e64 v67, v63, v62, s9
	s_wait_dscnt 0x0
	v_and_b32_e32 v68, 0xff, v61
	v_and_b32_e32 v69, 0xff, v64
	v_cndmask_b32_e64 v63, v65, v63, s9
	v_cndmask_b32_e64 v59, v59, v60, s8
	;; [unrolled: 1-line block ×4, first 2 shown]
	v_cmp_lt_u16_e64 s10, v69, v68
	v_cmp_ge_i32_e64 s11, v63, v23
	s_wait_loadcnt 0x0
	v_cmp_lt_i32_e64 s12, v60, v24
	s_barrier_signal -1
	s_barrier_wait -1
	s_or_b32 s10, s11, s10
	global_inv scope:SCOPE_SE
	s_wait_alu 0xfffe
	s_and_b32 s10, s12, s10
	ds_store_b8 v1, v47
	ds_store_b8 v1, v49 offset:1
	ds_store_b8 v1, v50 offset:2
	;; [unrolled: 1-line block ×3, first 2 shown]
	s_wait_alu 0xfffe
	v_cndmask_b32_e64 v60, v63, v60, s10
	s_wait_loadcnt_dscnt 0x0
	s_barrier_signal -1
	s_barrier_wait -1
	global_inv scope:SCOPE_SE
	ds_load_u8 v47, v54
	ds_load_u8 v48, v60
	;; [unrolled: 1-line block ×4, first 2 shown]
	v_cndmask_b32_e64 v51, v51, v52, s7
	v_cndmask_b32_e64 v53, v53, v55, s8
	;; [unrolled: 1-line block ×4, first 2 shown]
	s_wait_loadcnt_dscnt 0x0
	s_barrier_signal -1
	s_barrier_wait -1
	global_inv scope:SCOPE_SE
	ds_store_b8 v1, v51
	ds_store_b8 v1, v53 offset:1
	ds_store_b8 v1, v54 offset:2
	;; [unrolled: 1-line block ×3, first 2 shown]
	v_mov_b32_e32 v51, v9
	s_wait_loadcnt_dscnt 0x0
	s_barrier_signal -1
	s_barrier_wait -1
	global_inv scope:SCOPE_SE
	s_and_saveexec_b32 s8, vcc_lo
	s_cbranch_execz .LBB107_118
; %bb.115:                              ;   in Loop: Header=BB107_2 Depth=1
	v_dual_mov_b32 v51, v9 :: v_dual_mov_b32 v52, v10
	s_mov_b32 s9, 0
.LBB107_116:                            ;   Parent Loop BB107_2 Depth=1
                                        ; =>  This Inner Loop Header: Depth=2
	s_delay_alu instid0(VALU_DEP_1) | instskip(NEXT) | instid1(VALU_DEP_1)
	v_sub_nc_u32_e32 v53, v52, v51
	v_lshrrev_b32_e32 v53, 1, v53
	s_delay_alu instid0(VALU_DEP_1) | instskip(NEXT) | instid1(VALU_DEP_1)
	v_add_nc_u32_e32 v53, v53, v51
	v_xad_u32 v54, v53, -1, v46
	v_add_nc_u32_e32 v56, 1, v53
	ds_load_u8 v55, v53
	ds_load_u8 v54, v54
	s_wait_dscnt 0x0
	v_cmp_lt_u16_e64 s7, v54, v55
	s_wait_alu 0xf1ff
	s_delay_alu instid0(VALU_DEP_1) | instskip(SKIP_1) | instid1(VALU_DEP_1)
	v_cndmask_b32_e64 v52, v52, v53, s7
	v_cndmask_b32_e64 v51, v56, v51, s7
	v_cmp_ge_i32_e64 s7, v51, v52
	s_wait_alu 0xfffe
	s_or_b32 s9, s7, s9
	s_wait_alu 0xfffe
	s_and_not1_b32 exec_lo, exec_lo, s9
	s_cbranch_execnz .LBB107_116
; %bb.117:                              ;   in Loop: Header=BB107_2 Depth=1
	s_or_b32 exec_lo, exec_lo, s9
.LBB107_118:                            ;   in Loop: Header=BB107_2 Depth=1
	s_wait_alu 0xfffe
	s_or_b32 exec_lo, exec_lo, s8
	v_sub_nc_u32_e32 v56, v46, v51
	v_cmp_le_i32_e64 s7, 0x200, v51
	ds_load_u8 v52, v51
	ds_load_u8 v53, v56
	v_cmp_gt_i32_e64 s9, 0x400, v56
	s_wait_dscnt 0x1
	v_and_b32_e32 v54, 0xff, v52
	s_wait_dscnt 0x0
	v_and_b32_e32 v55, 0xff, v53
	s_delay_alu instid0(VALU_DEP_1)
	v_cmp_lt_u16_e64 s8, v55, v54
                                        ; implicit-def: $vgpr54
	s_or_b32 s7, s7, s8
	s_wait_alu 0xfffe
	s_and_b32 s7, s9, s7
	s_wait_alu 0xfffe
	s_xor_b32 s8, s7, -1
	s_wait_alu 0xfffe
	s_and_saveexec_b32 s9, s8
	s_wait_alu 0xfffe
	s_xor_b32 s8, exec_lo, s9
; %bb.119:                              ;   in Loop: Header=BB107_2 Depth=1
	ds_load_u8 v54, v51 offset:1
; %bb.120:                              ;   in Loop: Header=BB107_2 Depth=1
	s_wait_alu 0xfffe
	s_or_saveexec_b32 s8, s8
	v_mov_b32_e32 v55, v53
	s_wait_alu 0xfffe
	s_xor_b32 exec_lo, exec_lo, s8
	s_cbranch_execz .LBB107_122
; %bb.121:                              ;   in Loop: Header=BB107_2 Depth=1
	ds_load_u8 v55, v56 offset:1
	s_wait_dscnt 0x1
	v_mov_b32_e32 v54, v52
.LBB107_122:                            ;   in Loop: Header=BB107_2 Depth=1
	s_or_b32 exec_lo, exec_lo, s8
	v_add_nc_u32_e32 v57, 1, v51
	v_add_nc_u32_e32 v58, 1, v56
	s_wait_dscnt 0x0
	v_and_b32_e32 v61, 0xff, v54
	s_delay_alu instid0(VALU_DEP_3) | instskip(SKIP_2) | instid1(VALU_DEP_3)
	v_cndmask_b32_e64 v59, v57, v51, s7
	v_and_b32_e32 v57, 0xff, v55
	v_cndmask_b32_e64 v60, v56, v58, s7
	v_cmp_le_i32_e64 s8, 0x200, v59
	s_delay_alu instid0(VALU_DEP_3) | instskip(NEXT) | instid1(VALU_DEP_3)
	v_cmp_lt_u16_e64 s9, v57, v61
	v_cmp_gt_i32_e64 s10, 0x400, v60
                                        ; implicit-def: $vgpr57
	s_or_b32 s8, s8, s9
	s_wait_alu 0xfffe
	s_and_b32 s8, s10, s8
	s_wait_alu 0xfffe
	s_xor_b32 s9, s8, -1
	s_wait_alu 0xfffe
	s_and_saveexec_b32 s10, s9
	s_wait_alu 0xfffe
	s_xor_b32 s9, exec_lo, s10
; %bb.123:                              ;   in Loop: Header=BB107_2 Depth=1
	ds_load_u8 v57, v59 offset:1
; %bb.124:                              ;   in Loop: Header=BB107_2 Depth=1
	s_wait_alu 0xfffe
	s_or_saveexec_b32 s9, s9
	v_mov_b32_e32 v58, v55
	s_wait_alu 0xfffe
	s_xor_b32 exec_lo, exec_lo, s9
	s_cbranch_execz .LBB107_126
; %bb.125:                              ;   in Loop: Header=BB107_2 Depth=1
	ds_load_u8 v58, v60 offset:1
	s_wait_dscnt 0x1
	v_mov_b32_e32 v57, v54
.LBB107_126:                            ;   in Loop: Header=BB107_2 Depth=1
	s_or_b32 exec_lo, exec_lo, s9
	v_add_nc_u32_e32 v61, 1, v59
	v_add_nc_u32_e32 v62, 1, v60
	s_wait_dscnt 0x0
	v_and_b32_e32 v63, 0xff, v57
	v_and_b32_e32 v64, 0xff, v58
	v_cndmask_b32_e64 v66, v61, v59, s8
	v_cndmask_b32_e64 v61, v60, v62, s8
                                        ; implicit-def: $vgpr62
	s_delay_alu instid0(VALU_DEP_3) | instskip(NEXT) | instid1(VALU_DEP_3)
	v_cmp_lt_u16_e64 s10, v64, v63
                                        ; implicit-def: $vgpr63
	v_cmp_le_i32_e64 s9, 0x200, v66
	s_delay_alu instid0(VALU_DEP_3)
	v_cmp_gt_i32_e64 s11, 0x400, v61
	s_or_b32 s9, s9, s10
	s_wait_alu 0xfffe
	s_and_b32 s9, s11, s9
	s_wait_alu 0xfffe
	s_xor_b32 s10, s9, -1
	s_wait_alu 0xfffe
	s_and_saveexec_b32 s11, s10
	s_wait_alu 0xfffe
	s_xor_b32 s10, exec_lo, s11
; %bb.127:                              ;   in Loop: Header=BB107_2 Depth=1
	ds_load_u8 v63, v66 offset:1
	v_add_nc_u32_e32 v62, 1, v66
; %bb.128:                              ;   in Loop: Header=BB107_2 Depth=1
	s_wait_alu 0xfffe
	s_or_saveexec_b32 s10, s10
	v_dual_mov_b32 v64, v66 :: v_dual_mov_b32 v65, v58
	s_wait_alu 0xfffe
	s_xor_b32 exec_lo, exec_lo, s10
	s_cbranch_execz .LBB107_1
; %bb.129:                              ;   in Loop: Header=BB107_2 Depth=1
	ds_load_u8 v65, v61 offset:1
	s_wait_dscnt 0x1
	v_dual_mov_b32 v64, v61 :: v_dual_add_nc_u32 v63, 1, v61
	s_delay_alu instid0(VALU_DEP_1)
	v_dual_mov_b32 v62, v66 :: v_dual_mov_b32 v61, v63
	v_mov_b32_e32 v63, v57
	s_branch .LBB107_1
.LBB107_130:
	s_add_nc_u64 s[0:1], s[18:19], s[20:21]
	s_wait_dscnt 0x3
	v_add_nc_u16 v2, v53, v50
	s_wait_alu 0xfffe
	v_add_co_u32 v0, s0, s0, v0
	s_wait_alu 0xf1ff
	v_add_co_ci_u32_e64 v1, null, s1, 0, s0
	s_wait_dscnt 0x0
	v_add_nc_u16 v3, v52, v49
	v_add_nc_u16 v4, v54, v47
	;; [unrolled: 1-line block ×3, first 2 shown]
	s_clause 0x3
	global_store_b8 v[0:1], v2, off
	global_store_b8 v[0:1], v3, off offset:256
	global_store_b8 v[0:1], v4, off offset:512
	global_store_b8 v[0:1], v5, off offset:768
	s_endpgm
	.section	.rodata,"a",@progbits
	.p2align	6, 0x0
	.amdhsa_kernel _Z17sort_pairs_kernelIhLj256ELj4EN10test_utils4lessELj10EEvPKT_PS2_T2_
		.amdhsa_group_segment_fixed_size 1025
		.amdhsa_private_segment_fixed_size 0
		.amdhsa_kernarg_size 20
		.amdhsa_user_sgpr_count 2
		.amdhsa_user_sgpr_dispatch_ptr 0
		.amdhsa_user_sgpr_queue_ptr 0
		.amdhsa_user_sgpr_kernarg_segment_ptr 1
		.amdhsa_user_sgpr_dispatch_id 0
		.amdhsa_user_sgpr_private_segment_size 0
		.amdhsa_wavefront_size32 1
		.amdhsa_uses_dynamic_stack 0
		.amdhsa_enable_private_segment 0
		.amdhsa_system_sgpr_workgroup_id_x 1
		.amdhsa_system_sgpr_workgroup_id_y 0
		.amdhsa_system_sgpr_workgroup_id_z 0
		.amdhsa_system_sgpr_workgroup_info 0
		.amdhsa_system_vgpr_workitem_id 0
		.amdhsa_next_free_vgpr 70
		.amdhsa_next_free_sgpr 23
		.amdhsa_reserve_vcc 1
		.amdhsa_float_round_mode_32 0
		.amdhsa_float_round_mode_16_64 0
		.amdhsa_float_denorm_mode_32 3
		.amdhsa_float_denorm_mode_16_64 3
		.amdhsa_fp16_overflow 0
		.amdhsa_workgroup_processor_mode 1
		.amdhsa_memory_ordered 1
		.amdhsa_forward_progress 1
		.amdhsa_inst_pref_size 74
		.amdhsa_round_robin_scheduling 0
		.amdhsa_exception_fp_ieee_invalid_op 0
		.amdhsa_exception_fp_denorm_src 0
		.amdhsa_exception_fp_ieee_div_zero 0
		.amdhsa_exception_fp_ieee_overflow 0
		.amdhsa_exception_fp_ieee_underflow 0
		.amdhsa_exception_fp_ieee_inexact 0
		.amdhsa_exception_int_div_zero 0
	.end_amdhsa_kernel
	.section	.text._Z17sort_pairs_kernelIhLj256ELj4EN10test_utils4lessELj10EEvPKT_PS2_T2_,"axG",@progbits,_Z17sort_pairs_kernelIhLj256ELj4EN10test_utils4lessELj10EEvPKT_PS2_T2_,comdat
.Lfunc_end107:
	.size	_Z17sort_pairs_kernelIhLj256ELj4EN10test_utils4lessELj10EEvPKT_PS2_T2_, .Lfunc_end107-_Z17sort_pairs_kernelIhLj256ELj4EN10test_utils4lessELj10EEvPKT_PS2_T2_
                                        ; -- End function
	.set _Z17sort_pairs_kernelIhLj256ELj4EN10test_utils4lessELj10EEvPKT_PS2_T2_.num_vgpr, 70
	.set _Z17sort_pairs_kernelIhLj256ELj4EN10test_utils4lessELj10EEvPKT_PS2_T2_.num_agpr, 0
	.set _Z17sort_pairs_kernelIhLj256ELj4EN10test_utils4lessELj10EEvPKT_PS2_T2_.numbered_sgpr, 23
	.set _Z17sort_pairs_kernelIhLj256ELj4EN10test_utils4lessELj10EEvPKT_PS2_T2_.num_named_barrier, 0
	.set _Z17sort_pairs_kernelIhLj256ELj4EN10test_utils4lessELj10EEvPKT_PS2_T2_.private_seg_size, 0
	.set _Z17sort_pairs_kernelIhLj256ELj4EN10test_utils4lessELj10EEvPKT_PS2_T2_.uses_vcc, 1
	.set _Z17sort_pairs_kernelIhLj256ELj4EN10test_utils4lessELj10EEvPKT_PS2_T2_.uses_flat_scratch, 0
	.set _Z17sort_pairs_kernelIhLj256ELj4EN10test_utils4lessELj10EEvPKT_PS2_T2_.has_dyn_sized_stack, 0
	.set _Z17sort_pairs_kernelIhLj256ELj4EN10test_utils4lessELj10EEvPKT_PS2_T2_.has_recursion, 0
	.set _Z17sort_pairs_kernelIhLj256ELj4EN10test_utils4lessELj10EEvPKT_PS2_T2_.has_indirect_call, 0
	.section	.AMDGPU.csdata,"",@progbits
; Kernel info:
; codeLenInByte = 9448
; TotalNumSgprs: 25
; NumVgprs: 70
; ScratchSize: 0
; MemoryBound: 0
; FloatMode: 240
; IeeeMode: 1
; LDSByteSize: 1025 bytes/workgroup (compile time only)
; SGPRBlocks: 0
; VGPRBlocks: 8
; NumSGPRsForWavesPerEU: 25
; NumVGPRsForWavesPerEU: 70
; Occupancy: 16
; WaveLimiterHint : 1
; COMPUTE_PGM_RSRC2:SCRATCH_EN: 0
; COMPUTE_PGM_RSRC2:USER_SGPR: 2
; COMPUTE_PGM_RSRC2:TRAP_HANDLER: 0
; COMPUTE_PGM_RSRC2:TGID_X_EN: 1
; COMPUTE_PGM_RSRC2:TGID_Y_EN: 0
; COMPUTE_PGM_RSRC2:TGID_Z_EN: 0
; COMPUTE_PGM_RSRC2:TIDIG_COMP_CNT: 0
	.section	.text._Z16sort_keys_kernelIhLj256ELj8EN10test_utils4lessELj10EEvPKT_PS2_T2_,"axG",@progbits,_Z16sort_keys_kernelIhLj256ELj8EN10test_utils4lessELj10EEvPKT_PS2_T2_,comdat
	.protected	_Z16sort_keys_kernelIhLj256ELj8EN10test_utils4lessELj10EEvPKT_PS2_T2_ ; -- Begin function _Z16sort_keys_kernelIhLj256ELj8EN10test_utils4lessELj10EEvPKT_PS2_T2_
	.globl	_Z16sort_keys_kernelIhLj256ELj8EN10test_utils4lessELj10EEvPKT_PS2_T2_
	.p2align	8
	.type	_Z16sort_keys_kernelIhLj256ELj8EN10test_utils4lessELj10EEvPKT_PS2_T2_,@function
_Z16sort_keys_kernelIhLj256ELj8EN10test_utils4lessELj10EEvPKT_PS2_T2_: ; @_Z16sort_keys_kernelIhLj256ELj8EN10test_utils4lessELj10EEvPKT_PS2_T2_
; %bb.0:
	s_load_b128 s[16:19], s[0:1], 0x0
	s_lshl_b32 s20, ttmp9, 11
	s_mov_b32 s21, 0
	v_lshlrev_b32_e32 v1, 3, v0
	s_delay_alu instid0(VALU_DEP_1)
	v_and_b32_e32 v2, 0x7f0, v1
	v_and_b32_e32 v3, 0x7e0, v1
	;; [unrolled: 1-line block ×5, first 2 shown]
	v_or_b32_e32 v12, 8, v2
	v_add_nc_u32_e32 v13, 16, v2
	v_or_b32_e32 v14, 16, v3
	v_add_nc_u32_e32 v15, 32, v3
	v_and_b32_e32 v5, 0x780, v1
	v_or_b32_e32 v16, 32, v4
	v_sub_nc_u32_e32 v55, v13, v12
	s_wait_kmcnt 0x0
	s_add_nc_u64 s[0:1], s[16:17], s[20:21]
	v_add_nc_u32_e32 v17, 64, v4
	s_clause 0x7
	global_load_u8 v47, v0, s[0:1] offset:256
	global_load_u8 v48, v0, s[0:1] offset:1536
	;; [unrolled: 1-line block ×4, first 2 shown]
	global_load_u8 v51, v0, s[0:1]
	global_load_u8 v52, v0, s[0:1] offset:768
	global_load_u8 v53, v0, s[0:1] offset:1280
	;; [unrolled: 1-line block ×3, first 2 shown]
	v_sub_nc_u32_e32 v33, v12, v2
	v_sub_nc_u32_e32 v56, v15, v14
	;; [unrolled: 1-line block ×3, first 2 shown]
	v_cmp_ge_i32_e64 s0, v40, v55
	v_and_b32_e32 v42, 56, v1
	v_and_b32_e32 v6, 0x700, v1
	v_or_b32_e32 v18, 64, v5
	v_add_nc_u32_e32 v19, 0x80, v5
	v_add_nc_u32_e32 v26, v12, v40
	v_sub_nc_u32_e32 v34, v14, v3
	v_sub_nc_u32_e32 v57, v17, v16
	v_min_i32_e32 v33, v40, v33
	v_sub_nc_u32_e32 v63, v41, v56
	v_cndmask_b32_e64 v40, 0, v62, s0
	v_cmp_ge_i32_e64 s0, v41, v56
	v_and_b32_e32 v43, 0x78, v1
	v_and_b32_e32 v7, 0x600, v1
	v_or_b32_e32 v20, 0x80, v6
	v_add_nc_u32_e32 v21, 0x100, v6
	v_add_nc_u32_e32 v27, v14, v41
	v_sub_nc_u32_e32 v35, v16, v4
	v_sub_nc_u32_e32 v58, v19, v18
	v_min_i32_e32 v34, v41, v34
	v_sub_nc_u32_e32 v64, v42, v57
	s_wait_alu 0xf1ff
	v_cndmask_b32_e64 v41, 0, v63, s0
	v_cmp_ge_i32_e64 s0, v42, v57
	v_and_b32_e32 v44, 0xf8, v1
	v_and_b32_e32 v8, 0x400, v1
	v_or_b32_e32 v22, 0x100, v7
	v_add_nc_u32_e32 v23, 0x200, v7
	v_add_nc_u32_e32 v28, v16, v42
	v_sub_nc_u32_e32 v36, v18, v5
	v_sub_nc_u32_e32 v59, v21, v20
	v_min_i32_e32 v35, v42, v35
	v_sub_nc_u32_e32 v65, v43, v58
	s_wait_alu 0xf1ff
	v_cndmask_b32_e64 v42, 0, v64, s0
	v_cmp_ge_i32_e64 s0, v43, v58
	v_and_b32_e32 v45, 0x1f8, v1
	v_or_b32_e32 v24, 0x200, v8
	v_add_nc_u32_e32 v25, 0x400, v8
	v_add_nc_u32_e32 v29, v18, v43
	v_sub_nc_u32_e32 v37, v20, v6
	v_sub_nc_u32_e32 v60, v23, v22
	v_min_i32_e32 v36, v43, v36
	v_sub_nc_u32_e32 v66, v44, v59
	s_wait_alu 0xf1ff
	v_cndmask_b32_e64 v43, 0, v65, s0
	v_cmp_ge_i32_e64 s0, v44, v59
	v_and_b32_e32 v46, 0x3f8, v1
	v_add_nc_u32_e32 v30, v20, v44
	v_sub_nc_u32_e32 v38, v22, v7
	v_sub_nc_u32_e32 v61, v25, v24
	v_min_i32_e32 v37, v44, v37
	v_sub_nc_u32_e32 v67, v45, v60
	s_wait_alu 0xf1ff
	v_cndmask_b32_e64 v44, 0, v66, s0
	v_cmp_ge_i32_e64 s0, v45, v60
	v_add_nc_u32_e32 v31, v22, v45
	v_sub_nc_u32_e32 v39, v24, v8
	v_min_i32_e32 v38, v45, v38
	v_sub_nc_u32_e32 v68, v46, v61
	s_wait_alu 0xf1ff
	v_cndmask_b32_e64 v45, 0, v67, s0
	v_cmp_ge_i32_e64 s0, v46, v61
	v_add_nc_u32_e32 v32, v24, v46
	v_min_i32_e32 v39, v46, v39
	v_subrev_nc_u32_e64 v9, 0x400, v1 clamp
	v_min_i32_e32 v10, 0x400, v1
	s_wait_alu 0xf1ff
	v_cndmask_b32_e64 v46, 0, v68, s0
	v_add_nc_u32_e32 v11, 0x400, v1
	v_cmp_lt_i32_e64 s0, v40, v33
	v_cmp_lt_i32_e64 s1, v41, v34
	;; [unrolled: 1-line block ×7, first 2 shown]
	s_mov_b32 s16, s21
	v_cmp_lt_i32_e32 vcc_lo, v9, v10
	s_wait_loadcnt 0x3
	v_perm_b32 v47, v51, v47, 0xc0c0004
	s_wait_loadcnt 0x2
	v_perm_b32 v50, v50, v52, 0xc0c0004
	;; [unrolled: 2-line block ×4, first 2 shown]
	v_lshl_or_b32 v56, v50, 16, v47
	s_delay_alu instid0(VALU_DEP_2)
	v_lshl_or_b32 v47, v48, 16, v49
	s_branch .LBB108_2
.LBB108_1:                              ;   in Loop: Header=BB108_2 Depth=1
	s_or_b32 exec_lo, exec_lo, s14
	s_wait_dscnt 0x0
	v_and_b32_e32 v65, 0xff, v62
	v_and_b32_e32 v66, 0xff, v64
	v_cndmask_b32_e64 v48, v47, v48, s7
	v_cndmask_b32_e64 v49, v49, v50, s8
	v_cmp_le_i32_e64 s7, 0x400, v63
	v_cndmask_b32_e64 v50, v51, v52, s9
	v_cmp_lt_u16_e64 s8, v66, v65
	v_cmp_gt_i32_e64 s9, 0x800, v61
	v_cndmask_b32_e64 v51, v53, v54, s10
	v_cndmask_b32_e64 v52, v55, v56, s11
	;; [unrolled: 1-line block ×3, first 2 shown]
	s_or_b32 s7, s7, s8
	v_cndmask_b32_e64 v54, v59, v60, s13
	s_wait_alu 0xfffe
	s_and_b32 s7, s9, s7
	v_lshlrev_b16 v47, 8, v49
	s_wait_alu 0xfffe
	v_cndmask_b32_e64 v55, v62, v64, s7
	v_and_b32_e32 v56, 0xff, v48
	v_lshlrev_b16 v57, 8, v51
	v_and_b32_e32 v58, 0xff, v50
	v_lshlrev_b16 v59, 8, v53
	v_and_b32_e32 v60, 0xff, v52
	v_and_b32_e32 v61, 0xff, v54
	v_lshlrev_b16 v62, 8, v55
	v_or_b32_e32 v47, v56, v47
	v_or_b32_e32 v56, v58, v57
	;; [unrolled: 1-line block ×3, first 2 shown]
	s_add_co_i32 s16, s16, 1
	v_or_b32_e32 v58, v61, v62
	v_and_b32_e32 v47, 0xffff, v47
	v_lshlrev_b32_e32 v56, 16, v56
	v_and_b32_e32 v57, 0xffff, v57
	s_cmp_eq_u32 s16, 10
	v_lshlrev_b32_e32 v58, 16, v58
	s_delay_alu instid0(VALU_DEP_3) | instskip(NEXT) | instid1(VALU_DEP_2)
	v_or_b32_e32 v56, v47, v56
	v_or_b32_e32 v47, v57, v58
	s_cbranch_scc1 .LBB108_258
.LBB108_2:                              ; =>This Loop Header: Depth=1
                                        ;     Child Loop BB108_4 Depth 2
                                        ;     Child Loop BB108_36 Depth 2
	;; [unrolled: 1-line block ×8, first 2 shown]
	s_delay_alu instid0(VALU_DEP_2) | instskip(SKIP_3) | instid1(VALU_DEP_4)
	v_lshrrev_b32_e32 v48, 8, v56
	v_and_b32_e32 v49, 0xff, v56
	v_perm_b32 v50, v56, v56, 0x7060405
	v_and_b32_e32 v58, 0xff, v47
	v_and_b32_e32 v48, 0xff, v48
	s_barrier_signal -1
	s_barrier_wait -1
	global_inv scope:SCOPE_SE
	v_cmp_lt_u16_e64 s7, v48, v49
	v_max_u16 v55, v48, v49
	v_min_u16 v48, v48, v49
	s_wait_alu 0xf1ff
	s_delay_alu instid0(VALU_DEP_3) | instskip(NEXT) | instid1(VALU_DEP_1)
	v_cndmask_b32_e64 v50, v56, v50, s7
	v_lshrrev_b32_e32 v51, 16, v50
	v_lshrrev_b32_e32 v53, 24, v50
	s_delay_alu instid0(VALU_DEP_2) | instskip(SKIP_1) | instid1(VALU_DEP_2)
	v_perm_b32 v52, 0, v51, 0xc0c0001
	v_and_b32_e32 v51, 0xff, v51
	v_lshlrev_b32_e32 v52, 16, v52
	s_delay_alu instid0(VALU_DEP_2) | instskip(NEXT) | instid1(VALU_DEP_2)
	v_cmp_lt_u16_e64 s7, v53, v51
	v_and_or_b32 v52, 0xffff, v50, v52
	s_wait_alu 0xf1ff
	s_delay_alu instid0(VALU_DEP_1) | instskip(SKIP_2) | instid1(VALU_DEP_3)
	v_cndmask_b32_e64 v50, v50, v52, s7
	v_min_u16 v52, v53, v51
	v_max_u16 v51, v53, v51
	v_lshrrev_b32_e32 v54, 16, v50
	s_delay_alu instid0(VALU_DEP_3) | instskip(SKIP_4) | instid1(VALU_DEP_4)
	v_lshlrev_b16 v56, 8, v52
	v_and_b32_e32 v57, 0xff, v50
	v_cmp_lt_u16_e64 s7, v52, v55
	v_cmp_lt_u16_e64 s8, v52, v48
	v_and_b32_e32 v54, 0xffffff00, v54
	v_or_b32_e32 v56, v57, v56
	v_lshrrev_b32_e32 v57, 8, v47
	s_delay_alu instid0(VALU_DEP_3) | instskip(NEXT) | instid1(VALU_DEP_3)
	v_or_b32_e32 v54, v55, v54
	v_and_b32_e32 v56, 0xffff, v56
	s_delay_alu instid0(VALU_DEP_2) | instskip(NEXT) | instid1(VALU_DEP_1)
	v_lshlrev_b32_e32 v54, 16, v54
	v_or_b32_e32 v54, v56, v54
	v_and_b32_e32 v56, 0xff, v57
	v_perm_b32 v57, v47, v47, 0x7060405
	s_wait_alu 0xf1ff
	s_delay_alu instid0(VALU_DEP_3) | instskip(NEXT) | instid1(VALU_DEP_3)
	v_cndmask_b32_e64 v50, v50, v54, s7
	v_cmp_lt_u16_e64 s7, v56, v58
	v_min_u16 v54, v56, v58
	s_wait_alu 0xf1ff
	s_delay_alu instid0(VALU_DEP_2) | instskip(SKIP_1) | instid1(VALU_DEP_3)
	v_cndmask_b32_e64 v47, v47, v57, s7
	v_lshrrev_b32_e32 v57, 16, v50
	v_lshlrev_b16 v61, 8, v54
	s_delay_alu instid0(VALU_DEP_3) | instskip(SKIP_1) | instid1(VALU_DEP_4)
	v_lshrrev_b32_e32 v59, 16, v47
	v_lshrrev_b32_e32 v60, 24, v47
	v_and_b32_e32 v57, 0xff, v57
	v_perm_b32 v62, v47, v47, 0x6070504
	s_delay_alu instid0(VALU_DEP_4) | instskip(NEXT) | instid1(VALU_DEP_3)
	v_and_b32_e32 v59, 0xff, v59
	v_or_b32_e32 v49, v57, v61
	v_lshlrev_b16 v57, 8, v48
	v_min_u16 v61, v52, v55
	s_delay_alu instid0(VALU_DEP_4) | instskip(SKIP_2) | instid1(VALU_DEP_4)
	v_cmp_lt_u16_e64 s7, v60, v59
	v_max_u16 v55, v52, v55
	v_lshlrev_b32_e32 v49, 16, v49
	v_or_b32_e32 v57, v61, v57
	s_wait_alu 0xf1ff
	v_cndmask_b32_e64 v47, v47, v62, s7
	v_cmp_lt_u16_e64 s7, v54, v51
	v_and_or_b32 v49, 0xffff, v50, v49
	v_min_u16 v62, v54, v51
	v_lshlrev_b16 v63, 8, v55
	v_and_b32_e32 v53, 0xffffff00, v47
	v_and_b32_e32 v57, 0xffff, v57
	s_wait_alu 0xf1ff
	v_cndmask_b32_e64 v49, v50, v49, s7
	v_max_u16 v50, v56, v58
	v_or_b32_e32 v56, v62, v63
	v_or_b32_e32 v53, v51, v53
	v_max_u16 v51, v54, v51
	v_and_or_b32 v57, 0xffff0000, v49, v57
	v_max_u16 v58, v60, v59
	v_lshlrev_b32_e32 v56, 16, v56
	v_and_b32_e32 v53, 0xffff, v53
	v_min_u16 v59, v60, v59
	v_cndmask_b32_e64 v49, v49, v57, s8
	v_min_u16 v60, v62, v55
	v_lshlrev_b16 v63, 8, v51
	v_and_or_b32 v53, 0xffff0000, v47, v53
	v_lshlrev_b16 v52, 8, v59
	v_and_or_b32 v54, 0xffff, v49, v56
	v_min_u16 v56, v59, v50
	v_lshlrev_b16 v64, 8, v60
	v_cndmask_b32_e64 v47, v47, v53, s7
	v_cmp_lt_u16_e64 s7, v62, v55
	v_max_u16 v53, v59, v50
	v_or_b32_e32 v63, v56, v63
	v_max_u16 v55, v62, v55
	v_lshrrev_b32_e32 v57, 16, v47
	s_wait_alu 0xf1ff
	v_cndmask_b32_e64 v49, v49, v54, s7
	v_and_b32_e32 v54, 0xff, v47
	v_cmp_lt_u16_e64 s7, v59, v50
	v_and_b32_e32 v57, 0xffffff00, v57
	s_delay_alu instid0(VALU_DEP_4) | instskip(NEXT) | instid1(VALU_DEP_4)
	v_lshrrev_b32_e32 v65, 16, v49
	v_or_b32_e32 v52, v54, v52
	v_and_b32_e32 v66, 0xff, v49
	s_delay_alu instid0(VALU_DEP_4)
	v_or_b32_e32 v54, v50, v57
	v_cndmask_b32_e64 v57, v61, v48, s8
	v_and_b32_e32 v65, 0xffffff00, v65
	v_and_b32_e32 v52, 0xffff, v52
	v_or_b32_e32 v64, v66, v64
	v_lshlrev_b32_e32 v54, 16, v54
	v_lshlrev_b16 v66, 8, v53
	v_or_b32_e32 v65, v57, v65
	v_cndmask_b32_e64 v48, v48, v61, s8
	s_delay_alu instid0(VALU_DEP_4)
	v_or_b32_e32 v52, v52, v54
	v_and_b32_e32 v54, 0xffff, v63
	v_and_b32_e32 v63, 0xffff, v64
	v_lshlrev_b32_e32 v64, 16, v65
	s_wait_alu 0xf1ff
	v_cndmask_b32_e64 v47, v47, v52, s7
	v_cmp_lt_u16_e64 s7, v60, v57
	v_or_b32_e32 v52, v58, v66
	v_or_b32_e32 v59, v63, v64
	s_delay_alu instid0(VALU_DEP_4) | instskip(NEXT) | instid1(VALU_DEP_3)
	v_and_or_b32 v54, 0xffff0000, v47, v54
	v_lshlrev_b32_e32 v52, 16, v52
	s_wait_alu 0xf1ff
	s_delay_alu instid0(VALU_DEP_3) | instskip(SKIP_1) | instid1(VALU_DEP_2)
	v_cndmask_b32_e64 v49, v49, v59, s7
	v_cmp_lt_u16_e64 s7, v56, v51
	v_lshrrev_b32_e32 v59, 16, v49
	s_wait_alu 0xf1ff
	s_delay_alu instid0(VALU_DEP_2)
	v_cndmask_b32_e64 v47, v47, v54, s7
	v_min_u16 v54, v56, v51
	v_cmp_gt_u16_e64 s7, v50, v58
	v_max_u16 v50, v56, v51
	v_and_b32_e32 v59, 0xff, v59
	v_and_or_b32 v52, 0xffff, v47, v52
	v_lshlrev_b16 v62, 8, v54
	v_cmp_lt_u16_e64 s8, v54, v55
	v_max_u16 v61, v54, v55
	s_wait_alu 0xf1ff
	v_cndmask_b32_e64 v47, v47, v52, s7
	v_or_b32_e32 v51, v59, v62
	v_min_u16 v52, v60, v57
	v_lshlrev_b16 v59, 8, v48
	v_max_u16 v57, v60, v57
	v_and_b32_e32 v56, 0xffffff00, v47
	v_lshlrev_b32_e32 v51, 16, v51
	v_min_u16 v60, v54, v55
	v_or_b32_e32 v59, v52, v59
	v_lshlrev_b16 v62, 8, v57
	v_or_b32_e32 v56, v55, v56
	v_and_or_b32 v51, 0xffff, v49, v51
	v_lshlrev_b16 v55, 8, v61
	v_and_b32_e32 v59, 0xffff, v59
	s_delay_alu instid0(VALU_DEP_4) | instskip(NEXT) | instid1(VALU_DEP_4)
	v_and_b32_e32 v56, 0xffff, v56
	v_cndmask_b32_e64 v49, v49, v51, s8
	v_or_b32_e32 v51, v60, v62
	s_delay_alu instid0(VALU_DEP_3) | instskip(NEXT) | instid1(VALU_DEP_3)
	v_and_or_b32 v54, 0xffff0000, v47, v56
	v_and_or_b32 v59, 0xffff0000, v49, v59
	s_delay_alu instid0(VALU_DEP_3) | instskip(SKIP_1) | instid1(VALU_DEP_4)
	v_lshlrev_b32_e32 v51, 16, v51
	v_min_u16 v56, v60, v57
	v_cndmask_b32_e64 v47, v47, v54, s8
	v_cmp_lt_u16_e64 s8, v52, v48
	v_cndmask_b32_e64 v54, v53, v58, s7
	v_cndmask_b32_e64 v53, v58, v53, s7
	v_cmp_lt_u16_e64 s7, v60, v57
	v_lshrrev_b32_e32 v62, 16, v47
	s_wait_alu 0xf1ff
	v_cndmask_b32_e64 v49, v49, v59, s8
	v_lshlrev_b16 v64, 8, v54
	v_and_b32_e32 v65, 0xff, v47
	v_max_u16 v59, v52, v48
	v_and_b32_e32 v62, 0xffffff00, v62
	v_and_or_b32 v51, 0xffff, v49, v51
	v_lshlrev_b16 v63, 8, v56
	v_min_u16 v48, v52, v48
	s_delay_alu instid0(VALU_DEP_4) | instskip(NEXT) | instid1(VALU_DEP_4)
	v_or_b32_e32 v58, v50, v62
	v_cndmask_b32_e64 v49, v49, v51, s7
	v_or_b32_e32 v51, v65, v64
	v_min_u16 v62, v54, v50
	v_cmp_lt_u16_e64 s7, v54, v50
	v_lshlrev_b32_e32 v58, 16, v58
	v_lshrrev_b32_e32 v65, 16, v49
	v_and_b32_e32 v51, 0xffff, v51
	v_or_b32_e32 v55, v62, v55
	v_and_b32_e32 v66, 0xff, v49
	v_max_u16 v64, v54, v50
	v_and_b32_e32 v65, 0xffffff00, v65
	v_or_b32_e32 v51, v51, v58
	v_and_b32_e32 v55, 0xffff, v55
	v_or_b32_e32 v58, v66, v63
	v_lshlrev_b16 v67, 8, v64
	v_or_b32_e32 v63, v59, v65
	s_wait_alu 0xf1ff
	v_cndmask_b32_e64 v47, v47, v51, s7
	v_cmp_lt_u16_e64 s7, v62, v61
	v_and_b32_e32 v51, 0xffff, v58
	v_or_b32_e32 v50, v53, v67
	v_lshlrev_b32_e32 v54, 16, v63
	v_and_or_b32 v55, 0xffff0000, v47, v55
	v_min_u16 v52, v62, v61
	s_delay_alu instid0(VALU_DEP_4) | instskip(NEXT) | instid1(VALU_DEP_4)
	v_lshlrev_b32_e32 v50, 16, v50
	v_or_b32_e32 v51, v51, v54
	s_wait_alu 0xf1ff
	v_cndmask_b32_e64 v47, v47, v55, s7
	v_cmp_lt_u16_e64 s7, v56, v59
	v_lshlrev_b16 v55, 8, v52
	s_delay_alu instid0(VALU_DEP_3) | instskip(SKIP_1) | instid1(VALU_DEP_3)
	v_and_or_b32 v50, 0xffff, v47, v50
	s_wait_alu 0xf1ff
	v_cndmask_b32_e64 v49, v49, v51, s7
	v_cmp_lt_u16_e64 s7, v53, v64
	v_max_u16 v51, v60, v57
	v_lshlrev_b16 v57, 8, v48
	v_max_u16 v60, v62, v61
	v_lshrrev_b32_e32 v54, 16, v49
	s_wait_alu 0xf1ff
	v_cndmask_b32_e64 v47, v47, v50, s7
	v_min_u16 v50, v56, v59
	v_max_u16 v59, v56, v59
	v_cmp_lt_u16_e64 s7, v52, v51
	v_and_b32_e32 v54, 0xff, v54
	v_and_b32_e32 v58, 0xffffff00, v47
	v_min_u16 v62, v52, v51
	v_max_u16 v61, v53, v64
	v_min_u16 v53, v53, v64
	v_or_b32_e32 v54, v54, v55
	v_or_b32_e32 v55, v50, v57
	;; [unrolled: 1-line block ×3, first 2 shown]
	v_lshlrev_b16 v58, 8, v59
	v_max_u16 v51, v52, v51
	v_lshlrev_b32_e32 v54, 16, v54
	v_and_b32_e32 v55, 0xffff, v55
	v_and_b32_e32 v57, 0xffff, v57
	v_or_b32_e32 v52, v62, v58
	v_cmp_lt_u16_e64 s8, v62, v59
	v_and_or_b32 v54, 0xffff, v49, v54
	v_lshlrev_b16 v63, 8, v51
	v_and_or_b32 v57, 0xffff0000, v47, v57
	v_lshlrev_b32_e32 v52, 16, v52
	v_min_u16 v64, v62, v59
	s_wait_alu 0xf1ff
	v_cndmask_b32_e64 v49, v49, v54, s7
	v_lshlrev_b16 v54, 8, v53
	v_cndmask_b32_e64 v47, v47, v57, s7
	v_cmp_lt_u16_e64 s7, v56, v48
	v_max_u16 v57, v53, v60
	v_and_or_b32 v55, 0xffff0000, v49, v55
	v_lshlrev_b16 v65, 8, v64
	v_lshrrev_b32_e32 v58, 16, v47
	v_and_b32_e32 v56, 0xff, v47
	s_wait_alu 0xf1ff
	v_cndmask_b32_e64 v48, v50, v48, s7
	v_cndmask_b32_e64 v49, v49, v55, s7
	v_min_u16 v55, v53, v60
	v_and_b32_e32 v58, 0xffffff00, v58
	v_or_b32_e32 v54, v56, v54
	v_cmp_lt_u16_e64 s7, v53, v60
	v_and_or_b32 v52, 0xffff, v49, v52
	s_delay_alu instid0(VALU_DEP_4) | instskip(NEXT) | instid1(VALU_DEP_4)
	v_or_b32_e32 v56, v60, v58
	v_and_b32_e32 v54, 0xffff, v54
	v_or_b32_e32 v58, v55, v63
	s_delay_alu instid0(VALU_DEP_4) | instskip(SKIP_2) | instid1(VALU_DEP_4)
	v_cndmask_b32_e64 v49, v49, v52, s8
	v_lshlrev_b16 v52, 8, v57
	v_lshlrev_b32_e32 v56, 16, v56
	v_and_b32_e32 v58, 0xffff, v58
	s_delay_alu instid0(VALU_DEP_4) | instskip(NEXT) | instid1(VALU_DEP_4)
	v_lshrrev_b32_e32 v63, 16, v49
	v_or_b32_e32 v52, v61, v52
	s_delay_alu instid0(VALU_DEP_4) | instskip(SKIP_1) | instid1(VALU_DEP_4)
	v_or_b32_e32 v50, v54, v56
	v_and_b32_e32 v54, 0xff, v49
	v_and_b32_e32 v56, 0xffffff00, v63
	s_delay_alu instid0(VALU_DEP_4)
	v_lshlrev_b32_e32 v52, 16, v52
	s_wait_alu 0xf1ff
	v_cndmask_b32_e64 v47, v47, v50, s7
	v_or_b32_e32 v50, v54, v65
	v_cmp_lt_u16_e64 s7, v55, v51
	v_or_b32_e32 v53, v48, v56
	s_delay_alu instid0(VALU_DEP_4) | instskip(NEXT) | instid1(VALU_DEP_4)
	v_and_or_b32 v54, 0xffff0000, v47, v58
	v_and_b32_e32 v50, 0xffff, v50
	s_delay_alu instid0(VALU_DEP_3) | instskip(SKIP_1) | instid1(VALU_DEP_3)
	v_lshlrev_b32_e32 v53, 16, v53
	s_wait_alu 0xf1ff
	v_cndmask_b32_e64 v47, v47, v54, s7
	v_cmp_lt_u16_e64 s7, v64, v48
	s_delay_alu instid0(VALU_DEP_3) | instskip(NEXT) | instid1(VALU_DEP_3)
	v_or_b32_e32 v50, v50, v53
	v_and_or_b32 v52, 0xffff, v47, v52
	s_wait_alu 0xf1ff
	s_delay_alu instid0(VALU_DEP_2) | instskip(SKIP_3) | instid1(VALU_DEP_4)
	v_cndmask_b32_e64 v48, v49, v50, s7
	v_cmp_gt_u16_e64 s7, v60, v61
	v_min_u16 v49, v55, v51
	v_max_u16 v51, v55, v51
	v_lshrrev_b32_e32 v50, 16, v48
	s_wait_alu 0xf1ff
	v_cndmask_b32_e64 v47, v47, v52, s7
	v_max_u16 v52, v62, v59
	v_lshlrev_b16 v53, 8, v49
	v_and_b32_e32 v50, 0xff, v50
	s_delay_alu instid0(VALU_DEP_4) | instskip(NEXT) | instid1(VALU_DEP_4)
	v_and_b32_e32 v54, 0xffffff00, v47
	v_cmp_lt_u16_e64 s8, v49, v52
	v_cndmask_b32_e64 v49, v57, v61, s7
	s_delay_alu instid0(VALU_DEP_4) | instskip(NEXT) | instid1(VALU_DEP_4)
	v_or_b32_e32 v50, v50, v53
	v_or_b32_e32 v54, v52, v54
	s_delay_alu instid0(VALU_DEP_3) | instskip(SKIP_1) | instid1(VALU_DEP_4)
	v_lshlrev_b16 v52, 8, v49
	v_cmp_lt_u16_e64 s7, v49, v51
	v_lshlrev_b32_e32 v50, 16, v50
	s_delay_alu instid0(VALU_DEP_4) | instskip(NEXT) | instid1(VALU_DEP_2)
	v_and_b32_e32 v53, 0xffff, v54
	v_and_or_b32 v50, 0xffff, v48, v50
	s_delay_alu instid0(VALU_DEP_2) | instskip(SKIP_1) | instid1(VALU_DEP_2)
	v_and_or_b32 v53, 0xffff0000, v47, v53
	s_wait_alu 0xf1ff
	v_cndmask_b32_e64 v48, v48, v50, s8
	s_delay_alu instid0(VALU_DEP_2) | instskip(NEXT) | instid1(VALU_DEP_1)
	v_cndmask_b32_e64 v47, v47, v53, s8
	v_lshrrev_b32_e32 v50, 16, v47
	v_and_b32_e32 v53, 0xff, v47
	s_delay_alu instid0(VALU_DEP_2) | instskip(NEXT) | instid1(VALU_DEP_2)
	v_and_b32_e32 v50, 0xffffff00, v50
	v_or_b32_e32 v52, v53, v52
	s_delay_alu instid0(VALU_DEP_2) | instskip(NEXT) | instid1(VALU_DEP_2)
	v_or_b32_e32 v50, v51, v50
	v_and_b32_e32 v52, 0xffff, v52
	s_delay_alu instid0(VALU_DEP_2) | instskip(NEXT) | instid1(VALU_DEP_1)
	v_lshlrev_b32_e32 v50, 16, v50
	v_or_b32_e32 v50, v52, v50
	s_delay_alu instid0(VALU_DEP_1)
	v_cndmask_b32_e64 v49, v47, v50, s7
	v_mov_b32_e32 v47, v40
	ds_store_b64 v1, v[48:49]
	s_wait_loadcnt_dscnt 0x0
	s_barrier_signal -1
	s_barrier_wait -1
	global_inv scope:SCOPE_SE
	s_and_saveexec_b32 s8, s0
	s_cbranch_execz .LBB108_6
; %bb.3:                                ;   in Loop: Header=BB108_2 Depth=1
	v_dual_mov_b32 v47, v40 :: v_dual_mov_b32 v48, v33
	s_mov_b32 s9, 0
.LBB108_4:                              ;   Parent Loop BB108_2 Depth=1
                                        ; =>  This Inner Loop Header: Depth=2
	s_delay_alu instid0(VALU_DEP_1) | instskip(NEXT) | instid1(VALU_DEP_1)
	v_sub_nc_u32_e32 v49, v48, v47
	v_lshrrev_b32_e32 v49, 1, v49
	s_delay_alu instid0(VALU_DEP_1) | instskip(NEXT) | instid1(VALU_DEP_1)
	v_add_nc_u32_e32 v49, v49, v47
	v_add_nc_u32_e32 v50, v2, v49
	v_xad_u32 v51, v49, -1, v26
	v_add_nc_u32_e32 v52, 1, v49
	ds_load_u8 v50, v50
	ds_load_u8 v51, v51
	s_wait_dscnt 0x0
	v_cmp_lt_u16_e64 s7, v51, v50
	s_wait_alu 0xf1ff
	s_delay_alu instid0(VALU_DEP_1) | instskip(SKIP_1) | instid1(VALU_DEP_1)
	v_cndmask_b32_e64 v48, v48, v49, s7
	v_cndmask_b32_e64 v47, v52, v47, s7
	v_cmp_ge_i32_e64 s7, v47, v48
	s_wait_alu 0xfffe
	s_or_b32 s9, s7, s9
	s_wait_alu 0xfffe
	s_and_not1_b32 exec_lo, exec_lo, s9
	s_cbranch_execnz .LBB108_4
; %bb.5:                                ;   in Loop: Header=BB108_2 Depth=1
	s_or_b32 exec_lo, exec_lo, s9
.LBB108_6:                              ;   in Loop: Header=BB108_2 Depth=1
	s_wait_alu 0xfffe
	s_or_b32 exec_lo, exec_lo, s8
	v_add_nc_u32_e32 v52, v47, v2
	v_sub_nc_u32_e32 v51, v26, v47
	ds_load_u8 v47, v52
	ds_load_u8 v48, v51
	v_cmp_le_i32_e64 s7, v12, v52
	v_cmp_gt_i32_e64 s9, v13, v51
	s_wait_dscnt 0x1
	v_and_b32_e32 v49, 0xff, v47
	s_wait_dscnt 0x0
	v_and_b32_e32 v50, 0xff, v48
	s_delay_alu instid0(VALU_DEP_1)
	v_cmp_lt_u16_e64 s8, v50, v49
                                        ; implicit-def: $vgpr49
	s_or_b32 s7, s7, s8
	s_wait_alu 0xfffe
	s_and_b32 s7, s9, s7
	s_wait_alu 0xfffe
	s_xor_b32 s8, s7, -1
	s_wait_alu 0xfffe
	s_and_saveexec_b32 s9, s8
	s_wait_alu 0xfffe
	s_xor_b32 s8, exec_lo, s9
; %bb.7:                                ;   in Loop: Header=BB108_2 Depth=1
	ds_load_u8 v49, v52 offset:1
; %bb.8:                                ;   in Loop: Header=BB108_2 Depth=1
	s_wait_alu 0xfffe
	s_or_saveexec_b32 s8, s8
	v_mov_b32_e32 v50, v48
	s_wait_alu 0xfffe
	s_xor_b32 exec_lo, exec_lo, s8
	s_cbranch_execz .LBB108_10
; %bb.9:                                ;   in Loop: Header=BB108_2 Depth=1
	ds_load_u8 v50, v51 offset:1
	s_wait_dscnt 0x1
	v_mov_b32_e32 v49, v47
.LBB108_10:                             ;   in Loop: Header=BB108_2 Depth=1
	s_or_b32 exec_lo, exec_lo, s8
	v_add_nc_u32_e32 v53, 1, v52
	v_add_nc_u32_e32 v55, 1, v51
	s_wait_dscnt 0x0
	v_and_b32_e32 v56, 0xff, v49
	s_delay_alu instid0(VALU_DEP_3) | instskip(SKIP_2) | instid1(VALU_DEP_3)
	v_cndmask_b32_e64 v54, v53, v52, s7
	v_and_b32_e32 v52, 0xff, v50
	v_cndmask_b32_e64 v53, v51, v55, s7
                                        ; implicit-def: $vgpr51
	v_cmp_ge_i32_e64 s8, v54, v12
	s_delay_alu instid0(VALU_DEP_3) | instskip(NEXT) | instid1(VALU_DEP_3)
	v_cmp_lt_u16_e64 s9, v52, v56
	v_cmp_lt_i32_e64 s10, v53, v13
	s_or_b32 s8, s8, s9
	s_wait_alu 0xfffe
	s_and_b32 s8, s10, s8
	s_wait_alu 0xfffe
	s_xor_b32 s9, s8, -1
	s_wait_alu 0xfffe
	s_and_saveexec_b32 s10, s9
	s_wait_alu 0xfffe
	s_xor_b32 s9, exec_lo, s10
; %bb.11:                               ;   in Loop: Header=BB108_2 Depth=1
	ds_load_u8 v51, v54 offset:1
; %bb.12:                               ;   in Loop: Header=BB108_2 Depth=1
	s_wait_alu 0xfffe
	s_or_saveexec_b32 s9, s9
	v_mov_b32_e32 v52, v50
	s_wait_alu 0xfffe
	s_xor_b32 exec_lo, exec_lo, s9
	s_cbranch_execz .LBB108_14
; %bb.13:                               ;   in Loop: Header=BB108_2 Depth=1
	ds_load_u8 v52, v53 offset:1
	s_wait_dscnt 0x1
	v_mov_b32_e32 v51, v49
.LBB108_14:                             ;   in Loop: Header=BB108_2 Depth=1
	s_or_b32 exec_lo, exec_lo, s9
	v_add_nc_u32_e32 v55, 1, v54
	v_add_nc_u32_e32 v57, 1, v53
	s_wait_dscnt 0x0
	v_and_b32_e32 v58, 0xff, v51
	s_delay_alu instid0(VALU_DEP_3) | instskip(SKIP_2) | instid1(VALU_DEP_3)
	v_cndmask_b32_e64 v56, v55, v54, s8
	v_and_b32_e32 v54, 0xff, v52
	v_cndmask_b32_e64 v55, v53, v57, s8
                                        ; implicit-def: $vgpr53
	v_cmp_ge_i32_e64 s9, v56, v12
	s_delay_alu instid0(VALU_DEP_3) | instskip(NEXT) | instid1(VALU_DEP_3)
	v_cmp_lt_u16_e64 s10, v54, v58
	v_cmp_lt_i32_e64 s11, v55, v13
	s_or_b32 s9, s9, s10
	s_wait_alu 0xfffe
	s_and_b32 s9, s11, s9
	s_wait_alu 0xfffe
	s_xor_b32 s10, s9, -1
	s_wait_alu 0xfffe
	s_and_saveexec_b32 s11, s10
	s_wait_alu 0xfffe
	s_xor_b32 s10, exec_lo, s11
; %bb.15:                               ;   in Loop: Header=BB108_2 Depth=1
	ds_load_u8 v53, v56 offset:1
; %bb.16:                               ;   in Loop: Header=BB108_2 Depth=1
	s_wait_alu 0xfffe
	s_or_saveexec_b32 s10, s10
	v_mov_b32_e32 v54, v52
	s_wait_alu 0xfffe
	s_xor_b32 exec_lo, exec_lo, s10
	s_cbranch_execz .LBB108_18
; %bb.17:                               ;   in Loop: Header=BB108_2 Depth=1
	ds_load_u8 v54, v55 offset:1
	s_wait_dscnt 0x1
	v_mov_b32_e32 v53, v51
.LBB108_18:                             ;   in Loop: Header=BB108_2 Depth=1
	s_or_b32 exec_lo, exec_lo, s10
	v_add_nc_u32_e32 v57, 1, v56
	v_add_nc_u32_e32 v59, 1, v55
	s_wait_dscnt 0x0
	v_and_b32_e32 v60, 0xff, v53
	s_delay_alu instid0(VALU_DEP_3) | instskip(SKIP_2) | instid1(VALU_DEP_3)
	v_cndmask_b32_e64 v58, v57, v56, s9
	v_and_b32_e32 v56, 0xff, v54
	v_cndmask_b32_e64 v57, v55, v59, s9
                                        ; implicit-def: $vgpr55
	v_cmp_ge_i32_e64 s10, v58, v12
	s_delay_alu instid0(VALU_DEP_3) | instskip(NEXT) | instid1(VALU_DEP_3)
	v_cmp_lt_u16_e64 s11, v56, v60
	v_cmp_lt_i32_e64 s12, v57, v13
	s_or_b32 s10, s10, s11
	s_wait_alu 0xfffe
	s_and_b32 s10, s12, s10
	s_wait_alu 0xfffe
	s_xor_b32 s11, s10, -1
	s_wait_alu 0xfffe
	s_and_saveexec_b32 s12, s11
	s_wait_alu 0xfffe
	s_xor_b32 s11, exec_lo, s12
; %bb.19:                               ;   in Loop: Header=BB108_2 Depth=1
	ds_load_u8 v55, v58 offset:1
; %bb.20:                               ;   in Loop: Header=BB108_2 Depth=1
	s_wait_alu 0xfffe
	s_or_saveexec_b32 s11, s11
	v_mov_b32_e32 v56, v54
	s_wait_alu 0xfffe
	s_xor_b32 exec_lo, exec_lo, s11
	s_cbranch_execz .LBB108_22
; %bb.21:                               ;   in Loop: Header=BB108_2 Depth=1
	ds_load_u8 v56, v57 offset:1
	s_wait_dscnt 0x1
	v_mov_b32_e32 v55, v53
.LBB108_22:                             ;   in Loop: Header=BB108_2 Depth=1
	s_or_b32 exec_lo, exec_lo, s11
	v_add_nc_u32_e32 v59, 1, v58
	v_add_nc_u32_e32 v61, 1, v57
	s_wait_dscnt 0x0
	v_and_b32_e32 v62, 0xff, v55
	s_delay_alu instid0(VALU_DEP_3) | instskip(SKIP_2) | instid1(VALU_DEP_3)
	v_cndmask_b32_e64 v60, v59, v58, s10
	v_and_b32_e32 v58, 0xff, v56
	v_cndmask_b32_e64 v59, v57, v61, s10
                                        ; implicit-def: $vgpr57
	v_cmp_ge_i32_e64 s11, v60, v12
	s_delay_alu instid0(VALU_DEP_3) | instskip(NEXT) | instid1(VALU_DEP_3)
	v_cmp_lt_u16_e64 s12, v58, v62
	v_cmp_lt_i32_e64 s13, v59, v13
	s_or_b32 s11, s11, s12
	s_wait_alu 0xfffe
	s_and_b32 s11, s13, s11
	s_wait_alu 0xfffe
	s_xor_b32 s12, s11, -1
	s_wait_alu 0xfffe
	s_and_saveexec_b32 s13, s12
	s_wait_alu 0xfffe
	s_xor_b32 s12, exec_lo, s13
; %bb.23:                               ;   in Loop: Header=BB108_2 Depth=1
	ds_load_u8 v57, v60 offset:1
; %bb.24:                               ;   in Loop: Header=BB108_2 Depth=1
	s_wait_alu 0xfffe
	s_or_saveexec_b32 s12, s12
	v_mov_b32_e32 v58, v56
	s_wait_alu 0xfffe
	s_xor_b32 exec_lo, exec_lo, s12
	s_cbranch_execz .LBB108_26
; %bb.25:                               ;   in Loop: Header=BB108_2 Depth=1
	ds_load_u8 v58, v59 offset:1
	s_wait_dscnt 0x1
	v_mov_b32_e32 v57, v55
.LBB108_26:                             ;   in Loop: Header=BB108_2 Depth=1
	s_or_b32 exec_lo, exec_lo, s12
	v_add_nc_u32_e32 v61, 1, v60
	v_add_nc_u32_e32 v63, 1, v59
	s_wait_dscnt 0x0
	v_and_b32_e32 v64, 0xff, v57
	s_delay_alu instid0(VALU_DEP_3) | instskip(SKIP_2) | instid1(VALU_DEP_3)
	v_cndmask_b32_e64 v62, v61, v60, s11
	v_and_b32_e32 v60, 0xff, v58
	v_cndmask_b32_e64 v61, v59, v63, s11
                                        ; implicit-def: $vgpr59
	v_cmp_ge_i32_e64 s12, v62, v12
	s_delay_alu instid0(VALU_DEP_3) | instskip(NEXT) | instid1(VALU_DEP_3)
	v_cmp_lt_u16_e64 s13, v60, v64
	v_cmp_lt_i32_e64 s14, v61, v13
	s_or_b32 s12, s12, s13
	s_wait_alu 0xfffe
	s_and_b32 s12, s14, s12
	s_wait_alu 0xfffe
	s_xor_b32 s13, s12, -1
	s_wait_alu 0xfffe
	s_and_saveexec_b32 s14, s13
	s_delay_alu instid0(SALU_CYCLE_1)
	s_xor_b32 s13, exec_lo, s14
; %bb.27:                               ;   in Loop: Header=BB108_2 Depth=1
	ds_load_u8 v59, v62 offset:1
; %bb.28:                               ;   in Loop: Header=BB108_2 Depth=1
	s_wait_alu 0xfffe
	s_or_saveexec_b32 s13, s13
	v_mov_b32_e32 v60, v58
	s_wait_alu 0xfffe
	s_xor_b32 exec_lo, exec_lo, s13
	s_cbranch_execz .LBB108_30
; %bb.29:                               ;   in Loop: Header=BB108_2 Depth=1
	ds_load_u8 v60, v61 offset:1
	s_wait_dscnt 0x1
	v_mov_b32_e32 v59, v57
.LBB108_30:                             ;   in Loop: Header=BB108_2 Depth=1
	s_or_b32 exec_lo, exec_lo, s13
	v_add_nc_u32_e32 v63, 1, v62
	v_add_nc_u32_e32 v64, 1, v61
	s_wait_dscnt 0x0
	v_and_b32_e32 v65, 0xff, v59
	v_and_b32_e32 v66, 0xff, v60
	v_cndmask_b32_e64 v63, v63, v62, s12
	v_cndmask_b32_e64 v62, v61, v64, s12
                                        ; implicit-def: $vgpr61
	s_delay_alu instid0(VALU_DEP_3) | instskip(NEXT) | instid1(VALU_DEP_3)
	v_cmp_lt_u16_e64 s14, v66, v65
	v_cmp_ge_i32_e64 s13, v63, v12
	s_delay_alu instid0(VALU_DEP_3)
	v_cmp_lt_i32_e64 s15, v62, v13
	s_or_b32 s13, s13, s14
	s_wait_alu 0xfffe
	s_and_b32 s13, s15, s13
	s_wait_alu 0xfffe
	s_xor_b32 s14, s13, -1
	s_delay_alu instid0(SALU_CYCLE_1) | instskip(NEXT) | instid1(SALU_CYCLE_1)
	s_and_saveexec_b32 s15, s14
	s_xor_b32 s14, exec_lo, s15
; %bb.31:                               ;   in Loop: Header=BB108_2 Depth=1
	ds_load_u8 v61, v63 offset:1
; %bb.32:                               ;   in Loop: Header=BB108_2 Depth=1
	s_or_saveexec_b32 s14, s14
	v_mov_b32_e32 v64, v60
	s_xor_b32 exec_lo, exec_lo, s14
	s_cbranch_execz .LBB108_34
; %bb.33:                               ;   in Loop: Header=BB108_2 Depth=1
	ds_load_u8 v64, v62 offset:1
	s_wait_dscnt 0x1
	v_mov_b32_e32 v61, v59
.LBB108_34:                             ;   in Loop: Header=BB108_2 Depth=1
	s_or_b32 exec_lo, exec_lo, s14
	v_cndmask_b32_e64 v53, v53, v54, s10
	v_cndmask_b32_e64 v49, v49, v50, s8
	;; [unrolled: 1-line block ×4, first 2 shown]
	v_add_nc_u32_e32 v65, 1, v63
	v_lshlrev_b16 v51, 8, v53
	v_lshlrev_b16 v49, 8, v49
	v_and_b32_e32 v47, 0xff, v47
	v_and_b32_e32 v48, 0xff, v48
	v_cndmask_b32_e64 v59, v59, v60, s13
	v_add_nc_u32_e32 v60, 1, v62
	s_wait_dscnt 0x0
	v_and_b32_e32 v66, 0xff, v61
	v_or_b32_e32 v47, v47, v49
	v_or_b32_e32 v48, v48, v51
	v_and_b32_e32 v67, 0xff, v64
	v_cndmask_b32_e64 v63, v65, v63, s13
	v_cndmask_b32_e64 v57, v57, v58, s12
	v_and_b32_e32 v47, 0xffff, v47
	v_lshlrev_b32_e32 v48, 16, v48
	v_cndmask_b32_e64 v55, v55, v56, s11
	v_cmp_lt_u16_e64 s11, v67, v66
	v_cmp_ge_i32_e64 s12, v63, v12
	v_lshlrev_b16 v52, 8, v57
	v_or_b32_e32 v48, v47, v48
	v_mov_b32_e32 v47, v41
	v_cndmask_b32_e64 v58, v62, v60, s13
	s_or_b32 s7, s12, s11
	v_and_b32_e32 v53, 0xff, v55
	v_and_b32_e32 v54, 0xff, v59
	s_wait_loadcnt 0x0
	v_cmp_lt_i32_e64 s10, v58, v13
	s_barrier_signal -1
	v_or_b32_e32 v49, v53, v52
	s_barrier_wait -1
	global_inv scope:SCOPE_SE
	s_wait_alu 0xfffe
	s_and_b32 s7, s10, s7
	s_wait_alu 0xfffe
	v_cndmask_b32_e64 v50, v61, v64, s7
	v_and_b32_e32 v49, 0xffff, v49
	s_delay_alu instid0(VALU_DEP_2) | instskip(NEXT) | instid1(VALU_DEP_1)
	v_lshlrev_b16 v50, 8, v50
	v_or_b32_e32 v50, v54, v50
	s_delay_alu instid0(VALU_DEP_1) | instskip(NEXT) | instid1(VALU_DEP_1)
	v_lshlrev_b32_e32 v50, 16, v50
	v_or_b32_e32 v49, v49, v50
	ds_store_b64 v1, v[48:49]
	s_wait_loadcnt_dscnt 0x0
	s_barrier_signal -1
	s_barrier_wait -1
	global_inv scope:SCOPE_SE
	s_and_saveexec_b32 s8, s1
	s_cbranch_execz .LBB108_38
; %bb.35:                               ;   in Loop: Header=BB108_2 Depth=1
	v_dual_mov_b32 v47, v41 :: v_dual_mov_b32 v48, v34
	s_mov_b32 s9, 0
.LBB108_36:                             ;   Parent Loop BB108_2 Depth=1
                                        ; =>  This Inner Loop Header: Depth=2
	s_delay_alu instid0(VALU_DEP_1) | instskip(NEXT) | instid1(VALU_DEP_1)
	v_sub_nc_u32_e32 v49, v48, v47
	v_lshrrev_b32_e32 v49, 1, v49
	s_delay_alu instid0(VALU_DEP_1) | instskip(NEXT) | instid1(VALU_DEP_1)
	v_add_nc_u32_e32 v49, v49, v47
	v_add_nc_u32_e32 v50, v3, v49
	v_xad_u32 v51, v49, -1, v27
	v_add_nc_u32_e32 v52, 1, v49
	ds_load_u8 v50, v50
	ds_load_u8 v51, v51
	s_wait_dscnt 0x0
	v_cmp_lt_u16_e64 s7, v51, v50
	s_wait_alu 0xf1ff
	s_delay_alu instid0(VALU_DEP_1) | instskip(SKIP_1) | instid1(VALU_DEP_1)
	v_cndmask_b32_e64 v48, v48, v49, s7
	v_cndmask_b32_e64 v47, v52, v47, s7
	v_cmp_ge_i32_e64 s7, v47, v48
	s_wait_alu 0xfffe
	s_or_b32 s9, s7, s9
	s_wait_alu 0xfffe
	s_and_not1_b32 exec_lo, exec_lo, s9
	s_cbranch_execnz .LBB108_36
; %bb.37:                               ;   in Loop: Header=BB108_2 Depth=1
	s_or_b32 exec_lo, exec_lo, s9
.LBB108_38:                             ;   in Loop: Header=BB108_2 Depth=1
	s_wait_alu 0xfffe
	s_or_b32 exec_lo, exec_lo, s8
	v_add_nc_u32_e32 v52, v47, v3
	v_sub_nc_u32_e32 v51, v27, v47
	ds_load_u8 v47, v52
	ds_load_u8 v48, v51
	v_cmp_le_i32_e64 s7, v14, v52
	v_cmp_gt_i32_e64 s9, v15, v51
	s_wait_dscnt 0x1
	v_and_b32_e32 v49, 0xff, v47
	s_wait_dscnt 0x0
	v_and_b32_e32 v50, 0xff, v48
	s_delay_alu instid0(VALU_DEP_1)
	v_cmp_lt_u16_e64 s8, v50, v49
                                        ; implicit-def: $vgpr49
	s_or_b32 s7, s7, s8
	s_wait_alu 0xfffe
	s_and_b32 s7, s9, s7
	s_wait_alu 0xfffe
	s_xor_b32 s8, s7, -1
	s_wait_alu 0xfffe
	s_and_saveexec_b32 s9, s8
	s_wait_alu 0xfffe
	s_xor_b32 s8, exec_lo, s9
; %bb.39:                               ;   in Loop: Header=BB108_2 Depth=1
	ds_load_u8 v49, v52 offset:1
; %bb.40:                               ;   in Loop: Header=BB108_2 Depth=1
	s_wait_alu 0xfffe
	s_or_saveexec_b32 s8, s8
	v_mov_b32_e32 v50, v48
	s_wait_alu 0xfffe
	s_xor_b32 exec_lo, exec_lo, s8
	s_cbranch_execz .LBB108_42
; %bb.41:                               ;   in Loop: Header=BB108_2 Depth=1
	ds_load_u8 v50, v51 offset:1
	s_wait_dscnt 0x1
	v_mov_b32_e32 v49, v47
.LBB108_42:                             ;   in Loop: Header=BB108_2 Depth=1
	s_or_b32 exec_lo, exec_lo, s8
	v_add_nc_u32_e32 v53, 1, v52
	v_add_nc_u32_e32 v55, 1, v51
	s_wait_dscnt 0x0
	v_and_b32_e32 v56, 0xff, v49
	s_delay_alu instid0(VALU_DEP_3) | instskip(SKIP_2) | instid1(VALU_DEP_3)
	v_cndmask_b32_e64 v54, v53, v52, s7
	v_and_b32_e32 v52, 0xff, v50
	v_cndmask_b32_e64 v53, v51, v55, s7
                                        ; implicit-def: $vgpr51
	v_cmp_ge_i32_e64 s8, v54, v14
	s_delay_alu instid0(VALU_DEP_3) | instskip(NEXT) | instid1(VALU_DEP_3)
	v_cmp_lt_u16_e64 s9, v52, v56
	v_cmp_lt_i32_e64 s10, v53, v15
	s_or_b32 s8, s8, s9
	s_wait_alu 0xfffe
	s_and_b32 s8, s10, s8
	s_wait_alu 0xfffe
	s_xor_b32 s9, s8, -1
	s_wait_alu 0xfffe
	s_and_saveexec_b32 s10, s9
	s_wait_alu 0xfffe
	s_xor_b32 s9, exec_lo, s10
; %bb.43:                               ;   in Loop: Header=BB108_2 Depth=1
	ds_load_u8 v51, v54 offset:1
; %bb.44:                               ;   in Loop: Header=BB108_2 Depth=1
	s_wait_alu 0xfffe
	s_or_saveexec_b32 s9, s9
	v_mov_b32_e32 v52, v50
	s_wait_alu 0xfffe
	s_xor_b32 exec_lo, exec_lo, s9
	s_cbranch_execz .LBB108_46
; %bb.45:                               ;   in Loop: Header=BB108_2 Depth=1
	ds_load_u8 v52, v53 offset:1
	s_wait_dscnt 0x1
	v_mov_b32_e32 v51, v49
.LBB108_46:                             ;   in Loop: Header=BB108_2 Depth=1
	s_or_b32 exec_lo, exec_lo, s9
	v_add_nc_u32_e32 v55, 1, v54
	v_add_nc_u32_e32 v57, 1, v53
	s_wait_dscnt 0x0
	v_and_b32_e32 v58, 0xff, v51
	s_delay_alu instid0(VALU_DEP_3) | instskip(SKIP_2) | instid1(VALU_DEP_3)
	v_cndmask_b32_e64 v56, v55, v54, s8
	v_and_b32_e32 v54, 0xff, v52
	v_cndmask_b32_e64 v55, v53, v57, s8
                                        ; implicit-def: $vgpr53
	v_cmp_ge_i32_e64 s9, v56, v14
	s_delay_alu instid0(VALU_DEP_3) | instskip(NEXT) | instid1(VALU_DEP_3)
	v_cmp_lt_u16_e64 s10, v54, v58
	v_cmp_lt_i32_e64 s11, v55, v15
	s_or_b32 s9, s9, s10
	s_wait_alu 0xfffe
	s_and_b32 s9, s11, s9
	s_wait_alu 0xfffe
	s_xor_b32 s10, s9, -1
	s_wait_alu 0xfffe
	s_and_saveexec_b32 s11, s10
	s_wait_alu 0xfffe
	s_xor_b32 s10, exec_lo, s11
; %bb.47:                               ;   in Loop: Header=BB108_2 Depth=1
	ds_load_u8 v53, v56 offset:1
; %bb.48:                               ;   in Loop: Header=BB108_2 Depth=1
	s_wait_alu 0xfffe
	s_or_saveexec_b32 s10, s10
	v_mov_b32_e32 v54, v52
	s_wait_alu 0xfffe
	s_xor_b32 exec_lo, exec_lo, s10
	s_cbranch_execz .LBB108_50
; %bb.49:                               ;   in Loop: Header=BB108_2 Depth=1
	ds_load_u8 v54, v55 offset:1
	s_wait_dscnt 0x1
	v_mov_b32_e32 v53, v51
.LBB108_50:                             ;   in Loop: Header=BB108_2 Depth=1
	s_or_b32 exec_lo, exec_lo, s10
	v_add_nc_u32_e32 v57, 1, v56
	v_add_nc_u32_e32 v59, 1, v55
	s_wait_dscnt 0x0
	v_and_b32_e32 v60, 0xff, v53
	s_delay_alu instid0(VALU_DEP_3) | instskip(SKIP_2) | instid1(VALU_DEP_3)
	v_cndmask_b32_e64 v58, v57, v56, s9
	v_and_b32_e32 v56, 0xff, v54
	v_cndmask_b32_e64 v57, v55, v59, s9
                                        ; implicit-def: $vgpr55
	v_cmp_ge_i32_e64 s10, v58, v14
	s_delay_alu instid0(VALU_DEP_3) | instskip(NEXT) | instid1(VALU_DEP_3)
	v_cmp_lt_u16_e64 s11, v56, v60
	v_cmp_lt_i32_e64 s12, v57, v15
	s_or_b32 s10, s10, s11
	s_wait_alu 0xfffe
	s_and_b32 s10, s12, s10
	s_wait_alu 0xfffe
	s_xor_b32 s11, s10, -1
	s_wait_alu 0xfffe
	s_and_saveexec_b32 s12, s11
	s_wait_alu 0xfffe
	s_xor_b32 s11, exec_lo, s12
; %bb.51:                               ;   in Loop: Header=BB108_2 Depth=1
	ds_load_u8 v55, v58 offset:1
; %bb.52:                               ;   in Loop: Header=BB108_2 Depth=1
	s_wait_alu 0xfffe
	s_or_saveexec_b32 s11, s11
	v_mov_b32_e32 v56, v54
	s_wait_alu 0xfffe
	s_xor_b32 exec_lo, exec_lo, s11
	s_cbranch_execz .LBB108_54
; %bb.53:                               ;   in Loop: Header=BB108_2 Depth=1
	ds_load_u8 v56, v57 offset:1
	s_wait_dscnt 0x1
	v_mov_b32_e32 v55, v53
.LBB108_54:                             ;   in Loop: Header=BB108_2 Depth=1
	s_or_b32 exec_lo, exec_lo, s11
	v_add_nc_u32_e32 v59, 1, v58
	v_add_nc_u32_e32 v61, 1, v57
	s_wait_dscnt 0x0
	v_and_b32_e32 v62, 0xff, v55
	s_delay_alu instid0(VALU_DEP_3) | instskip(SKIP_2) | instid1(VALU_DEP_3)
	v_cndmask_b32_e64 v60, v59, v58, s10
	v_and_b32_e32 v58, 0xff, v56
	v_cndmask_b32_e64 v59, v57, v61, s10
                                        ; implicit-def: $vgpr57
	v_cmp_ge_i32_e64 s11, v60, v14
	s_delay_alu instid0(VALU_DEP_3) | instskip(NEXT) | instid1(VALU_DEP_3)
	v_cmp_lt_u16_e64 s12, v58, v62
	v_cmp_lt_i32_e64 s13, v59, v15
	s_or_b32 s11, s11, s12
	s_wait_alu 0xfffe
	s_and_b32 s11, s13, s11
	s_wait_alu 0xfffe
	s_xor_b32 s12, s11, -1
	s_wait_alu 0xfffe
	s_and_saveexec_b32 s13, s12
	s_wait_alu 0xfffe
	s_xor_b32 s12, exec_lo, s13
; %bb.55:                               ;   in Loop: Header=BB108_2 Depth=1
	ds_load_u8 v57, v60 offset:1
; %bb.56:                               ;   in Loop: Header=BB108_2 Depth=1
	s_wait_alu 0xfffe
	s_or_saveexec_b32 s12, s12
	v_mov_b32_e32 v58, v56
	s_wait_alu 0xfffe
	s_xor_b32 exec_lo, exec_lo, s12
	s_cbranch_execz .LBB108_58
; %bb.57:                               ;   in Loop: Header=BB108_2 Depth=1
	ds_load_u8 v58, v59 offset:1
	s_wait_dscnt 0x1
	v_mov_b32_e32 v57, v55
.LBB108_58:                             ;   in Loop: Header=BB108_2 Depth=1
	s_or_b32 exec_lo, exec_lo, s12
	v_add_nc_u32_e32 v61, 1, v60
	v_add_nc_u32_e32 v63, 1, v59
	s_wait_dscnt 0x0
	v_and_b32_e32 v64, 0xff, v57
	s_delay_alu instid0(VALU_DEP_3) | instskip(SKIP_2) | instid1(VALU_DEP_3)
	v_cndmask_b32_e64 v62, v61, v60, s11
	v_and_b32_e32 v60, 0xff, v58
	v_cndmask_b32_e64 v61, v59, v63, s11
                                        ; implicit-def: $vgpr59
	v_cmp_ge_i32_e64 s12, v62, v14
	s_delay_alu instid0(VALU_DEP_3) | instskip(NEXT) | instid1(VALU_DEP_3)
	v_cmp_lt_u16_e64 s13, v60, v64
	v_cmp_lt_i32_e64 s14, v61, v15
	s_or_b32 s12, s12, s13
	s_wait_alu 0xfffe
	s_and_b32 s12, s14, s12
	s_wait_alu 0xfffe
	s_xor_b32 s13, s12, -1
	s_wait_alu 0xfffe
	s_and_saveexec_b32 s14, s13
	s_delay_alu instid0(SALU_CYCLE_1)
	s_xor_b32 s13, exec_lo, s14
; %bb.59:                               ;   in Loop: Header=BB108_2 Depth=1
	ds_load_u8 v59, v62 offset:1
; %bb.60:                               ;   in Loop: Header=BB108_2 Depth=1
	s_wait_alu 0xfffe
	s_or_saveexec_b32 s13, s13
	v_mov_b32_e32 v60, v58
	s_wait_alu 0xfffe
	s_xor_b32 exec_lo, exec_lo, s13
	s_cbranch_execz .LBB108_62
; %bb.61:                               ;   in Loop: Header=BB108_2 Depth=1
	ds_load_u8 v60, v61 offset:1
	s_wait_dscnt 0x1
	v_mov_b32_e32 v59, v57
.LBB108_62:                             ;   in Loop: Header=BB108_2 Depth=1
	s_or_b32 exec_lo, exec_lo, s13
	v_add_nc_u32_e32 v63, 1, v62
	v_add_nc_u32_e32 v64, 1, v61
	s_wait_dscnt 0x0
	v_and_b32_e32 v65, 0xff, v59
	v_and_b32_e32 v66, 0xff, v60
	v_cndmask_b32_e64 v63, v63, v62, s12
	v_cndmask_b32_e64 v62, v61, v64, s12
                                        ; implicit-def: $vgpr61
	s_delay_alu instid0(VALU_DEP_3) | instskip(NEXT) | instid1(VALU_DEP_3)
	v_cmp_lt_u16_e64 s14, v66, v65
	v_cmp_ge_i32_e64 s13, v63, v14
	s_delay_alu instid0(VALU_DEP_3)
	v_cmp_lt_i32_e64 s15, v62, v15
	s_or_b32 s13, s13, s14
	s_wait_alu 0xfffe
	s_and_b32 s13, s15, s13
	s_wait_alu 0xfffe
	s_xor_b32 s14, s13, -1
	s_delay_alu instid0(SALU_CYCLE_1) | instskip(NEXT) | instid1(SALU_CYCLE_1)
	s_and_saveexec_b32 s15, s14
	s_xor_b32 s14, exec_lo, s15
; %bb.63:                               ;   in Loop: Header=BB108_2 Depth=1
	ds_load_u8 v61, v63 offset:1
; %bb.64:                               ;   in Loop: Header=BB108_2 Depth=1
	s_or_saveexec_b32 s14, s14
	v_mov_b32_e32 v64, v60
	s_xor_b32 exec_lo, exec_lo, s14
	s_cbranch_execz .LBB108_66
; %bb.65:                               ;   in Loop: Header=BB108_2 Depth=1
	ds_load_u8 v64, v62 offset:1
	s_wait_dscnt 0x1
	v_mov_b32_e32 v61, v59
.LBB108_66:                             ;   in Loop: Header=BB108_2 Depth=1
	s_or_b32 exec_lo, exec_lo, s14
	v_cndmask_b32_e64 v53, v53, v54, s10
	v_cndmask_b32_e64 v49, v49, v50, s8
	;; [unrolled: 1-line block ×4, first 2 shown]
	v_add_nc_u32_e32 v65, 1, v63
	v_lshlrev_b16 v51, 8, v53
	v_lshlrev_b16 v49, 8, v49
	v_and_b32_e32 v47, 0xff, v47
	v_and_b32_e32 v48, 0xff, v48
	v_cndmask_b32_e64 v59, v59, v60, s13
	v_add_nc_u32_e32 v60, 1, v62
	s_wait_dscnt 0x0
	v_and_b32_e32 v66, 0xff, v61
	v_or_b32_e32 v47, v47, v49
	v_or_b32_e32 v48, v48, v51
	v_and_b32_e32 v67, 0xff, v64
	v_cndmask_b32_e64 v63, v65, v63, s13
	v_cndmask_b32_e64 v57, v57, v58, s12
	v_and_b32_e32 v47, 0xffff, v47
	v_lshlrev_b32_e32 v48, 16, v48
	v_cndmask_b32_e64 v55, v55, v56, s11
	v_cmp_lt_u16_e64 s11, v67, v66
	v_cmp_ge_i32_e64 s12, v63, v14
	v_lshlrev_b16 v52, 8, v57
	v_or_b32_e32 v48, v47, v48
	v_mov_b32_e32 v47, v42
	v_cndmask_b32_e64 v58, v62, v60, s13
	s_or_b32 s7, s12, s11
	v_and_b32_e32 v53, 0xff, v55
	v_and_b32_e32 v54, 0xff, v59
	s_wait_loadcnt 0x0
	v_cmp_lt_i32_e64 s10, v58, v15
	s_barrier_signal -1
	v_or_b32_e32 v49, v53, v52
	s_barrier_wait -1
	global_inv scope:SCOPE_SE
	s_wait_alu 0xfffe
	s_and_b32 s7, s10, s7
	s_wait_alu 0xfffe
	v_cndmask_b32_e64 v50, v61, v64, s7
	v_and_b32_e32 v49, 0xffff, v49
	s_delay_alu instid0(VALU_DEP_2) | instskip(NEXT) | instid1(VALU_DEP_1)
	v_lshlrev_b16 v50, 8, v50
	v_or_b32_e32 v50, v54, v50
	s_delay_alu instid0(VALU_DEP_1) | instskip(NEXT) | instid1(VALU_DEP_1)
	v_lshlrev_b32_e32 v50, 16, v50
	v_or_b32_e32 v49, v49, v50
	ds_store_b64 v1, v[48:49]
	s_wait_loadcnt_dscnt 0x0
	s_barrier_signal -1
	s_barrier_wait -1
	global_inv scope:SCOPE_SE
	s_and_saveexec_b32 s8, s2
	s_cbranch_execz .LBB108_70
; %bb.67:                               ;   in Loop: Header=BB108_2 Depth=1
	v_dual_mov_b32 v47, v42 :: v_dual_mov_b32 v48, v35
	s_mov_b32 s9, 0
.LBB108_68:                             ;   Parent Loop BB108_2 Depth=1
                                        ; =>  This Inner Loop Header: Depth=2
	s_delay_alu instid0(VALU_DEP_1) | instskip(NEXT) | instid1(VALU_DEP_1)
	v_sub_nc_u32_e32 v49, v48, v47
	v_lshrrev_b32_e32 v49, 1, v49
	s_delay_alu instid0(VALU_DEP_1) | instskip(NEXT) | instid1(VALU_DEP_1)
	v_add_nc_u32_e32 v49, v49, v47
	v_add_nc_u32_e32 v50, v4, v49
	v_xad_u32 v51, v49, -1, v28
	v_add_nc_u32_e32 v52, 1, v49
	ds_load_u8 v50, v50
	ds_load_u8 v51, v51
	s_wait_dscnt 0x0
	v_cmp_lt_u16_e64 s7, v51, v50
	s_wait_alu 0xf1ff
	s_delay_alu instid0(VALU_DEP_1) | instskip(SKIP_1) | instid1(VALU_DEP_1)
	v_cndmask_b32_e64 v48, v48, v49, s7
	v_cndmask_b32_e64 v47, v52, v47, s7
	v_cmp_ge_i32_e64 s7, v47, v48
	s_wait_alu 0xfffe
	s_or_b32 s9, s7, s9
	s_wait_alu 0xfffe
	s_and_not1_b32 exec_lo, exec_lo, s9
	s_cbranch_execnz .LBB108_68
; %bb.69:                               ;   in Loop: Header=BB108_2 Depth=1
	s_or_b32 exec_lo, exec_lo, s9
.LBB108_70:                             ;   in Loop: Header=BB108_2 Depth=1
	s_wait_alu 0xfffe
	s_or_b32 exec_lo, exec_lo, s8
	v_add_nc_u32_e32 v52, v47, v4
	v_sub_nc_u32_e32 v51, v28, v47
	ds_load_u8 v47, v52
	ds_load_u8 v48, v51
	v_cmp_le_i32_e64 s7, v16, v52
	v_cmp_gt_i32_e64 s9, v17, v51
	s_wait_dscnt 0x1
	v_and_b32_e32 v49, 0xff, v47
	s_wait_dscnt 0x0
	v_and_b32_e32 v50, 0xff, v48
	s_delay_alu instid0(VALU_DEP_1)
	v_cmp_lt_u16_e64 s8, v50, v49
                                        ; implicit-def: $vgpr49
	s_or_b32 s7, s7, s8
	s_wait_alu 0xfffe
	s_and_b32 s7, s9, s7
	s_wait_alu 0xfffe
	s_xor_b32 s8, s7, -1
	s_wait_alu 0xfffe
	s_and_saveexec_b32 s9, s8
	s_wait_alu 0xfffe
	s_xor_b32 s8, exec_lo, s9
; %bb.71:                               ;   in Loop: Header=BB108_2 Depth=1
	ds_load_u8 v49, v52 offset:1
; %bb.72:                               ;   in Loop: Header=BB108_2 Depth=1
	s_wait_alu 0xfffe
	s_or_saveexec_b32 s8, s8
	v_mov_b32_e32 v50, v48
	s_wait_alu 0xfffe
	s_xor_b32 exec_lo, exec_lo, s8
	s_cbranch_execz .LBB108_74
; %bb.73:                               ;   in Loop: Header=BB108_2 Depth=1
	ds_load_u8 v50, v51 offset:1
	s_wait_dscnt 0x1
	v_mov_b32_e32 v49, v47
.LBB108_74:                             ;   in Loop: Header=BB108_2 Depth=1
	s_or_b32 exec_lo, exec_lo, s8
	v_add_nc_u32_e32 v53, 1, v52
	v_add_nc_u32_e32 v55, 1, v51
	s_wait_dscnt 0x0
	v_and_b32_e32 v56, 0xff, v49
	s_delay_alu instid0(VALU_DEP_3) | instskip(SKIP_2) | instid1(VALU_DEP_3)
	v_cndmask_b32_e64 v54, v53, v52, s7
	v_and_b32_e32 v52, 0xff, v50
	v_cndmask_b32_e64 v53, v51, v55, s7
                                        ; implicit-def: $vgpr51
	v_cmp_ge_i32_e64 s8, v54, v16
	s_delay_alu instid0(VALU_DEP_3) | instskip(NEXT) | instid1(VALU_DEP_3)
	v_cmp_lt_u16_e64 s9, v52, v56
	v_cmp_lt_i32_e64 s10, v53, v17
	s_or_b32 s8, s8, s9
	s_wait_alu 0xfffe
	s_and_b32 s8, s10, s8
	s_wait_alu 0xfffe
	s_xor_b32 s9, s8, -1
	s_wait_alu 0xfffe
	s_and_saveexec_b32 s10, s9
	s_wait_alu 0xfffe
	s_xor_b32 s9, exec_lo, s10
; %bb.75:                               ;   in Loop: Header=BB108_2 Depth=1
	ds_load_u8 v51, v54 offset:1
; %bb.76:                               ;   in Loop: Header=BB108_2 Depth=1
	s_wait_alu 0xfffe
	s_or_saveexec_b32 s9, s9
	v_mov_b32_e32 v52, v50
	s_wait_alu 0xfffe
	s_xor_b32 exec_lo, exec_lo, s9
	s_cbranch_execz .LBB108_78
; %bb.77:                               ;   in Loop: Header=BB108_2 Depth=1
	ds_load_u8 v52, v53 offset:1
	s_wait_dscnt 0x1
	v_mov_b32_e32 v51, v49
.LBB108_78:                             ;   in Loop: Header=BB108_2 Depth=1
	s_or_b32 exec_lo, exec_lo, s9
	v_add_nc_u32_e32 v55, 1, v54
	v_add_nc_u32_e32 v57, 1, v53
	s_wait_dscnt 0x0
	v_and_b32_e32 v58, 0xff, v51
	s_delay_alu instid0(VALU_DEP_3) | instskip(SKIP_2) | instid1(VALU_DEP_3)
	v_cndmask_b32_e64 v56, v55, v54, s8
	v_and_b32_e32 v54, 0xff, v52
	v_cndmask_b32_e64 v55, v53, v57, s8
                                        ; implicit-def: $vgpr53
	v_cmp_ge_i32_e64 s9, v56, v16
	s_delay_alu instid0(VALU_DEP_3) | instskip(NEXT) | instid1(VALU_DEP_3)
	v_cmp_lt_u16_e64 s10, v54, v58
	v_cmp_lt_i32_e64 s11, v55, v17
	s_or_b32 s9, s9, s10
	s_wait_alu 0xfffe
	s_and_b32 s9, s11, s9
	s_wait_alu 0xfffe
	s_xor_b32 s10, s9, -1
	s_wait_alu 0xfffe
	s_and_saveexec_b32 s11, s10
	s_wait_alu 0xfffe
	s_xor_b32 s10, exec_lo, s11
; %bb.79:                               ;   in Loop: Header=BB108_2 Depth=1
	ds_load_u8 v53, v56 offset:1
; %bb.80:                               ;   in Loop: Header=BB108_2 Depth=1
	s_wait_alu 0xfffe
	s_or_saveexec_b32 s10, s10
	v_mov_b32_e32 v54, v52
	s_wait_alu 0xfffe
	s_xor_b32 exec_lo, exec_lo, s10
	s_cbranch_execz .LBB108_82
; %bb.81:                               ;   in Loop: Header=BB108_2 Depth=1
	ds_load_u8 v54, v55 offset:1
	s_wait_dscnt 0x1
	v_mov_b32_e32 v53, v51
.LBB108_82:                             ;   in Loop: Header=BB108_2 Depth=1
	s_or_b32 exec_lo, exec_lo, s10
	v_add_nc_u32_e32 v57, 1, v56
	v_add_nc_u32_e32 v59, 1, v55
	s_wait_dscnt 0x0
	v_and_b32_e32 v60, 0xff, v53
	s_delay_alu instid0(VALU_DEP_3) | instskip(SKIP_2) | instid1(VALU_DEP_3)
	v_cndmask_b32_e64 v58, v57, v56, s9
	v_and_b32_e32 v56, 0xff, v54
	v_cndmask_b32_e64 v57, v55, v59, s9
                                        ; implicit-def: $vgpr55
	v_cmp_ge_i32_e64 s10, v58, v16
	s_delay_alu instid0(VALU_DEP_3) | instskip(NEXT) | instid1(VALU_DEP_3)
	v_cmp_lt_u16_e64 s11, v56, v60
	v_cmp_lt_i32_e64 s12, v57, v17
	s_or_b32 s10, s10, s11
	s_wait_alu 0xfffe
	s_and_b32 s10, s12, s10
	s_wait_alu 0xfffe
	s_xor_b32 s11, s10, -1
	s_wait_alu 0xfffe
	s_and_saveexec_b32 s12, s11
	s_wait_alu 0xfffe
	s_xor_b32 s11, exec_lo, s12
; %bb.83:                               ;   in Loop: Header=BB108_2 Depth=1
	ds_load_u8 v55, v58 offset:1
; %bb.84:                               ;   in Loop: Header=BB108_2 Depth=1
	s_wait_alu 0xfffe
	s_or_saveexec_b32 s11, s11
	v_mov_b32_e32 v56, v54
	s_wait_alu 0xfffe
	s_xor_b32 exec_lo, exec_lo, s11
	s_cbranch_execz .LBB108_86
; %bb.85:                               ;   in Loop: Header=BB108_2 Depth=1
	ds_load_u8 v56, v57 offset:1
	s_wait_dscnt 0x1
	v_mov_b32_e32 v55, v53
.LBB108_86:                             ;   in Loop: Header=BB108_2 Depth=1
	s_or_b32 exec_lo, exec_lo, s11
	v_add_nc_u32_e32 v59, 1, v58
	v_add_nc_u32_e32 v61, 1, v57
	s_wait_dscnt 0x0
	v_and_b32_e32 v62, 0xff, v55
	s_delay_alu instid0(VALU_DEP_3) | instskip(SKIP_2) | instid1(VALU_DEP_3)
	v_cndmask_b32_e64 v60, v59, v58, s10
	v_and_b32_e32 v58, 0xff, v56
	v_cndmask_b32_e64 v59, v57, v61, s10
                                        ; implicit-def: $vgpr57
	v_cmp_ge_i32_e64 s11, v60, v16
	s_delay_alu instid0(VALU_DEP_3) | instskip(NEXT) | instid1(VALU_DEP_3)
	v_cmp_lt_u16_e64 s12, v58, v62
	v_cmp_lt_i32_e64 s13, v59, v17
	s_or_b32 s11, s11, s12
	s_wait_alu 0xfffe
	s_and_b32 s11, s13, s11
	s_wait_alu 0xfffe
	s_xor_b32 s12, s11, -1
	s_wait_alu 0xfffe
	s_and_saveexec_b32 s13, s12
	s_wait_alu 0xfffe
	s_xor_b32 s12, exec_lo, s13
; %bb.87:                               ;   in Loop: Header=BB108_2 Depth=1
	ds_load_u8 v57, v60 offset:1
; %bb.88:                               ;   in Loop: Header=BB108_2 Depth=1
	s_wait_alu 0xfffe
	s_or_saveexec_b32 s12, s12
	v_mov_b32_e32 v58, v56
	s_wait_alu 0xfffe
	s_xor_b32 exec_lo, exec_lo, s12
	s_cbranch_execz .LBB108_90
; %bb.89:                               ;   in Loop: Header=BB108_2 Depth=1
	ds_load_u8 v58, v59 offset:1
	s_wait_dscnt 0x1
	v_mov_b32_e32 v57, v55
.LBB108_90:                             ;   in Loop: Header=BB108_2 Depth=1
	s_or_b32 exec_lo, exec_lo, s12
	v_add_nc_u32_e32 v61, 1, v60
	v_add_nc_u32_e32 v63, 1, v59
	s_wait_dscnt 0x0
	v_and_b32_e32 v64, 0xff, v57
	s_delay_alu instid0(VALU_DEP_3) | instskip(SKIP_2) | instid1(VALU_DEP_3)
	v_cndmask_b32_e64 v62, v61, v60, s11
	v_and_b32_e32 v60, 0xff, v58
	v_cndmask_b32_e64 v61, v59, v63, s11
                                        ; implicit-def: $vgpr59
	v_cmp_ge_i32_e64 s12, v62, v16
	s_delay_alu instid0(VALU_DEP_3) | instskip(NEXT) | instid1(VALU_DEP_3)
	v_cmp_lt_u16_e64 s13, v60, v64
	v_cmp_lt_i32_e64 s14, v61, v17
	s_or_b32 s12, s12, s13
	s_wait_alu 0xfffe
	s_and_b32 s12, s14, s12
	s_wait_alu 0xfffe
	s_xor_b32 s13, s12, -1
	s_wait_alu 0xfffe
	s_and_saveexec_b32 s14, s13
	s_delay_alu instid0(SALU_CYCLE_1)
	s_xor_b32 s13, exec_lo, s14
; %bb.91:                               ;   in Loop: Header=BB108_2 Depth=1
	ds_load_u8 v59, v62 offset:1
; %bb.92:                               ;   in Loop: Header=BB108_2 Depth=1
	s_wait_alu 0xfffe
	s_or_saveexec_b32 s13, s13
	v_mov_b32_e32 v60, v58
	s_wait_alu 0xfffe
	s_xor_b32 exec_lo, exec_lo, s13
	s_cbranch_execz .LBB108_94
; %bb.93:                               ;   in Loop: Header=BB108_2 Depth=1
	ds_load_u8 v60, v61 offset:1
	s_wait_dscnt 0x1
	v_mov_b32_e32 v59, v57
.LBB108_94:                             ;   in Loop: Header=BB108_2 Depth=1
	s_or_b32 exec_lo, exec_lo, s13
	v_add_nc_u32_e32 v63, 1, v62
	v_add_nc_u32_e32 v64, 1, v61
	s_wait_dscnt 0x0
	v_and_b32_e32 v65, 0xff, v59
	v_and_b32_e32 v66, 0xff, v60
	v_cndmask_b32_e64 v63, v63, v62, s12
	v_cndmask_b32_e64 v62, v61, v64, s12
                                        ; implicit-def: $vgpr61
	s_delay_alu instid0(VALU_DEP_3) | instskip(NEXT) | instid1(VALU_DEP_3)
	v_cmp_lt_u16_e64 s14, v66, v65
	v_cmp_ge_i32_e64 s13, v63, v16
	s_delay_alu instid0(VALU_DEP_3)
	v_cmp_lt_i32_e64 s15, v62, v17
	s_or_b32 s13, s13, s14
	s_wait_alu 0xfffe
	s_and_b32 s13, s15, s13
	s_wait_alu 0xfffe
	s_xor_b32 s14, s13, -1
	s_delay_alu instid0(SALU_CYCLE_1) | instskip(NEXT) | instid1(SALU_CYCLE_1)
	s_and_saveexec_b32 s15, s14
	s_xor_b32 s14, exec_lo, s15
; %bb.95:                               ;   in Loop: Header=BB108_2 Depth=1
	ds_load_u8 v61, v63 offset:1
; %bb.96:                               ;   in Loop: Header=BB108_2 Depth=1
	s_or_saveexec_b32 s14, s14
	v_mov_b32_e32 v64, v60
	s_xor_b32 exec_lo, exec_lo, s14
	s_cbranch_execz .LBB108_98
; %bb.97:                               ;   in Loop: Header=BB108_2 Depth=1
	ds_load_u8 v64, v62 offset:1
	s_wait_dscnt 0x1
	v_mov_b32_e32 v61, v59
.LBB108_98:                             ;   in Loop: Header=BB108_2 Depth=1
	s_or_b32 exec_lo, exec_lo, s14
	v_cndmask_b32_e64 v53, v53, v54, s10
	v_cndmask_b32_e64 v49, v49, v50, s8
	;; [unrolled: 1-line block ×4, first 2 shown]
	v_add_nc_u32_e32 v65, 1, v63
	v_lshlrev_b16 v51, 8, v53
	v_lshlrev_b16 v49, 8, v49
	v_and_b32_e32 v47, 0xff, v47
	v_and_b32_e32 v48, 0xff, v48
	v_cndmask_b32_e64 v59, v59, v60, s13
	v_add_nc_u32_e32 v60, 1, v62
	s_wait_dscnt 0x0
	v_and_b32_e32 v66, 0xff, v61
	v_or_b32_e32 v47, v47, v49
	v_or_b32_e32 v48, v48, v51
	v_and_b32_e32 v67, 0xff, v64
	v_cndmask_b32_e64 v63, v65, v63, s13
	v_cndmask_b32_e64 v57, v57, v58, s12
	v_and_b32_e32 v47, 0xffff, v47
	v_lshlrev_b32_e32 v48, 16, v48
	v_cndmask_b32_e64 v55, v55, v56, s11
	v_cmp_lt_u16_e64 s11, v67, v66
	v_cmp_ge_i32_e64 s12, v63, v16
	v_lshlrev_b16 v52, 8, v57
	v_or_b32_e32 v48, v47, v48
	v_mov_b32_e32 v47, v43
	v_cndmask_b32_e64 v58, v62, v60, s13
	s_or_b32 s7, s12, s11
	v_and_b32_e32 v53, 0xff, v55
	v_and_b32_e32 v54, 0xff, v59
	s_wait_loadcnt 0x0
	v_cmp_lt_i32_e64 s10, v58, v17
	s_barrier_signal -1
	v_or_b32_e32 v49, v53, v52
	s_barrier_wait -1
	global_inv scope:SCOPE_SE
	s_wait_alu 0xfffe
	s_and_b32 s7, s10, s7
	s_wait_alu 0xfffe
	v_cndmask_b32_e64 v50, v61, v64, s7
	v_and_b32_e32 v49, 0xffff, v49
	s_delay_alu instid0(VALU_DEP_2) | instskip(NEXT) | instid1(VALU_DEP_1)
	v_lshlrev_b16 v50, 8, v50
	v_or_b32_e32 v50, v54, v50
	s_delay_alu instid0(VALU_DEP_1) | instskip(NEXT) | instid1(VALU_DEP_1)
	v_lshlrev_b32_e32 v50, 16, v50
	v_or_b32_e32 v49, v49, v50
	ds_store_b64 v1, v[48:49]
	s_wait_loadcnt_dscnt 0x0
	s_barrier_signal -1
	s_barrier_wait -1
	global_inv scope:SCOPE_SE
	s_and_saveexec_b32 s8, s3
	s_cbranch_execz .LBB108_102
; %bb.99:                               ;   in Loop: Header=BB108_2 Depth=1
	v_dual_mov_b32 v47, v43 :: v_dual_mov_b32 v48, v36
	s_mov_b32 s9, 0
.LBB108_100:                            ;   Parent Loop BB108_2 Depth=1
                                        ; =>  This Inner Loop Header: Depth=2
	s_delay_alu instid0(VALU_DEP_1) | instskip(NEXT) | instid1(VALU_DEP_1)
	v_sub_nc_u32_e32 v49, v48, v47
	v_lshrrev_b32_e32 v49, 1, v49
	s_delay_alu instid0(VALU_DEP_1) | instskip(NEXT) | instid1(VALU_DEP_1)
	v_add_nc_u32_e32 v49, v49, v47
	v_add_nc_u32_e32 v50, v5, v49
	v_xad_u32 v51, v49, -1, v29
	v_add_nc_u32_e32 v52, 1, v49
	ds_load_u8 v50, v50
	ds_load_u8 v51, v51
	s_wait_dscnt 0x0
	v_cmp_lt_u16_e64 s7, v51, v50
	s_wait_alu 0xf1ff
	s_delay_alu instid0(VALU_DEP_1) | instskip(SKIP_1) | instid1(VALU_DEP_1)
	v_cndmask_b32_e64 v48, v48, v49, s7
	v_cndmask_b32_e64 v47, v52, v47, s7
	v_cmp_ge_i32_e64 s7, v47, v48
	s_wait_alu 0xfffe
	s_or_b32 s9, s7, s9
	s_wait_alu 0xfffe
	s_and_not1_b32 exec_lo, exec_lo, s9
	s_cbranch_execnz .LBB108_100
; %bb.101:                              ;   in Loop: Header=BB108_2 Depth=1
	s_or_b32 exec_lo, exec_lo, s9
.LBB108_102:                            ;   in Loop: Header=BB108_2 Depth=1
	s_wait_alu 0xfffe
	s_or_b32 exec_lo, exec_lo, s8
	v_add_nc_u32_e32 v52, v47, v5
	v_sub_nc_u32_e32 v51, v29, v47
	ds_load_u8 v47, v52
	ds_load_u8 v48, v51
	v_cmp_le_i32_e64 s7, v18, v52
	v_cmp_gt_i32_e64 s9, v19, v51
	s_wait_dscnt 0x1
	v_and_b32_e32 v49, 0xff, v47
	s_wait_dscnt 0x0
	v_and_b32_e32 v50, 0xff, v48
	s_delay_alu instid0(VALU_DEP_1)
	v_cmp_lt_u16_e64 s8, v50, v49
                                        ; implicit-def: $vgpr49
	s_or_b32 s7, s7, s8
	s_wait_alu 0xfffe
	s_and_b32 s7, s9, s7
	s_wait_alu 0xfffe
	s_xor_b32 s8, s7, -1
	s_wait_alu 0xfffe
	s_and_saveexec_b32 s9, s8
	s_wait_alu 0xfffe
	s_xor_b32 s8, exec_lo, s9
; %bb.103:                              ;   in Loop: Header=BB108_2 Depth=1
	ds_load_u8 v49, v52 offset:1
; %bb.104:                              ;   in Loop: Header=BB108_2 Depth=1
	s_wait_alu 0xfffe
	s_or_saveexec_b32 s8, s8
	v_mov_b32_e32 v50, v48
	s_wait_alu 0xfffe
	s_xor_b32 exec_lo, exec_lo, s8
	s_cbranch_execz .LBB108_106
; %bb.105:                              ;   in Loop: Header=BB108_2 Depth=1
	ds_load_u8 v50, v51 offset:1
	s_wait_dscnt 0x1
	v_mov_b32_e32 v49, v47
.LBB108_106:                            ;   in Loop: Header=BB108_2 Depth=1
	s_or_b32 exec_lo, exec_lo, s8
	v_add_nc_u32_e32 v53, 1, v52
	v_add_nc_u32_e32 v55, 1, v51
	s_wait_dscnt 0x0
	v_and_b32_e32 v56, 0xff, v49
	s_delay_alu instid0(VALU_DEP_3) | instskip(SKIP_2) | instid1(VALU_DEP_3)
	v_cndmask_b32_e64 v54, v53, v52, s7
	v_and_b32_e32 v52, 0xff, v50
	v_cndmask_b32_e64 v53, v51, v55, s7
                                        ; implicit-def: $vgpr51
	v_cmp_ge_i32_e64 s8, v54, v18
	s_delay_alu instid0(VALU_DEP_3) | instskip(NEXT) | instid1(VALU_DEP_3)
	v_cmp_lt_u16_e64 s9, v52, v56
	v_cmp_lt_i32_e64 s10, v53, v19
	s_or_b32 s8, s8, s9
	s_wait_alu 0xfffe
	s_and_b32 s8, s10, s8
	s_wait_alu 0xfffe
	s_xor_b32 s9, s8, -1
	s_wait_alu 0xfffe
	s_and_saveexec_b32 s10, s9
	s_wait_alu 0xfffe
	s_xor_b32 s9, exec_lo, s10
; %bb.107:                              ;   in Loop: Header=BB108_2 Depth=1
	ds_load_u8 v51, v54 offset:1
; %bb.108:                              ;   in Loop: Header=BB108_2 Depth=1
	s_wait_alu 0xfffe
	s_or_saveexec_b32 s9, s9
	v_mov_b32_e32 v52, v50
	s_wait_alu 0xfffe
	s_xor_b32 exec_lo, exec_lo, s9
	s_cbranch_execz .LBB108_110
; %bb.109:                              ;   in Loop: Header=BB108_2 Depth=1
	ds_load_u8 v52, v53 offset:1
	s_wait_dscnt 0x1
	v_mov_b32_e32 v51, v49
.LBB108_110:                            ;   in Loop: Header=BB108_2 Depth=1
	s_or_b32 exec_lo, exec_lo, s9
	v_add_nc_u32_e32 v55, 1, v54
	v_add_nc_u32_e32 v57, 1, v53
	s_wait_dscnt 0x0
	v_and_b32_e32 v58, 0xff, v51
	s_delay_alu instid0(VALU_DEP_3) | instskip(SKIP_2) | instid1(VALU_DEP_3)
	v_cndmask_b32_e64 v56, v55, v54, s8
	v_and_b32_e32 v54, 0xff, v52
	v_cndmask_b32_e64 v55, v53, v57, s8
                                        ; implicit-def: $vgpr53
	v_cmp_ge_i32_e64 s9, v56, v18
	s_delay_alu instid0(VALU_DEP_3) | instskip(NEXT) | instid1(VALU_DEP_3)
	v_cmp_lt_u16_e64 s10, v54, v58
	v_cmp_lt_i32_e64 s11, v55, v19
	s_or_b32 s9, s9, s10
	s_wait_alu 0xfffe
	s_and_b32 s9, s11, s9
	s_wait_alu 0xfffe
	s_xor_b32 s10, s9, -1
	s_wait_alu 0xfffe
	s_and_saveexec_b32 s11, s10
	s_wait_alu 0xfffe
	s_xor_b32 s10, exec_lo, s11
; %bb.111:                              ;   in Loop: Header=BB108_2 Depth=1
	ds_load_u8 v53, v56 offset:1
; %bb.112:                              ;   in Loop: Header=BB108_2 Depth=1
	s_wait_alu 0xfffe
	s_or_saveexec_b32 s10, s10
	v_mov_b32_e32 v54, v52
	s_wait_alu 0xfffe
	s_xor_b32 exec_lo, exec_lo, s10
	s_cbranch_execz .LBB108_114
; %bb.113:                              ;   in Loop: Header=BB108_2 Depth=1
	ds_load_u8 v54, v55 offset:1
	s_wait_dscnt 0x1
	v_mov_b32_e32 v53, v51
.LBB108_114:                            ;   in Loop: Header=BB108_2 Depth=1
	s_or_b32 exec_lo, exec_lo, s10
	v_add_nc_u32_e32 v57, 1, v56
	v_add_nc_u32_e32 v59, 1, v55
	s_wait_dscnt 0x0
	v_and_b32_e32 v60, 0xff, v53
	s_delay_alu instid0(VALU_DEP_3) | instskip(SKIP_2) | instid1(VALU_DEP_3)
	v_cndmask_b32_e64 v58, v57, v56, s9
	v_and_b32_e32 v56, 0xff, v54
	v_cndmask_b32_e64 v57, v55, v59, s9
                                        ; implicit-def: $vgpr55
	v_cmp_ge_i32_e64 s10, v58, v18
	s_delay_alu instid0(VALU_DEP_3) | instskip(NEXT) | instid1(VALU_DEP_3)
	v_cmp_lt_u16_e64 s11, v56, v60
	v_cmp_lt_i32_e64 s12, v57, v19
	s_or_b32 s10, s10, s11
	s_wait_alu 0xfffe
	s_and_b32 s10, s12, s10
	s_wait_alu 0xfffe
	s_xor_b32 s11, s10, -1
	s_wait_alu 0xfffe
	s_and_saveexec_b32 s12, s11
	s_wait_alu 0xfffe
	s_xor_b32 s11, exec_lo, s12
; %bb.115:                              ;   in Loop: Header=BB108_2 Depth=1
	ds_load_u8 v55, v58 offset:1
; %bb.116:                              ;   in Loop: Header=BB108_2 Depth=1
	s_wait_alu 0xfffe
	s_or_saveexec_b32 s11, s11
	v_mov_b32_e32 v56, v54
	s_wait_alu 0xfffe
	s_xor_b32 exec_lo, exec_lo, s11
	s_cbranch_execz .LBB108_118
; %bb.117:                              ;   in Loop: Header=BB108_2 Depth=1
	ds_load_u8 v56, v57 offset:1
	s_wait_dscnt 0x1
	v_mov_b32_e32 v55, v53
.LBB108_118:                            ;   in Loop: Header=BB108_2 Depth=1
	s_or_b32 exec_lo, exec_lo, s11
	v_add_nc_u32_e32 v59, 1, v58
	v_add_nc_u32_e32 v61, 1, v57
	s_wait_dscnt 0x0
	v_and_b32_e32 v62, 0xff, v55
	s_delay_alu instid0(VALU_DEP_3) | instskip(SKIP_2) | instid1(VALU_DEP_3)
	v_cndmask_b32_e64 v60, v59, v58, s10
	v_and_b32_e32 v58, 0xff, v56
	v_cndmask_b32_e64 v59, v57, v61, s10
                                        ; implicit-def: $vgpr57
	v_cmp_ge_i32_e64 s11, v60, v18
	s_delay_alu instid0(VALU_DEP_3) | instskip(NEXT) | instid1(VALU_DEP_3)
	v_cmp_lt_u16_e64 s12, v58, v62
	v_cmp_lt_i32_e64 s13, v59, v19
	s_or_b32 s11, s11, s12
	s_wait_alu 0xfffe
	s_and_b32 s11, s13, s11
	s_wait_alu 0xfffe
	s_xor_b32 s12, s11, -1
	s_wait_alu 0xfffe
	s_and_saveexec_b32 s13, s12
	s_wait_alu 0xfffe
	s_xor_b32 s12, exec_lo, s13
; %bb.119:                              ;   in Loop: Header=BB108_2 Depth=1
	ds_load_u8 v57, v60 offset:1
; %bb.120:                              ;   in Loop: Header=BB108_2 Depth=1
	s_wait_alu 0xfffe
	s_or_saveexec_b32 s12, s12
	v_mov_b32_e32 v58, v56
	s_wait_alu 0xfffe
	s_xor_b32 exec_lo, exec_lo, s12
	s_cbranch_execz .LBB108_122
; %bb.121:                              ;   in Loop: Header=BB108_2 Depth=1
	ds_load_u8 v58, v59 offset:1
	s_wait_dscnt 0x1
	v_mov_b32_e32 v57, v55
.LBB108_122:                            ;   in Loop: Header=BB108_2 Depth=1
	s_or_b32 exec_lo, exec_lo, s12
	v_add_nc_u32_e32 v61, 1, v60
	v_add_nc_u32_e32 v63, 1, v59
	s_wait_dscnt 0x0
	v_and_b32_e32 v64, 0xff, v57
	s_delay_alu instid0(VALU_DEP_3) | instskip(SKIP_2) | instid1(VALU_DEP_3)
	v_cndmask_b32_e64 v62, v61, v60, s11
	v_and_b32_e32 v60, 0xff, v58
	v_cndmask_b32_e64 v61, v59, v63, s11
                                        ; implicit-def: $vgpr59
	v_cmp_ge_i32_e64 s12, v62, v18
	s_delay_alu instid0(VALU_DEP_3) | instskip(NEXT) | instid1(VALU_DEP_3)
	v_cmp_lt_u16_e64 s13, v60, v64
	v_cmp_lt_i32_e64 s14, v61, v19
	s_or_b32 s12, s12, s13
	s_wait_alu 0xfffe
	s_and_b32 s12, s14, s12
	s_wait_alu 0xfffe
	s_xor_b32 s13, s12, -1
	s_wait_alu 0xfffe
	s_and_saveexec_b32 s14, s13
	s_delay_alu instid0(SALU_CYCLE_1)
	s_xor_b32 s13, exec_lo, s14
; %bb.123:                              ;   in Loop: Header=BB108_2 Depth=1
	ds_load_u8 v59, v62 offset:1
; %bb.124:                              ;   in Loop: Header=BB108_2 Depth=1
	s_wait_alu 0xfffe
	s_or_saveexec_b32 s13, s13
	v_mov_b32_e32 v60, v58
	s_wait_alu 0xfffe
	s_xor_b32 exec_lo, exec_lo, s13
	s_cbranch_execz .LBB108_126
; %bb.125:                              ;   in Loop: Header=BB108_2 Depth=1
	ds_load_u8 v60, v61 offset:1
	s_wait_dscnt 0x1
	v_mov_b32_e32 v59, v57
.LBB108_126:                            ;   in Loop: Header=BB108_2 Depth=1
	s_or_b32 exec_lo, exec_lo, s13
	v_add_nc_u32_e32 v63, 1, v62
	v_add_nc_u32_e32 v64, 1, v61
	s_wait_dscnt 0x0
	v_and_b32_e32 v65, 0xff, v59
	v_and_b32_e32 v66, 0xff, v60
	v_cndmask_b32_e64 v63, v63, v62, s12
	v_cndmask_b32_e64 v62, v61, v64, s12
                                        ; implicit-def: $vgpr61
	s_delay_alu instid0(VALU_DEP_3) | instskip(NEXT) | instid1(VALU_DEP_3)
	v_cmp_lt_u16_e64 s14, v66, v65
	v_cmp_ge_i32_e64 s13, v63, v18
	s_delay_alu instid0(VALU_DEP_3)
	v_cmp_lt_i32_e64 s15, v62, v19
	s_or_b32 s13, s13, s14
	s_wait_alu 0xfffe
	s_and_b32 s13, s15, s13
	s_wait_alu 0xfffe
	s_xor_b32 s14, s13, -1
	s_delay_alu instid0(SALU_CYCLE_1) | instskip(NEXT) | instid1(SALU_CYCLE_1)
	s_and_saveexec_b32 s15, s14
	s_xor_b32 s14, exec_lo, s15
; %bb.127:                              ;   in Loop: Header=BB108_2 Depth=1
	ds_load_u8 v61, v63 offset:1
; %bb.128:                              ;   in Loop: Header=BB108_2 Depth=1
	s_or_saveexec_b32 s14, s14
	v_mov_b32_e32 v64, v60
	s_xor_b32 exec_lo, exec_lo, s14
	s_cbranch_execz .LBB108_130
; %bb.129:                              ;   in Loop: Header=BB108_2 Depth=1
	ds_load_u8 v64, v62 offset:1
	s_wait_dscnt 0x1
	v_mov_b32_e32 v61, v59
.LBB108_130:                            ;   in Loop: Header=BB108_2 Depth=1
	s_or_b32 exec_lo, exec_lo, s14
	v_cndmask_b32_e64 v53, v53, v54, s10
	v_cndmask_b32_e64 v49, v49, v50, s8
	;; [unrolled: 1-line block ×4, first 2 shown]
	v_add_nc_u32_e32 v65, 1, v63
	v_lshlrev_b16 v51, 8, v53
	v_lshlrev_b16 v49, 8, v49
	v_and_b32_e32 v47, 0xff, v47
	v_and_b32_e32 v48, 0xff, v48
	v_cndmask_b32_e64 v59, v59, v60, s13
	v_add_nc_u32_e32 v60, 1, v62
	s_wait_dscnt 0x0
	v_and_b32_e32 v66, 0xff, v61
	v_or_b32_e32 v47, v47, v49
	v_or_b32_e32 v48, v48, v51
	v_and_b32_e32 v67, 0xff, v64
	v_cndmask_b32_e64 v63, v65, v63, s13
	v_cndmask_b32_e64 v57, v57, v58, s12
	v_and_b32_e32 v47, 0xffff, v47
	v_lshlrev_b32_e32 v48, 16, v48
	v_cndmask_b32_e64 v55, v55, v56, s11
	v_cmp_lt_u16_e64 s11, v67, v66
	v_cmp_ge_i32_e64 s12, v63, v18
	v_lshlrev_b16 v52, 8, v57
	v_or_b32_e32 v48, v47, v48
	v_mov_b32_e32 v47, v44
	v_cndmask_b32_e64 v58, v62, v60, s13
	s_or_b32 s7, s12, s11
	v_and_b32_e32 v53, 0xff, v55
	v_and_b32_e32 v54, 0xff, v59
	s_wait_loadcnt 0x0
	v_cmp_lt_i32_e64 s10, v58, v19
	s_barrier_signal -1
	v_or_b32_e32 v49, v53, v52
	s_barrier_wait -1
	global_inv scope:SCOPE_SE
	s_wait_alu 0xfffe
	s_and_b32 s7, s10, s7
	s_wait_alu 0xfffe
	v_cndmask_b32_e64 v50, v61, v64, s7
	v_and_b32_e32 v49, 0xffff, v49
	s_delay_alu instid0(VALU_DEP_2) | instskip(NEXT) | instid1(VALU_DEP_1)
	v_lshlrev_b16 v50, 8, v50
	v_or_b32_e32 v50, v54, v50
	s_delay_alu instid0(VALU_DEP_1) | instskip(NEXT) | instid1(VALU_DEP_1)
	v_lshlrev_b32_e32 v50, 16, v50
	v_or_b32_e32 v49, v49, v50
	ds_store_b64 v1, v[48:49]
	s_wait_loadcnt_dscnt 0x0
	s_barrier_signal -1
	s_barrier_wait -1
	global_inv scope:SCOPE_SE
	s_and_saveexec_b32 s8, s4
	s_cbranch_execz .LBB108_134
; %bb.131:                              ;   in Loop: Header=BB108_2 Depth=1
	v_dual_mov_b32 v47, v44 :: v_dual_mov_b32 v48, v37
	s_mov_b32 s9, 0
.LBB108_132:                            ;   Parent Loop BB108_2 Depth=1
                                        ; =>  This Inner Loop Header: Depth=2
	s_delay_alu instid0(VALU_DEP_1) | instskip(NEXT) | instid1(VALU_DEP_1)
	v_sub_nc_u32_e32 v49, v48, v47
	v_lshrrev_b32_e32 v49, 1, v49
	s_delay_alu instid0(VALU_DEP_1) | instskip(NEXT) | instid1(VALU_DEP_1)
	v_add_nc_u32_e32 v49, v49, v47
	v_add_nc_u32_e32 v50, v6, v49
	v_xad_u32 v51, v49, -1, v30
	v_add_nc_u32_e32 v52, 1, v49
	ds_load_u8 v50, v50
	ds_load_u8 v51, v51
	s_wait_dscnt 0x0
	v_cmp_lt_u16_e64 s7, v51, v50
	s_wait_alu 0xf1ff
	s_delay_alu instid0(VALU_DEP_1) | instskip(SKIP_1) | instid1(VALU_DEP_1)
	v_cndmask_b32_e64 v48, v48, v49, s7
	v_cndmask_b32_e64 v47, v52, v47, s7
	v_cmp_ge_i32_e64 s7, v47, v48
	s_wait_alu 0xfffe
	s_or_b32 s9, s7, s9
	s_wait_alu 0xfffe
	s_and_not1_b32 exec_lo, exec_lo, s9
	s_cbranch_execnz .LBB108_132
; %bb.133:                              ;   in Loop: Header=BB108_2 Depth=1
	s_or_b32 exec_lo, exec_lo, s9
.LBB108_134:                            ;   in Loop: Header=BB108_2 Depth=1
	s_wait_alu 0xfffe
	s_or_b32 exec_lo, exec_lo, s8
	v_add_nc_u32_e32 v52, v47, v6
	v_sub_nc_u32_e32 v51, v30, v47
	ds_load_u8 v47, v52
	ds_load_u8 v48, v51
	v_cmp_le_i32_e64 s7, v20, v52
	v_cmp_gt_i32_e64 s9, v21, v51
	s_wait_dscnt 0x1
	v_and_b32_e32 v49, 0xff, v47
	s_wait_dscnt 0x0
	v_and_b32_e32 v50, 0xff, v48
	s_delay_alu instid0(VALU_DEP_1)
	v_cmp_lt_u16_e64 s8, v50, v49
                                        ; implicit-def: $vgpr49
	s_or_b32 s7, s7, s8
	s_wait_alu 0xfffe
	s_and_b32 s7, s9, s7
	s_wait_alu 0xfffe
	s_xor_b32 s8, s7, -1
	s_wait_alu 0xfffe
	s_and_saveexec_b32 s9, s8
	s_wait_alu 0xfffe
	s_xor_b32 s8, exec_lo, s9
; %bb.135:                              ;   in Loop: Header=BB108_2 Depth=1
	ds_load_u8 v49, v52 offset:1
; %bb.136:                              ;   in Loop: Header=BB108_2 Depth=1
	s_wait_alu 0xfffe
	s_or_saveexec_b32 s8, s8
	v_mov_b32_e32 v50, v48
	s_wait_alu 0xfffe
	s_xor_b32 exec_lo, exec_lo, s8
	s_cbranch_execz .LBB108_138
; %bb.137:                              ;   in Loop: Header=BB108_2 Depth=1
	ds_load_u8 v50, v51 offset:1
	s_wait_dscnt 0x1
	v_mov_b32_e32 v49, v47
.LBB108_138:                            ;   in Loop: Header=BB108_2 Depth=1
	s_or_b32 exec_lo, exec_lo, s8
	v_add_nc_u32_e32 v53, 1, v52
	v_add_nc_u32_e32 v55, 1, v51
	s_wait_dscnt 0x0
	v_and_b32_e32 v56, 0xff, v49
	s_delay_alu instid0(VALU_DEP_3) | instskip(SKIP_2) | instid1(VALU_DEP_3)
	v_cndmask_b32_e64 v54, v53, v52, s7
	v_and_b32_e32 v52, 0xff, v50
	v_cndmask_b32_e64 v53, v51, v55, s7
                                        ; implicit-def: $vgpr51
	v_cmp_ge_i32_e64 s8, v54, v20
	s_delay_alu instid0(VALU_DEP_3) | instskip(NEXT) | instid1(VALU_DEP_3)
	v_cmp_lt_u16_e64 s9, v52, v56
	v_cmp_lt_i32_e64 s10, v53, v21
	s_or_b32 s8, s8, s9
	s_wait_alu 0xfffe
	s_and_b32 s8, s10, s8
	s_wait_alu 0xfffe
	s_xor_b32 s9, s8, -1
	s_wait_alu 0xfffe
	s_and_saveexec_b32 s10, s9
	s_wait_alu 0xfffe
	s_xor_b32 s9, exec_lo, s10
; %bb.139:                              ;   in Loop: Header=BB108_2 Depth=1
	ds_load_u8 v51, v54 offset:1
; %bb.140:                              ;   in Loop: Header=BB108_2 Depth=1
	s_wait_alu 0xfffe
	s_or_saveexec_b32 s9, s9
	v_mov_b32_e32 v52, v50
	s_wait_alu 0xfffe
	s_xor_b32 exec_lo, exec_lo, s9
	s_cbranch_execz .LBB108_142
; %bb.141:                              ;   in Loop: Header=BB108_2 Depth=1
	ds_load_u8 v52, v53 offset:1
	s_wait_dscnt 0x1
	v_mov_b32_e32 v51, v49
.LBB108_142:                            ;   in Loop: Header=BB108_2 Depth=1
	s_or_b32 exec_lo, exec_lo, s9
	v_add_nc_u32_e32 v55, 1, v54
	v_add_nc_u32_e32 v57, 1, v53
	s_wait_dscnt 0x0
	v_and_b32_e32 v58, 0xff, v51
	s_delay_alu instid0(VALU_DEP_3) | instskip(SKIP_2) | instid1(VALU_DEP_3)
	v_cndmask_b32_e64 v56, v55, v54, s8
	v_and_b32_e32 v54, 0xff, v52
	v_cndmask_b32_e64 v55, v53, v57, s8
                                        ; implicit-def: $vgpr53
	v_cmp_ge_i32_e64 s9, v56, v20
	s_delay_alu instid0(VALU_DEP_3) | instskip(NEXT) | instid1(VALU_DEP_3)
	v_cmp_lt_u16_e64 s10, v54, v58
	v_cmp_lt_i32_e64 s11, v55, v21
	s_or_b32 s9, s9, s10
	s_wait_alu 0xfffe
	s_and_b32 s9, s11, s9
	s_wait_alu 0xfffe
	s_xor_b32 s10, s9, -1
	s_wait_alu 0xfffe
	s_and_saveexec_b32 s11, s10
	s_wait_alu 0xfffe
	s_xor_b32 s10, exec_lo, s11
; %bb.143:                              ;   in Loop: Header=BB108_2 Depth=1
	ds_load_u8 v53, v56 offset:1
; %bb.144:                              ;   in Loop: Header=BB108_2 Depth=1
	s_wait_alu 0xfffe
	s_or_saveexec_b32 s10, s10
	v_mov_b32_e32 v54, v52
	s_wait_alu 0xfffe
	s_xor_b32 exec_lo, exec_lo, s10
	s_cbranch_execz .LBB108_146
; %bb.145:                              ;   in Loop: Header=BB108_2 Depth=1
	ds_load_u8 v54, v55 offset:1
	s_wait_dscnt 0x1
	v_mov_b32_e32 v53, v51
.LBB108_146:                            ;   in Loop: Header=BB108_2 Depth=1
	s_or_b32 exec_lo, exec_lo, s10
	v_add_nc_u32_e32 v57, 1, v56
	v_add_nc_u32_e32 v59, 1, v55
	s_wait_dscnt 0x0
	v_and_b32_e32 v60, 0xff, v53
	s_delay_alu instid0(VALU_DEP_3) | instskip(SKIP_2) | instid1(VALU_DEP_3)
	v_cndmask_b32_e64 v58, v57, v56, s9
	v_and_b32_e32 v56, 0xff, v54
	v_cndmask_b32_e64 v57, v55, v59, s9
                                        ; implicit-def: $vgpr55
	v_cmp_ge_i32_e64 s10, v58, v20
	s_delay_alu instid0(VALU_DEP_3) | instskip(NEXT) | instid1(VALU_DEP_3)
	v_cmp_lt_u16_e64 s11, v56, v60
	v_cmp_lt_i32_e64 s12, v57, v21
	s_or_b32 s10, s10, s11
	s_wait_alu 0xfffe
	s_and_b32 s10, s12, s10
	s_wait_alu 0xfffe
	s_xor_b32 s11, s10, -1
	s_wait_alu 0xfffe
	s_and_saveexec_b32 s12, s11
	s_wait_alu 0xfffe
	s_xor_b32 s11, exec_lo, s12
; %bb.147:                              ;   in Loop: Header=BB108_2 Depth=1
	ds_load_u8 v55, v58 offset:1
; %bb.148:                              ;   in Loop: Header=BB108_2 Depth=1
	s_wait_alu 0xfffe
	s_or_saveexec_b32 s11, s11
	v_mov_b32_e32 v56, v54
	s_wait_alu 0xfffe
	s_xor_b32 exec_lo, exec_lo, s11
	s_cbranch_execz .LBB108_150
; %bb.149:                              ;   in Loop: Header=BB108_2 Depth=1
	ds_load_u8 v56, v57 offset:1
	s_wait_dscnt 0x1
	v_mov_b32_e32 v55, v53
.LBB108_150:                            ;   in Loop: Header=BB108_2 Depth=1
	s_or_b32 exec_lo, exec_lo, s11
	v_add_nc_u32_e32 v59, 1, v58
	v_add_nc_u32_e32 v61, 1, v57
	s_wait_dscnt 0x0
	v_and_b32_e32 v62, 0xff, v55
	s_delay_alu instid0(VALU_DEP_3) | instskip(SKIP_2) | instid1(VALU_DEP_3)
	v_cndmask_b32_e64 v60, v59, v58, s10
	v_and_b32_e32 v58, 0xff, v56
	v_cndmask_b32_e64 v59, v57, v61, s10
                                        ; implicit-def: $vgpr57
	v_cmp_ge_i32_e64 s11, v60, v20
	s_delay_alu instid0(VALU_DEP_3) | instskip(NEXT) | instid1(VALU_DEP_3)
	v_cmp_lt_u16_e64 s12, v58, v62
	v_cmp_lt_i32_e64 s13, v59, v21
	s_or_b32 s11, s11, s12
	s_wait_alu 0xfffe
	s_and_b32 s11, s13, s11
	s_wait_alu 0xfffe
	s_xor_b32 s12, s11, -1
	s_wait_alu 0xfffe
	s_and_saveexec_b32 s13, s12
	s_wait_alu 0xfffe
	s_xor_b32 s12, exec_lo, s13
; %bb.151:                              ;   in Loop: Header=BB108_2 Depth=1
	ds_load_u8 v57, v60 offset:1
; %bb.152:                              ;   in Loop: Header=BB108_2 Depth=1
	s_wait_alu 0xfffe
	s_or_saveexec_b32 s12, s12
	v_mov_b32_e32 v58, v56
	s_wait_alu 0xfffe
	s_xor_b32 exec_lo, exec_lo, s12
	s_cbranch_execz .LBB108_154
; %bb.153:                              ;   in Loop: Header=BB108_2 Depth=1
	ds_load_u8 v58, v59 offset:1
	s_wait_dscnt 0x1
	v_mov_b32_e32 v57, v55
.LBB108_154:                            ;   in Loop: Header=BB108_2 Depth=1
	s_or_b32 exec_lo, exec_lo, s12
	v_add_nc_u32_e32 v61, 1, v60
	v_add_nc_u32_e32 v63, 1, v59
	s_wait_dscnt 0x0
	v_and_b32_e32 v64, 0xff, v57
	s_delay_alu instid0(VALU_DEP_3) | instskip(SKIP_2) | instid1(VALU_DEP_3)
	v_cndmask_b32_e64 v62, v61, v60, s11
	v_and_b32_e32 v60, 0xff, v58
	v_cndmask_b32_e64 v61, v59, v63, s11
                                        ; implicit-def: $vgpr59
	v_cmp_ge_i32_e64 s12, v62, v20
	s_delay_alu instid0(VALU_DEP_3) | instskip(NEXT) | instid1(VALU_DEP_3)
	v_cmp_lt_u16_e64 s13, v60, v64
	v_cmp_lt_i32_e64 s14, v61, v21
	s_or_b32 s12, s12, s13
	s_wait_alu 0xfffe
	s_and_b32 s12, s14, s12
	s_wait_alu 0xfffe
	s_xor_b32 s13, s12, -1
	s_wait_alu 0xfffe
	s_and_saveexec_b32 s14, s13
	s_delay_alu instid0(SALU_CYCLE_1)
	s_xor_b32 s13, exec_lo, s14
; %bb.155:                              ;   in Loop: Header=BB108_2 Depth=1
	ds_load_u8 v59, v62 offset:1
; %bb.156:                              ;   in Loop: Header=BB108_2 Depth=1
	s_wait_alu 0xfffe
	s_or_saveexec_b32 s13, s13
	v_mov_b32_e32 v60, v58
	s_wait_alu 0xfffe
	s_xor_b32 exec_lo, exec_lo, s13
	s_cbranch_execz .LBB108_158
; %bb.157:                              ;   in Loop: Header=BB108_2 Depth=1
	ds_load_u8 v60, v61 offset:1
	s_wait_dscnt 0x1
	v_mov_b32_e32 v59, v57
.LBB108_158:                            ;   in Loop: Header=BB108_2 Depth=1
	s_or_b32 exec_lo, exec_lo, s13
	v_add_nc_u32_e32 v63, 1, v62
	v_add_nc_u32_e32 v64, 1, v61
	s_wait_dscnt 0x0
	v_and_b32_e32 v65, 0xff, v59
	v_and_b32_e32 v66, 0xff, v60
	v_cndmask_b32_e64 v63, v63, v62, s12
	v_cndmask_b32_e64 v62, v61, v64, s12
                                        ; implicit-def: $vgpr61
	s_delay_alu instid0(VALU_DEP_3) | instskip(NEXT) | instid1(VALU_DEP_3)
	v_cmp_lt_u16_e64 s14, v66, v65
	v_cmp_ge_i32_e64 s13, v63, v20
	s_delay_alu instid0(VALU_DEP_3)
	v_cmp_lt_i32_e64 s15, v62, v21
	s_or_b32 s13, s13, s14
	s_wait_alu 0xfffe
	s_and_b32 s13, s15, s13
	s_wait_alu 0xfffe
	s_xor_b32 s14, s13, -1
	s_delay_alu instid0(SALU_CYCLE_1) | instskip(NEXT) | instid1(SALU_CYCLE_1)
	s_and_saveexec_b32 s15, s14
	s_xor_b32 s14, exec_lo, s15
; %bb.159:                              ;   in Loop: Header=BB108_2 Depth=1
	ds_load_u8 v61, v63 offset:1
; %bb.160:                              ;   in Loop: Header=BB108_2 Depth=1
	s_or_saveexec_b32 s14, s14
	v_mov_b32_e32 v64, v60
	s_xor_b32 exec_lo, exec_lo, s14
	s_cbranch_execz .LBB108_162
; %bb.161:                              ;   in Loop: Header=BB108_2 Depth=1
	ds_load_u8 v64, v62 offset:1
	s_wait_dscnt 0x1
	v_mov_b32_e32 v61, v59
.LBB108_162:                            ;   in Loop: Header=BB108_2 Depth=1
	s_or_b32 exec_lo, exec_lo, s14
	v_cndmask_b32_e64 v53, v53, v54, s10
	v_cndmask_b32_e64 v49, v49, v50, s8
	;; [unrolled: 1-line block ×4, first 2 shown]
	v_add_nc_u32_e32 v65, 1, v63
	v_lshlrev_b16 v51, 8, v53
	v_lshlrev_b16 v49, 8, v49
	v_and_b32_e32 v47, 0xff, v47
	v_and_b32_e32 v48, 0xff, v48
	v_cndmask_b32_e64 v59, v59, v60, s13
	v_add_nc_u32_e32 v60, 1, v62
	s_wait_dscnt 0x0
	v_and_b32_e32 v66, 0xff, v61
	v_or_b32_e32 v47, v47, v49
	v_or_b32_e32 v48, v48, v51
	v_and_b32_e32 v67, 0xff, v64
	v_cndmask_b32_e64 v63, v65, v63, s13
	v_cndmask_b32_e64 v57, v57, v58, s12
	v_and_b32_e32 v47, 0xffff, v47
	v_lshlrev_b32_e32 v48, 16, v48
	v_cndmask_b32_e64 v55, v55, v56, s11
	v_cmp_lt_u16_e64 s11, v67, v66
	v_cmp_ge_i32_e64 s12, v63, v20
	v_lshlrev_b16 v52, 8, v57
	v_or_b32_e32 v48, v47, v48
	v_mov_b32_e32 v47, v45
	v_cndmask_b32_e64 v58, v62, v60, s13
	s_or_b32 s7, s12, s11
	v_and_b32_e32 v53, 0xff, v55
	v_and_b32_e32 v54, 0xff, v59
	s_wait_loadcnt 0x0
	v_cmp_lt_i32_e64 s10, v58, v21
	s_barrier_signal -1
	v_or_b32_e32 v49, v53, v52
	s_barrier_wait -1
	global_inv scope:SCOPE_SE
	s_wait_alu 0xfffe
	s_and_b32 s7, s10, s7
	s_wait_alu 0xfffe
	v_cndmask_b32_e64 v50, v61, v64, s7
	v_and_b32_e32 v49, 0xffff, v49
	s_delay_alu instid0(VALU_DEP_2) | instskip(NEXT) | instid1(VALU_DEP_1)
	v_lshlrev_b16 v50, 8, v50
	v_or_b32_e32 v50, v54, v50
	s_delay_alu instid0(VALU_DEP_1) | instskip(NEXT) | instid1(VALU_DEP_1)
	v_lshlrev_b32_e32 v50, 16, v50
	v_or_b32_e32 v49, v49, v50
	ds_store_b64 v1, v[48:49]
	s_wait_loadcnt_dscnt 0x0
	s_barrier_signal -1
	s_barrier_wait -1
	global_inv scope:SCOPE_SE
	s_and_saveexec_b32 s8, s5
	s_cbranch_execz .LBB108_166
; %bb.163:                              ;   in Loop: Header=BB108_2 Depth=1
	v_dual_mov_b32 v47, v45 :: v_dual_mov_b32 v48, v38
	s_mov_b32 s9, 0
.LBB108_164:                            ;   Parent Loop BB108_2 Depth=1
                                        ; =>  This Inner Loop Header: Depth=2
	s_delay_alu instid0(VALU_DEP_1) | instskip(NEXT) | instid1(VALU_DEP_1)
	v_sub_nc_u32_e32 v49, v48, v47
	v_lshrrev_b32_e32 v49, 1, v49
	s_delay_alu instid0(VALU_DEP_1) | instskip(NEXT) | instid1(VALU_DEP_1)
	v_add_nc_u32_e32 v49, v49, v47
	v_add_nc_u32_e32 v50, v7, v49
	v_xad_u32 v51, v49, -1, v31
	v_add_nc_u32_e32 v52, 1, v49
	ds_load_u8 v50, v50
	ds_load_u8 v51, v51
	s_wait_dscnt 0x0
	v_cmp_lt_u16_e64 s7, v51, v50
	s_wait_alu 0xf1ff
	s_delay_alu instid0(VALU_DEP_1) | instskip(SKIP_1) | instid1(VALU_DEP_1)
	v_cndmask_b32_e64 v48, v48, v49, s7
	v_cndmask_b32_e64 v47, v52, v47, s7
	v_cmp_ge_i32_e64 s7, v47, v48
	s_wait_alu 0xfffe
	s_or_b32 s9, s7, s9
	s_wait_alu 0xfffe
	s_and_not1_b32 exec_lo, exec_lo, s9
	s_cbranch_execnz .LBB108_164
; %bb.165:                              ;   in Loop: Header=BB108_2 Depth=1
	s_or_b32 exec_lo, exec_lo, s9
.LBB108_166:                            ;   in Loop: Header=BB108_2 Depth=1
	s_wait_alu 0xfffe
	s_or_b32 exec_lo, exec_lo, s8
	v_add_nc_u32_e32 v52, v47, v7
	v_sub_nc_u32_e32 v51, v31, v47
	ds_load_u8 v47, v52
	ds_load_u8 v48, v51
	v_cmp_le_i32_e64 s7, v22, v52
	v_cmp_gt_i32_e64 s9, v23, v51
	s_wait_dscnt 0x1
	v_and_b32_e32 v49, 0xff, v47
	s_wait_dscnt 0x0
	v_and_b32_e32 v50, 0xff, v48
	s_delay_alu instid0(VALU_DEP_1)
	v_cmp_lt_u16_e64 s8, v50, v49
                                        ; implicit-def: $vgpr49
	s_or_b32 s7, s7, s8
	s_wait_alu 0xfffe
	s_and_b32 s7, s9, s7
	s_wait_alu 0xfffe
	s_xor_b32 s8, s7, -1
	s_wait_alu 0xfffe
	s_and_saveexec_b32 s9, s8
	s_wait_alu 0xfffe
	s_xor_b32 s8, exec_lo, s9
; %bb.167:                              ;   in Loop: Header=BB108_2 Depth=1
	ds_load_u8 v49, v52 offset:1
; %bb.168:                              ;   in Loop: Header=BB108_2 Depth=1
	s_wait_alu 0xfffe
	s_or_saveexec_b32 s8, s8
	v_mov_b32_e32 v50, v48
	s_wait_alu 0xfffe
	s_xor_b32 exec_lo, exec_lo, s8
	s_cbranch_execz .LBB108_170
; %bb.169:                              ;   in Loop: Header=BB108_2 Depth=1
	ds_load_u8 v50, v51 offset:1
	s_wait_dscnt 0x1
	v_mov_b32_e32 v49, v47
.LBB108_170:                            ;   in Loop: Header=BB108_2 Depth=1
	s_or_b32 exec_lo, exec_lo, s8
	v_add_nc_u32_e32 v53, 1, v52
	v_add_nc_u32_e32 v55, 1, v51
	s_wait_dscnt 0x0
	v_and_b32_e32 v56, 0xff, v49
	s_delay_alu instid0(VALU_DEP_3) | instskip(SKIP_2) | instid1(VALU_DEP_3)
	v_cndmask_b32_e64 v54, v53, v52, s7
	v_and_b32_e32 v52, 0xff, v50
	v_cndmask_b32_e64 v53, v51, v55, s7
                                        ; implicit-def: $vgpr51
	v_cmp_ge_i32_e64 s8, v54, v22
	s_delay_alu instid0(VALU_DEP_3) | instskip(NEXT) | instid1(VALU_DEP_3)
	v_cmp_lt_u16_e64 s9, v52, v56
	v_cmp_lt_i32_e64 s10, v53, v23
	s_or_b32 s8, s8, s9
	s_wait_alu 0xfffe
	s_and_b32 s8, s10, s8
	s_wait_alu 0xfffe
	s_xor_b32 s9, s8, -1
	s_wait_alu 0xfffe
	s_and_saveexec_b32 s10, s9
	s_wait_alu 0xfffe
	s_xor_b32 s9, exec_lo, s10
; %bb.171:                              ;   in Loop: Header=BB108_2 Depth=1
	ds_load_u8 v51, v54 offset:1
; %bb.172:                              ;   in Loop: Header=BB108_2 Depth=1
	s_wait_alu 0xfffe
	s_or_saveexec_b32 s9, s9
	v_mov_b32_e32 v52, v50
	s_wait_alu 0xfffe
	s_xor_b32 exec_lo, exec_lo, s9
	s_cbranch_execz .LBB108_174
; %bb.173:                              ;   in Loop: Header=BB108_2 Depth=1
	ds_load_u8 v52, v53 offset:1
	s_wait_dscnt 0x1
	v_mov_b32_e32 v51, v49
.LBB108_174:                            ;   in Loop: Header=BB108_2 Depth=1
	s_or_b32 exec_lo, exec_lo, s9
	v_add_nc_u32_e32 v55, 1, v54
	v_add_nc_u32_e32 v57, 1, v53
	s_wait_dscnt 0x0
	v_and_b32_e32 v58, 0xff, v51
	s_delay_alu instid0(VALU_DEP_3) | instskip(SKIP_2) | instid1(VALU_DEP_3)
	v_cndmask_b32_e64 v56, v55, v54, s8
	v_and_b32_e32 v54, 0xff, v52
	v_cndmask_b32_e64 v55, v53, v57, s8
                                        ; implicit-def: $vgpr53
	v_cmp_ge_i32_e64 s9, v56, v22
	s_delay_alu instid0(VALU_DEP_3) | instskip(NEXT) | instid1(VALU_DEP_3)
	v_cmp_lt_u16_e64 s10, v54, v58
	v_cmp_lt_i32_e64 s11, v55, v23
	s_or_b32 s9, s9, s10
	s_wait_alu 0xfffe
	s_and_b32 s9, s11, s9
	s_wait_alu 0xfffe
	s_xor_b32 s10, s9, -1
	s_wait_alu 0xfffe
	s_and_saveexec_b32 s11, s10
	s_wait_alu 0xfffe
	s_xor_b32 s10, exec_lo, s11
; %bb.175:                              ;   in Loop: Header=BB108_2 Depth=1
	ds_load_u8 v53, v56 offset:1
; %bb.176:                              ;   in Loop: Header=BB108_2 Depth=1
	s_wait_alu 0xfffe
	s_or_saveexec_b32 s10, s10
	v_mov_b32_e32 v54, v52
	s_wait_alu 0xfffe
	s_xor_b32 exec_lo, exec_lo, s10
	s_cbranch_execz .LBB108_178
; %bb.177:                              ;   in Loop: Header=BB108_2 Depth=1
	ds_load_u8 v54, v55 offset:1
	s_wait_dscnt 0x1
	v_mov_b32_e32 v53, v51
.LBB108_178:                            ;   in Loop: Header=BB108_2 Depth=1
	s_or_b32 exec_lo, exec_lo, s10
	v_add_nc_u32_e32 v57, 1, v56
	v_add_nc_u32_e32 v59, 1, v55
	s_wait_dscnt 0x0
	v_and_b32_e32 v60, 0xff, v53
	s_delay_alu instid0(VALU_DEP_3) | instskip(SKIP_2) | instid1(VALU_DEP_3)
	v_cndmask_b32_e64 v58, v57, v56, s9
	v_and_b32_e32 v56, 0xff, v54
	v_cndmask_b32_e64 v57, v55, v59, s9
                                        ; implicit-def: $vgpr55
	v_cmp_ge_i32_e64 s10, v58, v22
	s_delay_alu instid0(VALU_DEP_3) | instskip(NEXT) | instid1(VALU_DEP_3)
	v_cmp_lt_u16_e64 s11, v56, v60
	v_cmp_lt_i32_e64 s12, v57, v23
	s_or_b32 s10, s10, s11
	s_wait_alu 0xfffe
	s_and_b32 s10, s12, s10
	s_wait_alu 0xfffe
	s_xor_b32 s11, s10, -1
	s_wait_alu 0xfffe
	s_and_saveexec_b32 s12, s11
	s_wait_alu 0xfffe
	s_xor_b32 s11, exec_lo, s12
; %bb.179:                              ;   in Loop: Header=BB108_2 Depth=1
	ds_load_u8 v55, v58 offset:1
; %bb.180:                              ;   in Loop: Header=BB108_2 Depth=1
	s_wait_alu 0xfffe
	s_or_saveexec_b32 s11, s11
	v_mov_b32_e32 v56, v54
	s_wait_alu 0xfffe
	s_xor_b32 exec_lo, exec_lo, s11
	s_cbranch_execz .LBB108_182
; %bb.181:                              ;   in Loop: Header=BB108_2 Depth=1
	ds_load_u8 v56, v57 offset:1
	s_wait_dscnt 0x1
	v_mov_b32_e32 v55, v53
.LBB108_182:                            ;   in Loop: Header=BB108_2 Depth=1
	s_or_b32 exec_lo, exec_lo, s11
	v_add_nc_u32_e32 v59, 1, v58
	v_add_nc_u32_e32 v61, 1, v57
	s_wait_dscnt 0x0
	v_and_b32_e32 v62, 0xff, v55
	s_delay_alu instid0(VALU_DEP_3) | instskip(SKIP_2) | instid1(VALU_DEP_3)
	v_cndmask_b32_e64 v60, v59, v58, s10
	v_and_b32_e32 v58, 0xff, v56
	v_cndmask_b32_e64 v59, v57, v61, s10
                                        ; implicit-def: $vgpr57
	v_cmp_ge_i32_e64 s11, v60, v22
	s_delay_alu instid0(VALU_DEP_3) | instskip(NEXT) | instid1(VALU_DEP_3)
	v_cmp_lt_u16_e64 s12, v58, v62
	v_cmp_lt_i32_e64 s13, v59, v23
	s_or_b32 s11, s11, s12
	s_wait_alu 0xfffe
	s_and_b32 s11, s13, s11
	s_wait_alu 0xfffe
	s_xor_b32 s12, s11, -1
	s_wait_alu 0xfffe
	s_and_saveexec_b32 s13, s12
	s_wait_alu 0xfffe
	s_xor_b32 s12, exec_lo, s13
; %bb.183:                              ;   in Loop: Header=BB108_2 Depth=1
	ds_load_u8 v57, v60 offset:1
; %bb.184:                              ;   in Loop: Header=BB108_2 Depth=1
	s_wait_alu 0xfffe
	s_or_saveexec_b32 s12, s12
	v_mov_b32_e32 v58, v56
	s_wait_alu 0xfffe
	s_xor_b32 exec_lo, exec_lo, s12
	s_cbranch_execz .LBB108_186
; %bb.185:                              ;   in Loop: Header=BB108_2 Depth=1
	ds_load_u8 v58, v59 offset:1
	s_wait_dscnt 0x1
	v_mov_b32_e32 v57, v55
.LBB108_186:                            ;   in Loop: Header=BB108_2 Depth=1
	s_or_b32 exec_lo, exec_lo, s12
	v_add_nc_u32_e32 v61, 1, v60
	v_add_nc_u32_e32 v63, 1, v59
	s_wait_dscnt 0x0
	v_and_b32_e32 v64, 0xff, v57
	s_delay_alu instid0(VALU_DEP_3) | instskip(SKIP_2) | instid1(VALU_DEP_3)
	v_cndmask_b32_e64 v62, v61, v60, s11
	v_and_b32_e32 v60, 0xff, v58
	v_cndmask_b32_e64 v61, v59, v63, s11
                                        ; implicit-def: $vgpr59
	v_cmp_ge_i32_e64 s12, v62, v22
	s_delay_alu instid0(VALU_DEP_3) | instskip(NEXT) | instid1(VALU_DEP_3)
	v_cmp_lt_u16_e64 s13, v60, v64
	v_cmp_lt_i32_e64 s14, v61, v23
	s_or_b32 s12, s12, s13
	s_wait_alu 0xfffe
	s_and_b32 s12, s14, s12
	s_wait_alu 0xfffe
	s_xor_b32 s13, s12, -1
	s_wait_alu 0xfffe
	s_and_saveexec_b32 s14, s13
	s_delay_alu instid0(SALU_CYCLE_1)
	s_xor_b32 s13, exec_lo, s14
; %bb.187:                              ;   in Loop: Header=BB108_2 Depth=1
	ds_load_u8 v59, v62 offset:1
; %bb.188:                              ;   in Loop: Header=BB108_2 Depth=1
	s_wait_alu 0xfffe
	s_or_saveexec_b32 s13, s13
	v_mov_b32_e32 v60, v58
	s_wait_alu 0xfffe
	s_xor_b32 exec_lo, exec_lo, s13
	s_cbranch_execz .LBB108_190
; %bb.189:                              ;   in Loop: Header=BB108_2 Depth=1
	ds_load_u8 v60, v61 offset:1
	s_wait_dscnt 0x1
	v_mov_b32_e32 v59, v57
.LBB108_190:                            ;   in Loop: Header=BB108_2 Depth=1
	s_or_b32 exec_lo, exec_lo, s13
	v_add_nc_u32_e32 v63, 1, v62
	v_add_nc_u32_e32 v64, 1, v61
	s_wait_dscnt 0x0
	v_and_b32_e32 v65, 0xff, v59
	v_and_b32_e32 v66, 0xff, v60
	v_cndmask_b32_e64 v63, v63, v62, s12
	v_cndmask_b32_e64 v62, v61, v64, s12
                                        ; implicit-def: $vgpr61
	s_delay_alu instid0(VALU_DEP_3) | instskip(NEXT) | instid1(VALU_DEP_3)
	v_cmp_lt_u16_e64 s14, v66, v65
	v_cmp_ge_i32_e64 s13, v63, v22
	s_delay_alu instid0(VALU_DEP_3)
	v_cmp_lt_i32_e64 s15, v62, v23
	s_or_b32 s13, s13, s14
	s_wait_alu 0xfffe
	s_and_b32 s13, s15, s13
	s_wait_alu 0xfffe
	s_xor_b32 s14, s13, -1
	s_delay_alu instid0(SALU_CYCLE_1) | instskip(NEXT) | instid1(SALU_CYCLE_1)
	s_and_saveexec_b32 s15, s14
	s_xor_b32 s14, exec_lo, s15
; %bb.191:                              ;   in Loop: Header=BB108_2 Depth=1
	ds_load_u8 v61, v63 offset:1
; %bb.192:                              ;   in Loop: Header=BB108_2 Depth=1
	s_or_saveexec_b32 s14, s14
	v_mov_b32_e32 v64, v60
	s_xor_b32 exec_lo, exec_lo, s14
	s_cbranch_execz .LBB108_194
; %bb.193:                              ;   in Loop: Header=BB108_2 Depth=1
	ds_load_u8 v64, v62 offset:1
	s_wait_dscnt 0x1
	v_mov_b32_e32 v61, v59
.LBB108_194:                            ;   in Loop: Header=BB108_2 Depth=1
	s_or_b32 exec_lo, exec_lo, s14
	v_cndmask_b32_e64 v53, v53, v54, s10
	v_cndmask_b32_e64 v49, v49, v50, s8
	;; [unrolled: 1-line block ×4, first 2 shown]
	v_add_nc_u32_e32 v65, 1, v63
	v_lshlrev_b16 v51, 8, v53
	v_lshlrev_b16 v49, 8, v49
	v_and_b32_e32 v47, 0xff, v47
	v_and_b32_e32 v48, 0xff, v48
	v_cndmask_b32_e64 v59, v59, v60, s13
	v_add_nc_u32_e32 v60, 1, v62
	s_wait_dscnt 0x0
	v_and_b32_e32 v66, 0xff, v61
	v_or_b32_e32 v47, v47, v49
	v_or_b32_e32 v48, v48, v51
	v_and_b32_e32 v67, 0xff, v64
	v_cndmask_b32_e64 v63, v65, v63, s13
	v_cndmask_b32_e64 v57, v57, v58, s12
	v_and_b32_e32 v47, 0xffff, v47
	v_lshlrev_b32_e32 v48, 16, v48
	v_cndmask_b32_e64 v55, v55, v56, s11
	v_cmp_lt_u16_e64 s11, v67, v66
	v_cmp_ge_i32_e64 s12, v63, v22
	v_lshlrev_b16 v52, 8, v57
	v_or_b32_e32 v48, v47, v48
	v_mov_b32_e32 v47, v46
	v_cndmask_b32_e64 v58, v62, v60, s13
	s_or_b32 s7, s12, s11
	v_and_b32_e32 v53, 0xff, v55
	v_and_b32_e32 v54, 0xff, v59
	s_wait_loadcnt 0x0
	v_cmp_lt_i32_e64 s10, v58, v23
	s_barrier_signal -1
	v_or_b32_e32 v49, v53, v52
	s_barrier_wait -1
	global_inv scope:SCOPE_SE
	s_wait_alu 0xfffe
	s_and_b32 s7, s10, s7
	s_wait_alu 0xfffe
	v_cndmask_b32_e64 v50, v61, v64, s7
	v_and_b32_e32 v49, 0xffff, v49
	s_delay_alu instid0(VALU_DEP_2) | instskip(NEXT) | instid1(VALU_DEP_1)
	v_lshlrev_b16 v50, 8, v50
	v_or_b32_e32 v50, v54, v50
	s_delay_alu instid0(VALU_DEP_1) | instskip(NEXT) | instid1(VALU_DEP_1)
	v_lshlrev_b32_e32 v50, 16, v50
	v_or_b32_e32 v49, v49, v50
	ds_store_b64 v1, v[48:49]
	s_wait_loadcnt_dscnt 0x0
	s_barrier_signal -1
	s_barrier_wait -1
	global_inv scope:SCOPE_SE
	s_and_saveexec_b32 s8, s6
	s_cbranch_execz .LBB108_198
; %bb.195:                              ;   in Loop: Header=BB108_2 Depth=1
	v_dual_mov_b32 v47, v46 :: v_dual_mov_b32 v48, v39
	s_mov_b32 s9, 0
.LBB108_196:                            ;   Parent Loop BB108_2 Depth=1
                                        ; =>  This Inner Loop Header: Depth=2
	s_delay_alu instid0(VALU_DEP_1) | instskip(NEXT) | instid1(VALU_DEP_1)
	v_sub_nc_u32_e32 v49, v48, v47
	v_lshrrev_b32_e32 v49, 1, v49
	s_delay_alu instid0(VALU_DEP_1) | instskip(NEXT) | instid1(VALU_DEP_1)
	v_add_nc_u32_e32 v49, v49, v47
	v_add_nc_u32_e32 v50, v8, v49
	v_xad_u32 v51, v49, -1, v32
	v_add_nc_u32_e32 v52, 1, v49
	ds_load_u8 v50, v50
	ds_load_u8 v51, v51
	s_wait_dscnt 0x0
	v_cmp_lt_u16_e64 s7, v51, v50
	s_wait_alu 0xf1ff
	s_delay_alu instid0(VALU_DEP_1) | instskip(SKIP_1) | instid1(VALU_DEP_1)
	v_cndmask_b32_e64 v48, v48, v49, s7
	v_cndmask_b32_e64 v47, v52, v47, s7
	v_cmp_ge_i32_e64 s7, v47, v48
	s_wait_alu 0xfffe
	s_or_b32 s9, s7, s9
	s_wait_alu 0xfffe
	s_and_not1_b32 exec_lo, exec_lo, s9
	s_cbranch_execnz .LBB108_196
; %bb.197:                              ;   in Loop: Header=BB108_2 Depth=1
	s_or_b32 exec_lo, exec_lo, s9
.LBB108_198:                            ;   in Loop: Header=BB108_2 Depth=1
	s_wait_alu 0xfffe
	s_or_b32 exec_lo, exec_lo, s8
	v_add_nc_u32_e32 v52, v47, v8
	v_sub_nc_u32_e32 v51, v32, v47
	ds_load_u8 v47, v52
	ds_load_u8 v48, v51
	v_cmp_le_i32_e64 s7, v24, v52
	v_cmp_gt_i32_e64 s9, v25, v51
	s_wait_dscnt 0x1
	v_and_b32_e32 v49, 0xff, v47
	s_wait_dscnt 0x0
	v_and_b32_e32 v50, 0xff, v48
	s_delay_alu instid0(VALU_DEP_1)
	v_cmp_lt_u16_e64 s8, v50, v49
                                        ; implicit-def: $vgpr49
	s_or_b32 s7, s7, s8
	s_wait_alu 0xfffe
	s_and_b32 s7, s9, s7
	s_wait_alu 0xfffe
	s_xor_b32 s8, s7, -1
	s_wait_alu 0xfffe
	s_and_saveexec_b32 s9, s8
	s_wait_alu 0xfffe
	s_xor_b32 s8, exec_lo, s9
; %bb.199:                              ;   in Loop: Header=BB108_2 Depth=1
	ds_load_u8 v49, v52 offset:1
; %bb.200:                              ;   in Loop: Header=BB108_2 Depth=1
	s_wait_alu 0xfffe
	s_or_saveexec_b32 s8, s8
	v_mov_b32_e32 v50, v48
	s_wait_alu 0xfffe
	s_xor_b32 exec_lo, exec_lo, s8
	s_cbranch_execz .LBB108_202
; %bb.201:                              ;   in Loop: Header=BB108_2 Depth=1
	ds_load_u8 v50, v51 offset:1
	s_wait_dscnt 0x1
	v_mov_b32_e32 v49, v47
.LBB108_202:                            ;   in Loop: Header=BB108_2 Depth=1
	s_or_b32 exec_lo, exec_lo, s8
	v_add_nc_u32_e32 v53, 1, v52
	v_add_nc_u32_e32 v55, 1, v51
	s_wait_dscnt 0x0
	v_and_b32_e32 v56, 0xff, v49
	s_delay_alu instid0(VALU_DEP_3) | instskip(SKIP_2) | instid1(VALU_DEP_3)
	v_cndmask_b32_e64 v54, v53, v52, s7
	v_and_b32_e32 v52, 0xff, v50
	v_cndmask_b32_e64 v53, v51, v55, s7
                                        ; implicit-def: $vgpr51
	v_cmp_ge_i32_e64 s8, v54, v24
	s_delay_alu instid0(VALU_DEP_3) | instskip(NEXT) | instid1(VALU_DEP_3)
	v_cmp_lt_u16_e64 s9, v52, v56
	v_cmp_lt_i32_e64 s10, v53, v25
	s_or_b32 s8, s8, s9
	s_wait_alu 0xfffe
	s_and_b32 s8, s10, s8
	s_wait_alu 0xfffe
	s_xor_b32 s9, s8, -1
	s_wait_alu 0xfffe
	s_and_saveexec_b32 s10, s9
	s_wait_alu 0xfffe
	s_xor_b32 s9, exec_lo, s10
; %bb.203:                              ;   in Loop: Header=BB108_2 Depth=1
	ds_load_u8 v51, v54 offset:1
; %bb.204:                              ;   in Loop: Header=BB108_2 Depth=1
	s_wait_alu 0xfffe
	s_or_saveexec_b32 s9, s9
	v_mov_b32_e32 v52, v50
	s_wait_alu 0xfffe
	s_xor_b32 exec_lo, exec_lo, s9
	s_cbranch_execz .LBB108_206
; %bb.205:                              ;   in Loop: Header=BB108_2 Depth=1
	ds_load_u8 v52, v53 offset:1
	s_wait_dscnt 0x1
	v_mov_b32_e32 v51, v49
.LBB108_206:                            ;   in Loop: Header=BB108_2 Depth=1
	s_or_b32 exec_lo, exec_lo, s9
	v_add_nc_u32_e32 v55, 1, v54
	v_add_nc_u32_e32 v57, 1, v53
	s_wait_dscnt 0x0
	v_and_b32_e32 v58, 0xff, v51
	s_delay_alu instid0(VALU_DEP_3) | instskip(SKIP_2) | instid1(VALU_DEP_3)
	v_cndmask_b32_e64 v56, v55, v54, s8
	v_and_b32_e32 v54, 0xff, v52
	v_cndmask_b32_e64 v55, v53, v57, s8
                                        ; implicit-def: $vgpr53
	v_cmp_ge_i32_e64 s9, v56, v24
	s_delay_alu instid0(VALU_DEP_3) | instskip(NEXT) | instid1(VALU_DEP_3)
	v_cmp_lt_u16_e64 s10, v54, v58
	v_cmp_lt_i32_e64 s11, v55, v25
	s_or_b32 s9, s9, s10
	s_wait_alu 0xfffe
	s_and_b32 s9, s11, s9
	s_wait_alu 0xfffe
	s_xor_b32 s10, s9, -1
	s_wait_alu 0xfffe
	s_and_saveexec_b32 s11, s10
	s_wait_alu 0xfffe
	s_xor_b32 s10, exec_lo, s11
; %bb.207:                              ;   in Loop: Header=BB108_2 Depth=1
	ds_load_u8 v53, v56 offset:1
; %bb.208:                              ;   in Loop: Header=BB108_2 Depth=1
	s_wait_alu 0xfffe
	s_or_saveexec_b32 s10, s10
	v_mov_b32_e32 v54, v52
	s_wait_alu 0xfffe
	s_xor_b32 exec_lo, exec_lo, s10
	s_cbranch_execz .LBB108_210
; %bb.209:                              ;   in Loop: Header=BB108_2 Depth=1
	ds_load_u8 v54, v55 offset:1
	s_wait_dscnt 0x1
	v_mov_b32_e32 v53, v51
.LBB108_210:                            ;   in Loop: Header=BB108_2 Depth=1
	s_or_b32 exec_lo, exec_lo, s10
	v_add_nc_u32_e32 v57, 1, v56
	v_add_nc_u32_e32 v59, 1, v55
	s_wait_dscnt 0x0
	v_and_b32_e32 v60, 0xff, v53
	s_delay_alu instid0(VALU_DEP_3) | instskip(SKIP_2) | instid1(VALU_DEP_3)
	v_cndmask_b32_e64 v58, v57, v56, s9
	v_and_b32_e32 v56, 0xff, v54
	v_cndmask_b32_e64 v57, v55, v59, s9
                                        ; implicit-def: $vgpr55
	v_cmp_ge_i32_e64 s10, v58, v24
	s_delay_alu instid0(VALU_DEP_3) | instskip(NEXT) | instid1(VALU_DEP_3)
	v_cmp_lt_u16_e64 s11, v56, v60
	v_cmp_lt_i32_e64 s12, v57, v25
	s_or_b32 s10, s10, s11
	s_wait_alu 0xfffe
	s_and_b32 s10, s12, s10
	s_wait_alu 0xfffe
	s_xor_b32 s11, s10, -1
	s_wait_alu 0xfffe
	s_and_saveexec_b32 s12, s11
	s_wait_alu 0xfffe
	s_xor_b32 s11, exec_lo, s12
; %bb.211:                              ;   in Loop: Header=BB108_2 Depth=1
	ds_load_u8 v55, v58 offset:1
; %bb.212:                              ;   in Loop: Header=BB108_2 Depth=1
	s_wait_alu 0xfffe
	s_or_saveexec_b32 s11, s11
	v_mov_b32_e32 v56, v54
	s_wait_alu 0xfffe
	s_xor_b32 exec_lo, exec_lo, s11
	s_cbranch_execz .LBB108_214
; %bb.213:                              ;   in Loop: Header=BB108_2 Depth=1
	ds_load_u8 v56, v57 offset:1
	s_wait_dscnt 0x1
	v_mov_b32_e32 v55, v53
.LBB108_214:                            ;   in Loop: Header=BB108_2 Depth=1
	s_or_b32 exec_lo, exec_lo, s11
	v_add_nc_u32_e32 v59, 1, v58
	v_add_nc_u32_e32 v61, 1, v57
	s_wait_dscnt 0x0
	v_and_b32_e32 v62, 0xff, v55
	s_delay_alu instid0(VALU_DEP_3) | instskip(SKIP_2) | instid1(VALU_DEP_3)
	v_cndmask_b32_e64 v60, v59, v58, s10
	v_and_b32_e32 v58, 0xff, v56
	v_cndmask_b32_e64 v59, v57, v61, s10
                                        ; implicit-def: $vgpr57
	v_cmp_ge_i32_e64 s11, v60, v24
	s_delay_alu instid0(VALU_DEP_3) | instskip(NEXT) | instid1(VALU_DEP_3)
	v_cmp_lt_u16_e64 s12, v58, v62
	v_cmp_lt_i32_e64 s13, v59, v25
	s_or_b32 s11, s11, s12
	s_wait_alu 0xfffe
	s_and_b32 s11, s13, s11
	s_wait_alu 0xfffe
	s_xor_b32 s12, s11, -1
	s_wait_alu 0xfffe
	s_and_saveexec_b32 s13, s12
	s_wait_alu 0xfffe
	s_xor_b32 s12, exec_lo, s13
; %bb.215:                              ;   in Loop: Header=BB108_2 Depth=1
	ds_load_u8 v57, v60 offset:1
; %bb.216:                              ;   in Loop: Header=BB108_2 Depth=1
	s_wait_alu 0xfffe
	s_or_saveexec_b32 s12, s12
	v_mov_b32_e32 v58, v56
	s_wait_alu 0xfffe
	s_xor_b32 exec_lo, exec_lo, s12
	s_cbranch_execz .LBB108_218
; %bb.217:                              ;   in Loop: Header=BB108_2 Depth=1
	ds_load_u8 v58, v59 offset:1
	s_wait_dscnt 0x1
	v_mov_b32_e32 v57, v55
.LBB108_218:                            ;   in Loop: Header=BB108_2 Depth=1
	s_or_b32 exec_lo, exec_lo, s12
	v_add_nc_u32_e32 v61, 1, v60
	v_add_nc_u32_e32 v63, 1, v59
	s_wait_dscnt 0x0
	v_and_b32_e32 v64, 0xff, v57
	s_delay_alu instid0(VALU_DEP_3) | instskip(SKIP_2) | instid1(VALU_DEP_3)
	v_cndmask_b32_e64 v62, v61, v60, s11
	v_and_b32_e32 v60, 0xff, v58
	v_cndmask_b32_e64 v61, v59, v63, s11
                                        ; implicit-def: $vgpr59
	v_cmp_ge_i32_e64 s12, v62, v24
	s_delay_alu instid0(VALU_DEP_3) | instskip(NEXT) | instid1(VALU_DEP_3)
	v_cmp_lt_u16_e64 s13, v60, v64
	v_cmp_lt_i32_e64 s14, v61, v25
	s_or_b32 s12, s12, s13
	s_wait_alu 0xfffe
	s_and_b32 s12, s14, s12
	s_wait_alu 0xfffe
	s_xor_b32 s13, s12, -1
	s_wait_alu 0xfffe
	s_and_saveexec_b32 s14, s13
	s_delay_alu instid0(SALU_CYCLE_1)
	s_xor_b32 s13, exec_lo, s14
; %bb.219:                              ;   in Loop: Header=BB108_2 Depth=1
	ds_load_u8 v59, v62 offset:1
; %bb.220:                              ;   in Loop: Header=BB108_2 Depth=1
	s_wait_alu 0xfffe
	s_or_saveexec_b32 s13, s13
	v_mov_b32_e32 v60, v58
	s_wait_alu 0xfffe
	s_xor_b32 exec_lo, exec_lo, s13
	s_cbranch_execz .LBB108_222
; %bb.221:                              ;   in Loop: Header=BB108_2 Depth=1
	ds_load_u8 v60, v61 offset:1
	s_wait_dscnt 0x1
	v_mov_b32_e32 v59, v57
.LBB108_222:                            ;   in Loop: Header=BB108_2 Depth=1
	s_or_b32 exec_lo, exec_lo, s13
	v_add_nc_u32_e32 v63, 1, v62
	v_add_nc_u32_e32 v64, 1, v61
	s_wait_dscnt 0x0
	v_and_b32_e32 v65, 0xff, v59
	v_and_b32_e32 v66, 0xff, v60
	v_cndmask_b32_e64 v63, v63, v62, s12
	v_cndmask_b32_e64 v62, v61, v64, s12
                                        ; implicit-def: $vgpr61
	s_delay_alu instid0(VALU_DEP_3) | instskip(NEXT) | instid1(VALU_DEP_3)
	v_cmp_lt_u16_e64 s14, v66, v65
	v_cmp_ge_i32_e64 s13, v63, v24
	s_delay_alu instid0(VALU_DEP_3)
	v_cmp_lt_i32_e64 s15, v62, v25
	s_or_b32 s13, s13, s14
	s_wait_alu 0xfffe
	s_and_b32 s13, s15, s13
	s_wait_alu 0xfffe
	s_xor_b32 s14, s13, -1
	s_delay_alu instid0(SALU_CYCLE_1) | instskip(NEXT) | instid1(SALU_CYCLE_1)
	s_and_saveexec_b32 s15, s14
	s_xor_b32 s14, exec_lo, s15
; %bb.223:                              ;   in Loop: Header=BB108_2 Depth=1
	ds_load_u8 v61, v63 offset:1
; %bb.224:                              ;   in Loop: Header=BB108_2 Depth=1
	s_or_saveexec_b32 s14, s14
	v_mov_b32_e32 v64, v60
	s_xor_b32 exec_lo, exec_lo, s14
	s_cbranch_execz .LBB108_226
; %bb.225:                              ;   in Loop: Header=BB108_2 Depth=1
	ds_load_u8 v64, v62 offset:1
	s_wait_dscnt 0x1
	v_mov_b32_e32 v61, v59
.LBB108_226:                            ;   in Loop: Header=BB108_2 Depth=1
	s_or_b32 exec_lo, exec_lo, s14
	v_cndmask_b32_e64 v53, v53, v54, s10
	v_cndmask_b32_e64 v47, v47, v48, s7
	;; [unrolled: 1-line block ×3, first 2 shown]
	v_add_nc_u32_e32 v65, 1, v63
	v_cndmask_b32_e64 v59, v59, v60, s13
	v_add_nc_u32_e32 v60, 1, v62
	v_lshlrev_b16 v51, 8, v53
	v_and_b32_e32 v48, 0xff, v48
	s_wait_dscnt 0x0
	v_and_b32_e32 v66, 0xff, v61
	v_and_b32_e32 v67, 0xff, v64
	v_cndmask_b32_e64 v63, v65, v63, s13
	v_cndmask_b32_e64 v57, v57, v58, s12
	v_or_b32_e32 v48, v48, v51
	v_mov_b32_e32 v51, v9
	v_cndmask_b32_e64 v58, v62, v60, s13
	v_cndmask_b32_e64 v55, v55, v56, s11
	v_cmp_lt_u16_e64 s11, v67, v66
	v_cmp_ge_i32_e64 s12, v63, v24
	v_cndmask_b32_e64 v49, v49, v50, s8
	v_cmp_lt_i32_e64 s10, v58, v25
	v_and_b32_e32 v47, 0xff, v47
	v_lshlrev_b16 v52, 8, v57
	s_or_b32 s7, s12, s11
	v_lshlrev_b16 v49, 8, v49
	s_wait_alu 0xfffe
	s_and_b32 s7, s10, s7
	v_and_b32_e32 v53, 0xff, v55
	s_wait_alu 0xfffe
	v_cndmask_b32_e64 v50, v61, v64, s7
	v_and_b32_e32 v54, 0xff, v59
	v_or_b32_e32 v47, v47, v49
	v_lshlrev_b32_e32 v48, 16, v48
	v_or_b32_e32 v49, v53, v52
	v_lshlrev_b16 v50, 8, v50
	s_wait_loadcnt 0x0
	v_and_b32_e32 v47, 0xffff, v47
	s_barrier_signal -1
	v_and_b32_e32 v49, 0xffff, v49
	v_or_b32_e32 v50, v54, v50
	s_barrier_wait -1
	v_or_b32_e32 v47, v47, v48
	global_inv scope:SCOPE_SE
	v_lshlrev_b32_e32 v50, 16, v50
	s_delay_alu instid0(VALU_DEP_1)
	v_or_b32_e32 v48, v49, v50
	ds_store_b64 v1, v[47:48]
	s_wait_loadcnt_dscnt 0x0
	s_barrier_signal -1
	s_barrier_wait -1
	global_inv scope:SCOPE_SE
	s_and_saveexec_b32 s8, vcc_lo
	s_cbranch_execz .LBB108_230
; %bb.227:                              ;   in Loop: Header=BB108_2 Depth=1
	v_mov_b32_e32 v51, v9
	v_mov_b32_e32 v47, v10
	s_mov_b32 s9, 0
.LBB108_228:                            ;   Parent Loop BB108_2 Depth=1
                                        ; =>  This Inner Loop Header: Depth=2
	s_delay_alu instid0(VALU_DEP_1) | instskip(NEXT) | instid1(VALU_DEP_1)
	v_sub_nc_u32_e32 v48, v47, v51
	v_lshrrev_b32_e32 v48, 1, v48
	s_delay_alu instid0(VALU_DEP_1) | instskip(NEXT) | instid1(VALU_DEP_1)
	v_add_nc_u32_e32 v48, v48, v51
	v_xad_u32 v49, v48, -1, v11
	v_add_nc_u32_e32 v52, 1, v48
	ds_load_u8 v50, v48
	ds_load_u8 v49, v49
	s_wait_dscnt 0x0
	v_cmp_lt_u16_e64 s7, v49, v50
	s_wait_alu 0xf1ff
	s_delay_alu instid0(VALU_DEP_1) | instskip(SKIP_1) | instid1(VALU_DEP_1)
	v_cndmask_b32_e64 v47, v47, v48, s7
	v_cndmask_b32_e64 v51, v52, v51, s7
	v_cmp_ge_i32_e64 s7, v51, v47
	s_wait_alu 0xfffe
	s_or_b32 s9, s7, s9
	s_wait_alu 0xfffe
	s_and_not1_b32 exec_lo, exec_lo, s9
	s_cbranch_execnz .LBB108_228
; %bb.229:                              ;   in Loop: Header=BB108_2 Depth=1
	s_or_b32 exec_lo, exec_lo, s9
.LBB108_230:                            ;   in Loop: Header=BB108_2 Depth=1
	s_wait_alu 0xfffe
	s_or_b32 exec_lo, exec_lo, s8
	v_sub_nc_u32_e32 v52, v11, v51
	v_cmp_le_i32_e64 s7, 0x400, v51
	ds_load_u8 v47, v51
	ds_load_u8 v48, v52
	v_cmp_gt_i32_e64 s9, 0x800, v52
	s_wait_dscnt 0x1
	v_and_b32_e32 v49, 0xff, v47
	s_wait_dscnt 0x0
	v_and_b32_e32 v50, 0xff, v48
	s_delay_alu instid0(VALU_DEP_1)
	v_cmp_lt_u16_e64 s8, v50, v49
                                        ; implicit-def: $vgpr49
	s_or_b32 s7, s7, s8
	s_wait_alu 0xfffe
	s_and_b32 s7, s9, s7
	s_wait_alu 0xfffe
	s_xor_b32 s8, s7, -1
	s_wait_alu 0xfffe
	s_and_saveexec_b32 s9, s8
	s_wait_alu 0xfffe
	s_xor_b32 s8, exec_lo, s9
; %bb.231:                              ;   in Loop: Header=BB108_2 Depth=1
	ds_load_u8 v49, v51 offset:1
; %bb.232:                              ;   in Loop: Header=BB108_2 Depth=1
	s_wait_alu 0xfffe
	s_or_saveexec_b32 s8, s8
	v_mov_b32_e32 v50, v48
	s_wait_alu 0xfffe
	s_xor_b32 exec_lo, exec_lo, s8
	s_cbranch_execz .LBB108_234
; %bb.233:                              ;   in Loop: Header=BB108_2 Depth=1
	ds_load_u8 v50, v52 offset:1
	s_wait_dscnt 0x1
	v_mov_b32_e32 v49, v47
.LBB108_234:                            ;   in Loop: Header=BB108_2 Depth=1
	s_or_b32 exec_lo, exec_lo, s8
	v_add_nc_u32_e32 v53, 1, v51
	v_add_nc_u32_e32 v55, 1, v52
	s_wait_dscnt 0x0
	v_and_b32_e32 v56, 0xff, v49
	s_delay_alu instid0(VALU_DEP_3) | instskip(SKIP_2) | instid1(VALU_DEP_3)
	v_cndmask_b32_e64 v54, v53, v51, s7
	v_and_b32_e32 v51, 0xff, v50
	v_cndmask_b32_e64 v53, v52, v55, s7
	v_cmp_le_i32_e64 s8, 0x400, v54
	s_delay_alu instid0(VALU_DEP_3) | instskip(NEXT) | instid1(VALU_DEP_3)
	v_cmp_lt_u16_e64 s9, v51, v56
	v_cmp_gt_i32_e64 s10, 0x800, v53
                                        ; implicit-def: $vgpr51
	s_or_b32 s8, s8, s9
	s_wait_alu 0xfffe
	s_and_b32 s8, s10, s8
	s_wait_alu 0xfffe
	s_xor_b32 s9, s8, -1
	s_wait_alu 0xfffe
	s_and_saveexec_b32 s10, s9
	s_wait_alu 0xfffe
	s_xor_b32 s9, exec_lo, s10
; %bb.235:                              ;   in Loop: Header=BB108_2 Depth=1
	ds_load_u8 v51, v54 offset:1
; %bb.236:                              ;   in Loop: Header=BB108_2 Depth=1
	s_wait_alu 0xfffe
	s_or_saveexec_b32 s9, s9
	v_mov_b32_e32 v52, v50
	s_wait_alu 0xfffe
	s_xor_b32 exec_lo, exec_lo, s9
	s_cbranch_execz .LBB108_238
; %bb.237:                              ;   in Loop: Header=BB108_2 Depth=1
	ds_load_u8 v52, v53 offset:1
	s_wait_dscnt 0x1
	v_mov_b32_e32 v51, v49
.LBB108_238:                            ;   in Loop: Header=BB108_2 Depth=1
	s_or_b32 exec_lo, exec_lo, s9
	v_add_nc_u32_e32 v55, 1, v54
	v_add_nc_u32_e32 v57, 1, v53
	s_wait_dscnt 0x0
	v_and_b32_e32 v58, 0xff, v51
	s_delay_alu instid0(VALU_DEP_3) | instskip(SKIP_2) | instid1(VALU_DEP_3)
	v_cndmask_b32_e64 v56, v55, v54, s8
	v_and_b32_e32 v54, 0xff, v52
	v_cndmask_b32_e64 v55, v53, v57, s8
                                        ; implicit-def: $vgpr53
	v_cmp_le_i32_e64 s9, 0x400, v56
	s_delay_alu instid0(VALU_DEP_3) | instskip(NEXT) | instid1(VALU_DEP_3)
	v_cmp_lt_u16_e64 s10, v54, v58
	v_cmp_gt_i32_e64 s11, 0x800, v55
	s_or_b32 s9, s9, s10
	s_wait_alu 0xfffe
	s_and_b32 s9, s11, s9
	s_wait_alu 0xfffe
	s_xor_b32 s10, s9, -1
	s_wait_alu 0xfffe
	s_and_saveexec_b32 s11, s10
	s_wait_alu 0xfffe
	s_xor_b32 s10, exec_lo, s11
; %bb.239:                              ;   in Loop: Header=BB108_2 Depth=1
	ds_load_u8 v53, v56 offset:1
; %bb.240:                              ;   in Loop: Header=BB108_2 Depth=1
	s_wait_alu 0xfffe
	s_or_saveexec_b32 s10, s10
	v_mov_b32_e32 v54, v52
	s_wait_alu 0xfffe
	s_xor_b32 exec_lo, exec_lo, s10
	s_cbranch_execz .LBB108_242
; %bb.241:                              ;   in Loop: Header=BB108_2 Depth=1
	ds_load_u8 v54, v55 offset:1
	s_wait_dscnt 0x1
	v_mov_b32_e32 v53, v51
.LBB108_242:                            ;   in Loop: Header=BB108_2 Depth=1
	s_or_b32 exec_lo, exec_lo, s10
	v_add_nc_u32_e32 v57, 1, v56
	v_add_nc_u32_e32 v59, 1, v55
	s_wait_dscnt 0x0
	v_and_b32_e32 v60, 0xff, v53
	s_delay_alu instid0(VALU_DEP_3) | instskip(SKIP_2) | instid1(VALU_DEP_3)
	v_cndmask_b32_e64 v58, v57, v56, s9
	v_and_b32_e32 v56, 0xff, v54
	v_cndmask_b32_e64 v57, v55, v59, s9
                                        ; implicit-def: $vgpr55
	v_cmp_le_i32_e64 s10, 0x400, v58
	s_delay_alu instid0(VALU_DEP_3) | instskip(NEXT) | instid1(VALU_DEP_3)
	v_cmp_lt_u16_e64 s11, v56, v60
	v_cmp_gt_i32_e64 s12, 0x800, v57
	s_or_b32 s10, s10, s11
	s_wait_alu 0xfffe
	s_and_b32 s10, s12, s10
	s_wait_alu 0xfffe
	s_xor_b32 s11, s10, -1
	s_wait_alu 0xfffe
	s_and_saveexec_b32 s12, s11
	s_wait_alu 0xfffe
	s_xor_b32 s11, exec_lo, s12
; %bb.243:                              ;   in Loop: Header=BB108_2 Depth=1
	ds_load_u8 v55, v58 offset:1
; %bb.244:                              ;   in Loop: Header=BB108_2 Depth=1
	s_wait_alu 0xfffe
	s_or_saveexec_b32 s11, s11
	v_mov_b32_e32 v56, v54
	s_wait_alu 0xfffe
	s_xor_b32 exec_lo, exec_lo, s11
	s_cbranch_execz .LBB108_246
; %bb.245:                              ;   in Loop: Header=BB108_2 Depth=1
	ds_load_u8 v56, v57 offset:1
	s_wait_dscnt 0x1
	v_mov_b32_e32 v55, v53
.LBB108_246:                            ;   in Loop: Header=BB108_2 Depth=1
	s_or_b32 exec_lo, exec_lo, s11
	v_add_nc_u32_e32 v59, 1, v58
	v_add_nc_u32_e32 v61, 1, v57
	s_wait_dscnt 0x0
	v_and_b32_e32 v62, 0xff, v55
	s_delay_alu instid0(VALU_DEP_3) | instskip(SKIP_2) | instid1(VALU_DEP_3)
	v_cndmask_b32_e64 v60, v59, v58, s10
	v_and_b32_e32 v58, 0xff, v56
	v_cndmask_b32_e64 v59, v57, v61, s10
                                        ; implicit-def: $vgpr57
	v_cmp_le_i32_e64 s11, 0x400, v60
	s_delay_alu instid0(VALU_DEP_3) | instskip(NEXT) | instid1(VALU_DEP_3)
	v_cmp_lt_u16_e64 s12, v58, v62
	v_cmp_gt_i32_e64 s13, 0x800, v59
	s_or_b32 s11, s11, s12
	s_wait_alu 0xfffe
	s_and_b32 s11, s13, s11
	s_wait_alu 0xfffe
	s_xor_b32 s12, s11, -1
	s_wait_alu 0xfffe
	s_and_saveexec_b32 s13, s12
	s_wait_alu 0xfffe
	s_xor_b32 s12, exec_lo, s13
; %bb.247:                              ;   in Loop: Header=BB108_2 Depth=1
	ds_load_u8 v57, v60 offset:1
; %bb.248:                              ;   in Loop: Header=BB108_2 Depth=1
	s_wait_alu 0xfffe
	s_or_saveexec_b32 s12, s12
	v_mov_b32_e32 v58, v56
	s_wait_alu 0xfffe
	s_xor_b32 exec_lo, exec_lo, s12
	s_cbranch_execz .LBB108_250
; %bb.249:                              ;   in Loop: Header=BB108_2 Depth=1
	ds_load_u8 v58, v59 offset:1
	s_wait_dscnt 0x1
	v_mov_b32_e32 v57, v55
.LBB108_250:                            ;   in Loop: Header=BB108_2 Depth=1
	s_or_b32 exec_lo, exec_lo, s12
	v_add_nc_u32_e32 v61, 1, v60
	v_add_nc_u32_e32 v63, 1, v59
	s_wait_dscnt 0x0
	v_and_b32_e32 v64, 0xff, v57
	s_delay_alu instid0(VALU_DEP_3) | instskip(SKIP_2) | instid1(VALU_DEP_3)
	v_cndmask_b32_e64 v62, v61, v60, s11
	v_and_b32_e32 v60, 0xff, v58
	v_cndmask_b32_e64 v61, v59, v63, s11
                                        ; implicit-def: $vgpr59
	v_cmp_le_i32_e64 s12, 0x400, v62
	s_delay_alu instid0(VALU_DEP_3) | instskip(NEXT) | instid1(VALU_DEP_3)
	v_cmp_lt_u16_e64 s13, v60, v64
	v_cmp_gt_i32_e64 s14, 0x800, v61
	s_or_b32 s12, s12, s13
	s_wait_alu 0xfffe
	s_and_b32 s12, s14, s12
	s_wait_alu 0xfffe
	s_xor_b32 s13, s12, -1
	s_wait_alu 0xfffe
	s_and_saveexec_b32 s14, s13
	s_delay_alu instid0(SALU_CYCLE_1)
	s_xor_b32 s13, exec_lo, s14
; %bb.251:                              ;   in Loop: Header=BB108_2 Depth=1
	ds_load_u8 v59, v62 offset:1
; %bb.252:                              ;   in Loop: Header=BB108_2 Depth=1
	s_wait_alu 0xfffe
	s_or_saveexec_b32 s13, s13
	v_mov_b32_e32 v60, v58
	s_wait_alu 0xfffe
	s_xor_b32 exec_lo, exec_lo, s13
	s_cbranch_execz .LBB108_254
; %bb.253:                              ;   in Loop: Header=BB108_2 Depth=1
	ds_load_u8 v60, v61 offset:1
	s_wait_dscnt 0x1
	v_mov_b32_e32 v59, v57
.LBB108_254:                            ;   in Loop: Header=BB108_2 Depth=1
	s_or_b32 exec_lo, exec_lo, s13
	v_add_nc_u32_e32 v63, 1, v62
	v_add_nc_u32_e32 v64, 1, v61
	s_wait_dscnt 0x0
	v_and_b32_e32 v66, 0xff, v59
	s_delay_alu instid0(VALU_DEP_3) | instskip(SKIP_2) | instid1(VALU_DEP_3)
	v_cndmask_b32_e64 v65, v63, v62, s12
	v_and_b32_e32 v62, 0xff, v60
	v_cndmask_b32_e64 v61, v61, v64, s12
                                        ; implicit-def: $vgpr63
	v_cmp_le_i32_e64 s13, 0x400, v65
	s_delay_alu instid0(VALU_DEP_3) | instskip(NEXT) | instid1(VALU_DEP_3)
	v_cmp_lt_u16_e64 s14, v62, v66
	v_cmp_gt_i32_e64 s15, 0x800, v61
                                        ; implicit-def: $vgpr62
	s_or_b32 s13, s13, s14
	s_wait_alu 0xfffe
	s_and_b32 s13, s15, s13
	s_wait_alu 0xfffe
	s_xor_b32 s14, s13, -1
	s_delay_alu instid0(SALU_CYCLE_1) | instskip(NEXT) | instid1(SALU_CYCLE_1)
	s_and_saveexec_b32 s15, s14
	s_xor_b32 s14, exec_lo, s15
; %bb.255:                              ;   in Loop: Header=BB108_2 Depth=1
	ds_load_u8 v62, v65 offset:1
	v_add_nc_u32_e32 v63, 1, v65
                                        ; implicit-def: $vgpr65
; %bb.256:                              ;   in Loop: Header=BB108_2 Depth=1
	s_or_saveexec_b32 s14, s14
	v_mov_b32_e32 v64, v60
	s_xor_b32 exec_lo, exec_lo, s14
	s_cbranch_execz .LBB108_1
; %bb.257:                              ;   in Loop: Header=BB108_2 Depth=1
	ds_load_u8 v64, v61 offset:1
	s_wait_dscnt 0x1
	v_dual_mov_b32 v62, v59 :: v_dual_add_nc_u32 v61, 1, v61
	v_mov_b32_e32 v63, v65
	s_branch .LBB108_1
.LBB108_258:
	s_add_nc_u64 s[0:1], s[18:19], s[20:21]
	s_wait_alu 0xfffe
	v_add_co_u32 v0, s0, s0, v0
	s_wait_alu 0xf1ff
	v_add_co_ci_u32_e64 v1, null, s1, 0, s0
	s_clause 0x7
	global_store_b8 v[0:1], v48, off
	global_store_b8 v[0:1], v49, off offset:256
	global_store_b8 v[0:1], v50, off offset:512
	;; [unrolled: 1-line block ×7, first 2 shown]
	s_endpgm
	.section	.rodata,"a",@progbits
	.p2align	6, 0x0
	.amdhsa_kernel _Z16sort_keys_kernelIhLj256ELj8EN10test_utils4lessELj10EEvPKT_PS2_T2_
		.amdhsa_group_segment_fixed_size 2049
		.amdhsa_private_segment_fixed_size 0
		.amdhsa_kernarg_size 20
		.amdhsa_user_sgpr_count 2
		.amdhsa_user_sgpr_dispatch_ptr 0
		.amdhsa_user_sgpr_queue_ptr 0
		.amdhsa_user_sgpr_kernarg_segment_ptr 1
		.amdhsa_user_sgpr_dispatch_id 0
		.amdhsa_user_sgpr_private_segment_size 0
		.amdhsa_wavefront_size32 1
		.amdhsa_uses_dynamic_stack 0
		.amdhsa_enable_private_segment 0
		.amdhsa_system_sgpr_workgroup_id_x 1
		.amdhsa_system_sgpr_workgroup_id_y 0
		.amdhsa_system_sgpr_workgroup_id_z 0
		.amdhsa_system_sgpr_workgroup_info 0
		.amdhsa_system_vgpr_workitem_id 0
		.amdhsa_next_free_vgpr 69
		.amdhsa_next_free_sgpr 22
		.amdhsa_reserve_vcc 1
		.amdhsa_float_round_mode_32 0
		.amdhsa_float_round_mode_16_64 0
		.amdhsa_float_denorm_mode_32 3
		.amdhsa_float_denorm_mode_16_64 3
		.amdhsa_fp16_overflow 0
		.amdhsa_workgroup_processor_mode 1
		.amdhsa_memory_ordered 1
		.amdhsa_forward_progress 1
		.amdhsa_inst_pref_size 127
		.amdhsa_round_robin_scheduling 0
		.amdhsa_exception_fp_ieee_invalid_op 0
		.amdhsa_exception_fp_denorm_src 0
		.amdhsa_exception_fp_ieee_div_zero 0
		.amdhsa_exception_fp_ieee_overflow 0
		.amdhsa_exception_fp_ieee_underflow 0
		.amdhsa_exception_fp_ieee_inexact 0
		.amdhsa_exception_int_div_zero 0
	.end_amdhsa_kernel
	.section	.text._Z16sort_keys_kernelIhLj256ELj8EN10test_utils4lessELj10EEvPKT_PS2_T2_,"axG",@progbits,_Z16sort_keys_kernelIhLj256ELj8EN10test_utils4lessELj10EEvPKT_PS2_T2_,comdat
.Lfunc_end108:
	.size	_Z16sort_keys_kernelIhLj256ELj8EN10test_utils4lessELj10EEvPKT_PS2_T2_, .Lfunc_end108-_Z16sort_keys_kernelIhLj256ELj8EN10test_utils4lessELj10EEvPKT_PS2_T2_
                                        ; -- End function
	.set _Z16sort_keys_kernelIhLj256ELj8EN10test_utils4lessELj10EEvPKT_PS2_T2_.num_vgpr, 69
	.set _Z16sort_keys_kernelIhLj256ELj8EN10test_utils4lessELj10EEvPKT_PS2_T2_.num_agpr, 0
	.set _Z16sort_keys_kernelIhLj256ELj8EN10test_utils4lessELj10EEvPKT_PS2_T2_.numbered_sgpr, 22
	.set _Z16sort_keys_kernelIhLj256ELj8EN10test_utils4lessELj10EEvPKT_PS2_T2_.num_named_barrier, 0
	.set _Z16sort_keys_kernelIhLj256ELj8EN10test_utils4lessELj10EEvPKT_PS2_T2_.private_seg_size, 0
	.set _Z16sort_keys_kernelIhLj256ELj8EN10test_utils4lessELj10EEvPKT_PS2_T2_.uses_vcc, 1
	.set _Z16sort_keys_kernelIhLj256ELj8EN10test_utils4lessELj10EEvPKT_PS2_T2_.uses_flat_scratch, 0
	.set _Z16sort_keys_kernelIhLj256ELj8EN10test_utils4lessELj10EEvPKT_PS2_T2_.has_dyn_sized_stack, 0
	.set _Z16sort_keys_kernelIhLj256ELj8EN10test_utils4lessELj10EEvPKT_PS2_T2_.has_recursion, 0
	.set _Z16sort_keys_kernelIhLj256ELj8EN10test_utils4lessELj10EEvPKT_PS2_T2_.has_indirect_call, 0
	.section	.AMDGPU.csdata,"",@progbits
; Kernel info:
; codeLenInByte = 16180
; TotalNumSgprs: 24
; NumVgprs: 69
; ScratchSize: 0
; MemoryBound: 0
; FloatMode: 240
; IeeeMode: 1
; LDSByteSize: 2049 bytes/workgroup (compile time only)
; SGPRBlocks: 0
; VGPRBlocks: 8
; NumSGPRsForWavesPerEU: 24
; NumVGPRsForWavesPerEU: 69
; Occupancy: 16
; WaveLimiterHint : 1
; COMPUTE_PGM_RSRC2:SCRATCH_EN: 0
; COMPUTE_PGM_RSRC2:USER_SGPR: 2
; COMPUTE_PGM_RSRC2:TRAP_HANDLER: 0
; COMPUTE_PGM_RSRC2:TGID_X_EN: 1
; COMPUTE_PGM_RSRC2:TGID_Y_EN: 0
; COMPUTE_PGM_RSRC2:TGID_Z_EN: 0
; COMPUTE_PGM_RSRC2:TIDIG_COMP_CNT: 0
	.section	.text._Z17sort_pairs_kernelIhLj256ELj8EN10test_utils4lessELj10EEvPKT_PS2_T2_,"axG",@progbits,_Z17sort_pairs_kernelIhLj256ELj8EN10test_utils4lessELj10EEvPKT_PS2_T2_,comdat
	.protected	_Z17sort_pairs_kernelIhLj256ELj8EN10test_utils4lessELj10EEvPKT_PS2_T2_ ; -- Begin function _Z17sort_pairs_kernelIhLj256ELj8EN10test_utils4lessELj10EEvPKT_PS2_T2_
	.globl	_Z17sort_pairs_kernelIhLj256ELj8EN10test_utils4lessELj10EEvPKT_PS2_T2_
	.p2align	8
	.type	_Z17sort_pairs_kernelIhLj256ELj8EN10test_utils4lessELj10EEvPKT_PS2_T2_,@function
_Z17sort_pairs_kernelIhLj256ELj8EN10test_utils4lessELj10EEvPKT_PS2_T2_: ; @_Z17sort_pairs_kernelIhLj256ELj8EN10test_utils4lessELj10EEvPKT_PS2_T2_
; %bb.0:
	s_load_b128 s[44:47], s[0:1], 0x0
	s_lshl_b32 s48, ttmp9, 11
	s_mov_b32 s49, 0
	v_lshlrev_b32_e32 v5, 3, v0
	s_delay_alu instid0(VALU_DEP_1)
	v_and_b32_e32 v6, 0x7f0, v5
	v_and_b32_e32 v7, 0x7e0, v5
	;; [unrolled: 1-line block ×5, first 2 shown]
	v_or_b32_e32 v16, 8, v6
	v_add_nc_u32_e32 v17, 16, v6
	v_or_b32_e32 v18, 16, v7
	v_add_nc_u32_e32 v19, 32, v7
	v_and_b32_e32 v9, 0x780, v5
	v_or_b32_e32 v20, 32, v8
	v_sub_nc_u32_e32 v55, v17, v16
	s_wait_kmcnt 0x0
	s_add_nc_u64 s[0:1], s[44:45], s[48:49]
	v_add_nc_u32_e32 v21, 64, v8
	s_clause 0x7
	global_load_u8 v1, v0, s[0:1]
	global_load_u8 v2, v0, s[0:1] offset:512
	global_load_u8 v3, v0, s[0:1] offset:1024
	global_load_u8 v4, v0, s[0:1] offset:1536
	global_load_u8 v51, v0, s[0:1] offset:256
	global_load_u8 v52, v0, s[0:1] offset:768
	global_load_u8 v53, v0, s[0:1] offset:1792
	global_load_u8 v54, v0, s[0:1] offset:1280
	v_sub_nc_u32_e32 v37, v16, v6
	v_sub_nc_u32_e32 v56, v19, v18
	;; [unrolled: 1-line block ×3, first 2 shown]
	v_cmp_ge_i32_e64 s0, v44, v55
	v_and_b32_e32 v46, 56, v5
	v_and_b32_e32 v10, 0x700, v5
	v_or_b32_e32 v22, 64, v9
	v_add_nc_u32_e32 v23, 0x80, v9
	v_add_nc_u32_e32 v30, v16, v44
	v_sub_nc_u32_e32 v38, v18, v7
	v_sub_nc_u32_e32 v57, v21, v20
	v_min_i32_e32 v37, v44, v37
	v_sub_nc_u32_e32 v63, v45, v56
	v_cndmask_b32_e64 v44, 0, v62, s0
	v_cmp_ge_i32_e64 s0, v45, v56
	v_and_b32_e32 v47, 0x78, v5
	v_and_b32_e32 v11, 0x600, v5
	v_or_b32_e32 v24, 0x80, v10
	v_add_nc_u32_e32 v25, 0x100, v10
	v_add_nc_u32_e32 v31, v18, v45
	v_sub_nc_u32_e32 v39, v20, v8
	v_sub_nc_u32_e32 v58, v23, v22
	v_min_i32_e32 v38, v45, v38
	v_sub_nc_u32_e32 v64, v46, v57
	s_wait_alu 0xf1ff
	v_cndmask_b32_e64 v45, 0, v63, s0
	v_cmp_ge_i32_e64 s0, v46, v57
	v_and_b32_e32 v48, 0xf8, v5
	v_and_b32_e32 v12, 0x400, v5
	v_or_b32_e32 v26, 0x100, v11
	v_add_nc_u32_e32 v27, 0x200, v11
	v_add_nc_u32_e32 v32, v20, v46
	v_sub_nc_u32_e32 v40, v22, v9
	v_sub_nc_u32_e32 v59, v25, v24
	v_min_i32_e32 v39, v46, v39
	v_sub_nc_u32_e32 v65, v47, v58
	s_wait_alu 0xf1ff
	v_cndmask_b32_e64 v46, 0, v64, s0
	v_cmp_ge_i32_e64 s0, v47, v58
	v_and_b32_e32 v49, 0x1f8, v5
	v_or_b32_e32 v28, 0x200, v12
	v_add_nc_u32_e32 v29, 0x400, v12
	v_add_nc_u32_e32 v33, v22, v47
	v_sub_nc_u32_e32 v41, v24, v10
	v_sub_nc_u32_e32 v60, v27, v26
	v_min_i32_e32 v40, v47, v40
	v_sub_nc_u32_e32 v66, v48, v59
	s_wait_alu 0xf1ff
	v_cndmask_b32_e64 v47, 0, v65, s0
	v_cmp_ge_i32_e64 s0, v48, v59
	v_and_b32_e32 v50, 0x3f8, v5
	v_add_nc_u32_e32 v34, v24, v48
	v_sub_nc_u32_e32 v42, v26, v11
	v_sub_nc_u32_e32 v61, v29, v28
	v_min_i32_e32 v41, v48, v41
	v_sub_nc_u32_e32 v67, v49, v60
	s_wait_alu 0xf1ff
	v_cndmask_b32_e64 v48, 0, v66, s0
	v_cmp_ge_i32_e64 s0, v49, v60
	v_add_nc_u32_e32 v35, v26, v49
	v_min_i32_e32 v42, v49, v42
	v_sub_nc_u32_e32 v68, v50, v61
	v_sub_nc_u32_e32 v43, v28, v12
	s_wait_alu 0xf1ff
	v_cndmask_b32_e64 v49, 0, v67, s0
	v_cmp_ge_i32_e64 s0, v50, v61
	v_add_nc_u32_e32 v36, v28, v50
	v_subrev_nc_u32_e64 v13, 0x400, v5 clamp
	v_min_i32_e32 v43, v50, v43
	v_min_i32_e32 v14, 0x400, v5
	s_wait_alu 0xf1ff
	v_cndmask_b32_e64 v50, 0, v68, s0
	v_add_nc_u32_e32 v15, 0x400, v5
	v_cmp_lt_i32_e64 s0, v44, v37
	v_cmp_lt_i32_e64 s1, v45, v38
	;; [unrolled: 1-line block ×7, first 2 shown]
	s_mov_b32 s45, s49
	v_cmp_lt_i32_e32 vcc_lo, v13, v14
	s_wait_loadcnt 0x7
	v_add_nc_u16 v55, v1, 1
	s_wait_loadcnt 0x6
	v_add_nc_u16 v56, v2, 1
	;; [unrolled: 2-line block ×4, first 2 shown]
	s_wait_loadcnt 0x3
	v_perm_b32 v1, v1, v51, 0xc0c0004
	s_wait_loadcnt 0x2
	v_lshlrev_b16 v59, 8, v52
	v_lshlrev_b16 v51, 8, v51
	s_wait_loadcnt 0x1
	v_lshlrev_b16 v60, 8, v53
	s_wait_loadcnt 0x0
	v_lshlrev_b16 v61, 8, v54
	v_and_b32_e32 v55, 0xff, v55
	v_and_b32_e32 v56, 0xff, v56
	;; [unrolled: 1-line block ×4, first 2 shown]
	v_perm_b32 v2, v2, v52, 0xc0c0004
	v_or_b32_e32 v51, v51, v55
	v_or_b32_e32 v52, v59, v56
	v_or_b32_e32 v55, v61, v57
	v_or_b32_e32 v56, v60, v58
	v_perm_b32 v3, v3, v54, 0xc0c0004
	v_add_nc_u16 v51, 0x100, v51
	v_add_nc_u16 v52, 0x100, v52
	;; [unrolled: 1-line block ×4, first 2 shown]
	v_perm_b32 v4, v4, v53, 0xc0c0004
	v_and_b32_e32 v51, 0xffff, v51
	v_lshlrev_b32_e32 v52, 16, v52
	v_and_b32_e32 v53, 0xffff, v54
	v_lshlrev_b32_e32 v54, 16, v55
	v_lshl_or_b32 v64, v2, 16, v1
	v_lshl_or_b32 v55, v4, 16, v3
	v_or_b32_e32 v1, v51, v52
	s_delay_alu instid0(VALU_DEP_4)
	v_or_b32_e32 v2, v53, v54
	s_branch .LBB109_2
.LBB109_1:                              ;   in Loop: Header=BB109_2 Depth=1
	s_or_b32 exec_lo, exec_lo, s14
	v_cndmask_b32_e64 v63, v63, v65, s9
	v_cndmask_b32_e64 v65, v67, v68, s10
	s_wait_dscnt 0x0
	v_and_b32_e32 v67, 0xff, v85
	v_and_b32_e32 v68, 0xff, v86
	v_cndmask_b32_e64 v77, v57, v58, s7
	v_cndmask_b32_e64 v57, v71, v72, s11
	;; [unrolled: 1-line block ×4, first 2 shown]
	v_cmp_le_i32_e64 s10, 0x400, v84
	v_cmp_lt_u16_e64 s11, v68, v67
	v_cndmask_b32_e64 v55, v55, v56, s7
	v_cmp_gt_i32_e64 s7, 0x800, v81
	v_perm_b32 v52, v52, v53, 0xc0c0004
	v_perm_b32 v51, v54, v51, 0xc0c0004
	;; [unrolled: 1-line block ×4, first 2 shown]
	v_cndmask_b32_e64 v62, v59, v62, s8
	v_cndmask_b32_e64 v60, v60, v61, s8
	s_or_b32 s8, s10, s11
	v_lshl_or_b32 v2, v51, 16, v52
	s_wait_alu 0xfffe
	s_and_b32 s7, s7, s8
	v_lshl_or_b32 v1, v4, 16, v1
	s_wait_alu 0xfffe
	v_cndmask_b32_e64 v53, v84, v81, s7
	v_cndmask_b32_e64 v64, v64, v66, s9
	;; [unrolled: 1-line block ×3, first 2 shown]
	s_wait_loadcnt 0x0
	s_barrier_signal -1
	s_barrier_wait -1
	global_inv scope:SCOPE_SE
	ds_store_b64 v5, v[1:2]
	s_wait_loadcnt_dscnt 0x0
	s_barrier_signal -1
	s_barrier_wait -1
	global_inv scope:SCOPE_SE
	ds_load_u8 v52, v55
	ds_load_u8 v4, v82
	;; [unrolled: 1-line block ×8, first 2 shown]
	v_cndmask_b32_e64 v58, v75, v76, s12
	v_cndmask_b32_e64 v59, v80, v83, s13
	;; [unrolled: 1-line block ×3, first 2 shown]
	v_lshlrev_b16 v1, 8, v62
	v_and_b32_e32 v2, 0xff, v77
	v_lshlrev_b16 v55, 8, v65
	v_and_b32_e32 v64, 0xff, v63
	v_lshlrev_b16 v66, 8, v58
	v_and_b32_e32 v67, 0xff, v57
	v_and_b32_e32 v68, 0xff, v59
	v_lshlrev_b16 v69, 8, v3
	v_or_b32_e32 v1, v2, v1
	v_or_b32_e32 v2, v64, v55
	;; [unrolled: 1-line block ×3, first 2 shown]
	s_wait_dscnt 0x5
	v_perm_b32 v70, v4, v51, 0xc0c0004
	v_or_b32_e32 v64, v68, v69
	v_and_b32_e32 v1, 0xffff, v1
	v_lshlrev_b32_e32 v2, 16, v2
	v_and_b32_e32 v55, 0xffff, v55
	s_wait_dscnt 0x4
	v_perm_b32 v67, v52, v56, 0xc0c0004
	v_lshlrev_b32_e32 v66, 16, v64
	s_wait_dscnt 0x2
	v_perm_b32 v68, v60, v61, 0xc0c0004
	s_wait_dscnt 0x0
	v_perm_b32 v69, v53, v54, 0xc0c0004
	v_or_b32_e32 v64, v1, v2
	s_add_co_i32 s45, s45, 1
	v_or_b32_e32 v55, v55, v66
	v_lshl_or_b32 v1, v68, 16, v67
	v_lshl_or_b32 v2, v70, 16, v69
	s_cmp_eq_u32 s45, 10
	s_cbranch_scc1 .LBB109_258
.LBB109_2:                              ; =>This Loop Header: Depth=1
                                        ;     Child Loop BB109_4 Depth 2
                                        ;     Child Loop BB109_36 Depth 2
	;; [unrolled: 1-line block ×8, first 2 shown]
	v_lshrrev_b32_e32 v3, 8, v64
	v_and_b32_e32 v4, 0xff, v64
	v_perm_b32 v51, v64, v64, 0x7060405
	v_lshrrev_b32_e32 v52, 8, v55
	v_and_b32_e32 v56, 0xff, v55
	v_and_b32_e32 v3, 0xff, v3
	v_perm_b32 v54, v55, v55, 0x7060405
	s_delay_alu instid0(VALU_DEP_4) | instskip(SKIP_1) | instid1(VALU_DEP_3)
	v_and_b32_e32 v52, 0xff, v52
	s_barrier_signal -1
	v_cmp_lt_u16_e64 s7, v3, v4
	s_barrier_wait -1
	global_inv scope:SCOPE_SE
	v_cmp_lt_u16_e64 s9, v52, v56
	s_wait_alu 0xf1ff
	v_cndmask_b32_e64 v3, v64, v51, s7
	s_delay_alu instid0(VALU_DEP_1) | instskip(SKIP_1) | instid1(VALU_DEP_2)
	v_lshrrev_b32_e32 v4, 16, v3
	v_lshrrev_b32_e32 v53, 24, v3
	v_perm_b32 v51, 0, v4, 0xc0c0001
	v_and_b32_e32 v4, 0xff, v4
	s_delay_alu instid0(VALU_DEP_2) | instskip(NEXT) | instid1(VALU_DEP_2)
	v_lshlrev_b32_e32 v51, 16, v51
	v_cmp_lt_u16_e64 s8, v53, v4
	v_cndmask_b32_e64 v4, v55, v54, s9
	s_delay_alu instid0(VALU_DEP_3) | instskip(NEXT) | instid1(VALU_DEP_2)
	v_and_or_b32 v51, 0xffff, v3, v51
	v_lshrrev_b32_e32 v53, 16, v4
	v_lshrrev_b32_e32 v55, 24, v4
	v_perm_b32 v56, v4, v4, 0x6070504
	s_wait_alu 0xf1ff
	v_cndmask_b32_e64 v3, v3, v51, s8
	v_and_b32_e32 v53, 0xff, v53
	s_delay_alu instid0(VALU_DEP_2) | instskip(SKIP_2) | instid1(VALU_DEP_4)
	v_lshrrev_b32_e32 v51, 16, v3
	v_lshrrev_b32_e32 v52, 8, v3
	v_perm_b32 v54, v3, v3, 0x7050604
	v_cmp_lt_u16_e64 s12, v55, v53
	s_delay_alu instid0(VALU_DEP_4) | instskip(NEXT) | instid1(VALU_DEP_4)
	v_and_b32_e32 v51, 0xff, v51
	v_and_b32_e32 v52, 0xff, v52
	s_wait_alu 0xf1ff
	s_delay_alu instid0(VALU_DEP_3) | instskip(NEXT) | instid1(VALU_DEP_2)
	v_cndmask_b32_e64 v4, v4, v56, s12
	v_cmp_lt_u16_e64 s11, v51, v52
	s_delay_alu instid0(VALU_DEP_2) | instskip(SKIP_1) | instid1(VALU_DEP_2)
	v_lshlrev_b16 v52, 8, v4
	s_wait_alu 0xf1ff
	v_cndmask_b32_e64 v3, v3, v54, s11
	s_delay_alu instid0(VALU_DEP_1) | instskip(SKIP_1) | instid1(VALU_DEP_2)
	v_lshrrev_b32_e32 v51, 16, v3
	v_lshrrev_b32_e32 v53, 24, v3
	v_and_b32_e32 v51, 0xff, v51
	s_delay_alu instid0(VALU_DEP_1) | instskip(SKIP_1) | instid1(VALU_DEP_2)
	v_or_b32_e32 v51, v51, v52
	v_and_b32_e32 v52, 0xff, v4
	v_lshlrev_b32_e32 v51, 16, v51
	s_delay_alu instid0(VALU_DEP_2) | instskip(NEXT) | instid1(VALU_DEP_2)
	v_cmp_lt_u16_e64 s10, v52, v53
	v_and_or_b32 v51, 0xffff, v3, v51
	s_wait_alu 0xf1ff
	s_delay_alu instid0(VALU_DEP_1) | instskip(SKIP_1) | instid1(VALU_DEP_2)
	v_cndmask_b32_e64 v51, v3, v51, s10
	v_perm_b32 v3, v3, v4, 0x3020107
	v_lshrrev_b32_e32 v52, 8, v51
	v_perm_b32 v53, 0, v51, 0xc0c0001
	v_and_b32_e32 v54, 0xff, v51
	s_delay_alu instid0(VALU_DEP_4) | instskip(NEXT) | instid1(VALU_DEP_4)
	v_cndmask_b32_e64 v3, v4, v3, s10
	v_and_b32_e32 v52, 0xff, v52
	s_delay_alu instid0(VALU_DEP_4) | instskip(NEXT) | instid1(VALU_DEP_2)
	v_and_or_b32 v53, 0xffff0000, v51, v53
	v_cmp_lt_u16_e64 s13, v52, v54
	s_delay_alu instid0(VALU_DEP_4) | instskip(SKIP_2) | instid1(VALU_DEP_3)
	v_lshrrev_b32_e32 v52, 8, v3
	v_perm_b32 v54, v3, v3, 0x7050604
	s_wait_alu 0xf1ff
	v_cndmask_b32_e64 v4, v51, v53, s13
	v_lshrrev_b32_e32 v51, 16, v3
	v_and_b32_e32 v52, 0xff, v52
	s_delay_alu instid0(VALU_DEP_3) | instskip(NEXT) | instid1(VALU_DEP_3)
	v_lshrrev_b32_e32 v53, 16, v4
	v_and_b32_e32 v51, 0xff, v51
	s_delay_alu instid0(VALU_DEP_2) | instskip(NEXT) | instid1(VALU_DEP_2)
	v_perm_b32 v55, 0, v53, 0xc0c0001
	v_cmp_lt_u16_e64 s14, v51, v52
	v_lshrrev_b32_e32 v52, 24, v4
	v_and_b32_e32 v53, 0xff, v53
	s_delay_alu instid0(VALU_DEP_4) | instskip(SKIP_2) | instid1(VALU_DEP_3)
	v_lshlrev_b32_e32 v51, 16, v55
	s_wait_alu 0xf1ff
	v_cndmask_b32_e64 v3, v3, v54, s14
	v_cmp_lt_u16_e64 s15, v52, v53
	s_delay_alu instid0(VALU_DEP_3) | instskip(NEXT) | instid1(VALU_DEP_3)
	v_and_or_b32 v51, 0xffff, v4, v51
	v_lshrrev_b32_e32 v54, 8, v3
	v_and_b32_e32 v56, 0xff, v3
	v_perm_b32 v55, v3, v3, 0x7060405
	s_wait_alu 0xf1ff
	v_cndmask_b32_e64 v4, v4, v51, s15
	v_and_b32_e32 v54, 0xff, v54
	s_delay_alu instid0(VALU_DEP_2) | instskip(NEXT) | instid1(VALU_DEP_2)
	v_lshrrev_b32_e32 v51, 16, v4
	v_cmp_lt_u16_e64 s16, v54, v56
	v_lshrrev_b32_e32 v52, 8, v4
	v_perm_b32 v54, v4, v4, 0x7050604
	s_delay_alu instid0(VALU_DEP_4) | instskip(SKIP_3) | instid1(VALU_DEP_2)
	v_and_b32_e32 v51, 0xff, v51
	s_wait_alu 0xf1ff
	v_cndmask_b32_e64 v3, v3, v55, s16
	v_and_b32_e32 v52, 0xff, v52
	v_lshrrev_b32_e32 v53, 16, v3
	v_lshrrev_b32_e32 v55, 24, v3
	s_delay_alu instid0(VALU_DEP_3) | instskip(SKIP_1) | instid1(VALU_DEP_4)
	v_cmp_lt_u16_e64 s18, v51, v52
	v_perm_b32 v56, v3, v3, 0x6070504
	v_and_b32_e32 v53, 0xff, v53
	s_wait_alu 0xf1ff
	s_delay_alu instid0(VALU_DEP_3) | instskip(NEXT) | instid1(VALU_DEP_2)
	v_cndmask_b32_e64 v4, v4, v54, s18
	v_cmp_lt_u16_e64 s19, v55, v53
	s_delay_alu instid0(VALU_DEP_2) | instskip(SKIP_2) | instid1(VALU_DEP_3)
	v_lshrrev_b32_e32 v51, 16, v4
	v_lshrrev_b32_e32 v53, 24, v4
	s_wait_alu 0xf1ff
	v_cndmask_b32_e64 v3, v3, v56, s19
	s_delay_alu instid0(VALU_DEP_3) | instskip(NEXT) | instid1(VALU_DEP_2)
	v_and_b32_e32 v51, 0xff, v51
	v_lshlrev_b16 v52, 8, v3
	s_delay_alu instid0(VALU_DEP_1) | instskip(SKIP_1) | instid1(VALU_DEP_2)
	v_or_b32_e32 v51, v51, v52
	v_and_b32_e32 v52, 0xff, v3
	v_lshlrev_b32_e32 v51, 16, v51
	s_delay_alu instid0(VALU_DEP_2) | instskip(NEXT) | instid1(VALU_DEP_2)
	v_cmp_lt_u16_e64 s17, v52, v53
	v_and_or_b32 v51, 0xffff, v4, v51
	s_wait_alu 0xf1ff
	s_delay_alu instid0(VALU_DEP_1) | instskip(SKIP_1) | instid1(VALU_DEP_2)
	v_cndmask_b32_e64 v51, v4, v51, s17
	v_perm_b32 v4, v4, v3, 0x3020107
	v_lshrrev_b32_e32 v52, 8, v51
	v_perm_b32 v53, 0, v51, 0xc0c0001
	v_and_b32_e32 v54, 0xff, v51
	s_delay_alu instid0(VALU_DEP_4) | instskip(NEXT) | instid1(VALU_DEP_4)
	v_cndmask_b32_e64 v3, v3, v4, s17
	v_and_b32_e32 v52, 0xff, v52
	s_delay_alu instid0(VALU_DEP_4) | instskip(NEXT) | instid1(VALU_DEP_2)
	v_and_or_b32 v53, 0xffff0000, v51, v53
	v_cmp_lt_u16_e64 s20, v52, v54
	s_delay_alu instid0(VALU_DEP_4) | instskip(SKIP_2) | instid1(VALU_DEP_3)
	v_lshrrev_b32_e32 v52, 8, v3
	v_perm_b32 v54, v3, v3, 0x7050604
	s_wait_alu 0xf1ff
	v_cndmask_b32_e64 v4, v51, v53, s20
	v_lshrrev_b32_e32 v51, 16, v3
	v_and_b32_e32 v52, 0xff, v52
	s_delay_alu instid0(VALU_DEP_3) | instskip(NEXT) | instid1(VALU_DEP_3)
	v_lshrrev_b32_e32 v53, 16, v4
	v_and_b32_e32 v51, 0xff, v51
	s_delay_alu instid0(VALU_DEP_2) | instskip(NEXT) | instid1(VALU_DEP_2)
	v_perm_b32 v55, 0, v53, 0xc0c0001
	v_cmp_lt_u16_e64 s22, v51, v52
	v_lshrrev_b32_e32 v52, 24, v4
	v_and_b32_e32 v53, 0xff, v53
	s_delay_alu instid0(VALU_DEP_4) | instskip(SKIP_2) | instid1(VALU_DEP_3)
	v_lshlrev_b32_e32 v51, 16, v55
	s_wait_alu 0xf1ff
	v_cndmask_b32_e64 v3, v3, v54, s22
	v_cmp_lt_u16_e64 s23, v52, v53
	s_delay_alu instid0(VALU_DEP_3) | instskip(NEXT) | instid1(VALU_DEP_3)
	v_and_or_b32 v51, 0xffff, v4, v51
	v_lshrrev_b32_e32 v54, 8, v3
	v_and_b32_e32 v56, 0xff, v3
	v_perm_b32 v55, v3, v3, 0x7060405
	s_wait_alu 0xf1ff
	v_cndmask_b32_e64 v4, v4, v51, s23
	v_and_b32_e32 v54, 0xff, v54
	s_delay_alu instid0(VALU_DEP_2) | instskip(NEXT) | instid1(VALU_DEP_2)
	v_lshrrev_b32_e32 v51, 16, v4
	v_cmp_lt_u16_e64 s25, v54, v56
	v_lshrrev_b32_e32 v52, 8, v4
	v_perm_b32 v54, v4, v4, 0x7050604
	s_delay_alu instid0(VALU_DEP_4) | instskip(SKIP_3) | instid1(VALU_DEP_2)
	v_and_b32_e32 v51, 0xff, v51
	s_wait_alu 0xf1ff
	v_cndmask_b32_e64 v3, v3, v55, s25
	v_and_b32_e32 v52, 0xff, v52
	v_lshrrev_b32_e32 v53, 16, v3
	v_lshrrev_b32_e32 v55, 24, v3
	s_delay_alu instid0(VALU_DEP_3) | instskip(SKIP_1) | instid1(VALU_DEP_4)
	v_cmp_lt_u16_e64 s28, v51, v52
	v_perm_b32 v56, v3, v3, 0x6070504
	v_and_b32_e32 v53, 0xff, v53
	s_wait_alu 0xf1ff
	s_delay_alu instid0(VALU_DEP_3) | instskip(NEXT) | instid1(VALU_DEP_2)
	v_cndmask_b32_e64 v4, v4, v54, s28
	v_cmp_lt_u16_e64 s29, v55, v53
	s_delay_alu instid0(VALU_DEP_2) | instskip(SKIP_2) | instid1(VALU_DEP_3)
	v_lshrrev_b32_e32 v51, 16, v4
	v_lshrrev_b32_e32 v53, 24, v4
	s_wait_alu 0xf1ff
	v_cndmask_b32_e64 v3, v3, v56, s29
	s_delay_alu instid0(VALU_DEP_3) | instskip(NEXT) | instid1(VALU_DEP_2)
	v_and_b32_e32 v51, 0xff, v51
	v_lshlrev_b16 v52, 8, v3
	s_delay_alu instid0(VALU_DEP_1) | instskip(SKIP_1) | instid1(VALU_DEP_2)
	v_or_b32_e32 v51, v51, v52
	v_and_b32_e32 v52, 0xff, v3
	v_lshlrev_b32_e32 v51, 16, v51
	s_delay_alu instid0(VALU_DEP_2) | instskip(NEXT) | instid1(VALU_DEP_2)
	v_cmp_lt_u16_e64 s26, v52, v53
	v_and_or_b32 v51, 0xffff, v4, v51
	s_wait_alu 0xf1ff
	s_delay_alu instid0(VALU_DEP_1) | instskip(SKIP_1) | instid1(VALU_DEP_2)
	v_cndmask_b32_e64 v51, v4, v51, s26
	v_perm_b32 v4, v4, v3, 0x3020107
	v_lshrrev_b32_e32 v52, 8, v51
	v_perm_b32 v53, 0, v51, 0xc0c0001
	v_and_b32_e32 v54, 0xff, v51
	s_delay_alu instid0(VALU_DEP_4) | instskip(NEXT) | instid1(VALU_DEP_4)
	v_cndmask_b32_e64 v3, v3, v4, s26
	v_and_b32_e32 v52, 0xff, v52
	s_delay_alu instid0(VALU_DEP_4) | instskip(NEXT) | instid1(VALU_DEP_2)
	v_and_or_b32 v53, 0xffff0000, v51, v53
	v_cmp_lt_u16_e64 s34, v52, v54
	s_delay_alu instid0(VALU_DEP_4) | instskip(SKIP_2) | instid1(VALU_DEP_3)
	v_lshrrev_b32_e32 v52, 8, v3
	v_perm_b32 v54, v3, v3, 0x7050604
	s_wait_alu 0xf1ff
	v_cndmask_b32_e64 v4, v51, v53, s34
	v_lshrrev_b32_e32 v51, 16, v3
	v_and_b32_e32 v52, 0xff, v52
	s_delay_alu instid0(VALU_DEP_3) | instskip(NEXT) | instid1(VALU_DEP_3)
	v_lshrrev_b32_e32 v53, 16, v4
	v_and_b32_e32 v51, 0xff, v51
	s_delay_alu instid0(VALU_DEP_2) | instskip(NEXT) | instid1(VALU_DEP_2)
	v_perm_b32 v55, 0, v53, 0xc0c0001
	v_cmp_lt_u16_e64 s33, v51, v52
	v_lshrrev_b32_e32 v52, 24, v4
	v_and_b32_e32 v53, 0xff, v53
	s_delay_alu instid0(VALU_DEP_4) | instskip(SKIP_2) | instid1(VALU_DEP_3)
	v_lshlrev_b32_e32 v51, 16, v55
	s_wait_alu 0xf1ff
	v_cndmask_b32_e64 v3, v3, v54, s33
	v_cmp_lt_u16_e64 s35, v52, v53
	s_delay_alu instid0(VALU_DEP_3) | instskip(NEXT) | instid1(VALU_DEP_3)
	v_and_or_b32 v51, 0xffff, v4, v51
	v_lshrrev_b32_e32 v54, 8, v3
	v_and_b32_e32 v56, 0xff, v3
	v_perm_b32 v55, v3, v3, 0x7060405
	s_wait_alu 0xf1ff
	v_cndmask_b32_e64 v4, v4, v51, s35
	v_and_b32_e32 v54, 0xff, v54
	s_delay_alu instid0(VALU_DEP_2) | instskip(NEXT) | instid1(VALU_DEP_2)
	v_lshrrev_b32_e32 v51, 16, v4
	v_cmp_lt_u16_e64 s27, v54, v56
	v_lshrrev_b32_e32 v52, 8, v4
	v_perm_b32 v54, v4, v4, 0x7050604
	s_delay_alu instid0(VALU_DEP_4) | instskip(SKIP_3) | instid1(VALU_DEP_2)
	v_and_b32_e32 v51, 0xff, v51
	s_wait_alu 0xf1ff
	v_cndmask_b32_e64 v3, v3, v55, s27
	v_and_b32_e32 v52, 0xff, v52
	v_lshrrev_b32_e32 v53, 16, v3
	v_lshrrev_b32_e32 v55, 24, v3
	s_delay_alu instid0(VALU_DEP_3) | instskip(SKIP_1) | instid1(VALU_DEP_4)
	v_cmp_lt_u16_e64 s31, v51, v52
	v_perm_b32 v56, v3, v3, 0x6070504
	v_and_b32_e32 v53, 0xff, v53
	s_wait_alu 0xf1ff
	s_delay_alu instid0(VALU_DEP_3) | instskip(NEXT) | instid1(VALU_DEP_2)
	v_cndmask_b32_e64 v4, v4, v54, s31
	v_cmp_lt_u16_e64 s30, v55, v53
	s_delay_alu instid0(VALU_DEP_2) | instskip(SKIP_1) | instid1(VALU_DEP_2)
	v_lshrrev_b32_e32 v53, 24, v4
	s_wait_alu 0xf1ff
	v_cndmask_b32_e64 v51, v3, v56, s30
	v_lshrrev_b32_e32 v3, 16, v4
	s_delay_alu instid0(VALU_DEP_2) | instskip(NEXT) | instid1(VALU_DEP_2)
	v_lshlrev_b16 v52, 8, v51
	v_and_b32_e32 v3, 0xff, v3
	v_perm_b32 v54, v4, v51, 0x3020107
	s_delay_alu instid0(VALU_DEP_2) | instskip(SKIP_1) | instid1(VALU_DEP_2)
	v_or_b32_e32 v3, v3, v52
	v_and_b32_e32 v52, 0xff, v51
	v_lshlrev_b32_e32 v3, 16, v3
	s_delay_alu instid0(VALU_DEP_2) | instskip(NEXT) | instid1(VALU_DEP_2)
	v_cmp_lt_u16_e64 s21, v52, v53
	v_and_or_b32 v3, 0xffff, v4, v3
	s_wait_alu 0xf1ff
	s_delay_alu instid0(VALU_DEP_1) | instskip(SKIP_1) | instid1(VALU_DEP_1)
	v_cndmask_b32_e64 v3, v4, v3, s21
	v_cndmask_b32_e64 v4, v51, v54, s21
	v_lshrrev_b32_e32 v51, 16, v4
	v_lshrrev_b32_e32 v52, 8, v4
	v_perm_b32 v53, v4, v4, 0x7050604
	s_delay_alu instid0(VALU_DEP_3) | instskip(NEXT) | instid1(VALU_DEP_3)
	v_and_b32_e32 v51, 0xff, v51
	v_and_b32_e32 v52, 0xff, v52
	s_delay_alu instid0(VALU_DEP_1) | instskip(SKIP_2) | instid1(VALU_DEP_2)
	v_cmp_lt_u16_e64 s24, v51, v52
	v_mov_b32_e32 v51, v44
	s_wait_alu 0xf1ff
	v_cndmask_b32_e64 v4, v4, v53, s24
	ds_store_b64 v5, v[3:4]
	s_wait_loadcnt_dscnt 0x0
	s_barrier_signal -1
	s_barrier_wait -1
	global_inv scope:SCOPE_SE
	s_and_saveexec_b32 s37, s0
	s_cbranch_execz .LBB109_6
; %bb.3:                                ;   in Loop: Header=BB109_2 Depth=1
	v_mov_b32_e32 v51, v44
	v_mov_b32_e32 v3, v37
	s_mov_b32 s38, 0
.LBB109_4:                              ;   Parent Loop BB109_2 Depth=1
                                        ; =>  This Inner Loop Header: Depth=2
	s_delay_alu instid0(VALU_DEP_1) | instskip(NEXT) | instid1(VALU_DEP_1)
	v_sub_nc_u32_e32 v4, v3, v51
	v_lshrrev_b32_e32 v4, 1, v4
	s_delay_alu instid0(VALU_DEP_1) | instskip(NEXT) | instid1(VALU_DEP_1)
	v_add_nc_u32_e32 v4, v4, v51
	v_add_nc_u32_e32 v52, v6, v4
	v_xad_u32 v53, v4, -1, v30
	v_add_nc_u32_e32 v54, 1, v4
	ds_load_u8 v52, v52
	ds_load_u8 v53, v53
	s_wait_dscnt 0x0
	v_cmp_lt_u16_e64 s36, v53, v52
	s_wait_alu 0xf1ff
	s_delay_alu instid0(VALU_DEP_1) | instskip(SKIP_1) | instid1(VALU_DEP_1)
	v_cndmask_b32_e64 v3, v3, v4, s36
	v_cndmask_b32_e64 v51, v54, v51, s36
	v_cmp_ge_i32_e64 s36, v51, v3
	s_wait_alu 0xfffe
	s_or_b32 s38, s36, s38
	s_wait_alu 0xfffe
	s_and_not1_b32 exec_lo, exec_lo, s38
	s_cbranch_execnz .LBB109_4
; %bb.5:                                ;   in Loop: Header=BB109_2 Depth=1
	s_or_b32 exec_lo, exec_lo, s38
.LBB109_6:                              ;   in Loop: Header=BB109_2 Depth=1
	s_wait_alu 0xfffe
	s_or_b32 exec_lo, exec_lo, s37
	v_lshrrev_b64 v[3:4], 24, v[1:2]
	v_add_nc_u32_e32 v4, v51, v6
	v_sub_nc_u32_e32 v51, v30, v51
	v_lshrrev_b32_e32 v62, 8, v2
	v_lshrrev_b32_e32 v63, 16, v2
	;; [unrolled: 1-line block ×3, first 2 shown]
	ds_load_u8 v52, v4
	ds_load_u8 v53, v51
	v_cmp_le_i32_e64 s36, v16, v4
	v_cmp_gt_i32_e64 s38, v17, v51
	v_lshrrev_b32_e32 v65, 16, v1
	v_lshrrev_b32_e32 v67, 8, v1
	s_wait_dscnt 0x1
	v_and_b32_e32 v54, 0xff, v52
	s_wait_dscnt 0x0
	v_and_b32_e32 v55, 0xff, v53
	s_delay_alu instid0(VALU_DEP_1)
	v_cmp_lt_u16_e64 s37, v55, v54
                                        ; implicit-def: $vgpr54
	s_or_b32 s36, s36, s37
	s_wait_alu 0xfffe
	s_and_b32 s36, s38, s36
	s_wait_alu 0xfffe
	s_xor_b32 s37, s36, -1
	s_wait_alu 0xfffe
	s_and_saveexec_b32 s38, s37
	s_wait_alu 0xfffe
	s_xor_b32 s37, exec_lo, s38
; %bb.7:                                ;   in Loop: Header=BB109_2 Depth=1
	ds_load_u8 v54, v4 offset:1
; %bb.8:                                ;   in Loop: Header=BB109_2 Depth=1
	s_wait_alu 0xfffe
	s_or_saveexec_b32 s37, s37
	v_mov_b32_e32 v55, v53
	s_wait_alu 0xfffe
	s_xor_b32 exec_lo, exec_lo, s37
	s_cbranch_execz .LBB109_10
; %bb.9:                                ;   in Loop: Header=BB109_2 Depth=1
	ds_load_u8 v55, v51 offset:1
	s_wait_dscnt 0x1
	v_mov_b32_e32 v54, v52
.LBB109_10:                             ;   in Loop: Header=BB109_2 Depth=1
	s_or_b32 exec_lo, exec_lo, s37
	v_add_nc_u32_e32 v56, 1, v4
	v_add_nc_u32_e32 v57, 1, v51
	s_wait_dscnt 0x0
	v_and_b32_e32 v58, 0xff, v54
	v_and_b32_e32 v59, 0xff, v55
	v_cndmask_b32_e64 v56, v56, v4, s36
	v_cndmask_b32_e64 v57, v51, v57, s36
	s_delay_alu instid0(VALU_DEP_3) | instskip(NEXT) | instid1(VALU_DEP_3)
	v_cmp_lt_u16_e64 s38, v59, v58
                                        ; implicit-def: $vgpr58
	v_cmp_ge_i32_e64 s37, v56, v16
	s_delay_alu instid0(VALU_DEP_3)
	v_cmp_lt_i32_e64 s39, v57, v17
	s_or_b32 s37, s37, s38
	s_wait_alu 0xfffe
	s_and_b32 s37, s39, s37
	s_wait_alu 0xfffe
	s_xor_b32 s38, s37, -1
	s_wait_alu 0xfffe
	s_and_saveexec_b32 s39, s38
	s_wait_alu 0xfffe
	s_xor_b32 s38, exec_lo, s39
; %bb.11:                               ;   in Loop: Header=BB109_2 Depth=1
	ds_load_u8 v58, v56 offset:1
; %bb.12:                               ;   in Loop: Header=BB109_2 Depth=1
	s_wait_alu 0xfffe
	s_or_saveexec_b32 s38, s38
	v_mov_b32_e32 v59, v55
	s_wait_alu 0xfffe
	s_xor_b32 exec_lo, exec_lo, s38
	s_cbranch_execz .LBB109_14
; %bb.13:                               ;   in Loop: Header=BB109_2 Depth=1
	ds_load_u8 v59, v57 offset:1
	s_wait_dscnt 0x1
	v_mov_b32_e32 v58, v54
.LBB109_14:                             ;   in Loop: Header=BB109_2 Depth=1
	s_or_b32 exec_lo, exec_lo, s38
	v_add_nc_u32_e32 v60, 1, v56
	v_add_nc_u32_e32 v61, 1, v57
	s_wait_dscnt 0x0
	v_and_b32_e32 v66, 0xff, v58
	v_and_b32_e32 v68, 0xff, v59
	v_cndmask_b32_e64 v60, v60, v56, s37
	v_cndmask_b32_e64 v61, v57, v61, s37
	s_delay_alu instid0(VALU_DEP_3) | instskip(NEXT) | instid1(VALU_DEP_3)
	v_cmp_lt_u16_e64 s39, v68, v66
                                        ; implicit-def: $vgpr66
	v_cmp_ge_i32_e64 s38, v60, v16
	s_delay_alu instid0(VALU_DEP_3)
	v_cmp_lt_i32_e64 s40, v61, v17
	s_or_b32 s38, s38, s39
	s_wait_alu 0xfffe
	s_and_b32 s38, s40, s38
	s_wait_alu 0xfffe
	s_xor_b32 s39, s38, -1
	s_wait_alu 0xfffe
	s_and_saveexec_b32 s40, s39
	s_wait_alu 0xfffe
	s_xor_b32 s39, exec_lo, s40
; %bb.15:                               ;   in Loop: Header=BB109_2 Depth=1
	ds_load_u8 v66, v60 offset:1
; %bb.16:                               ;   in Loop: Header=BB109_2 Depth=1
	s_wait_alu 0xfffe
	s_or_saveexec_b32 s39, s39
	v_mov_b32_e32 v68, v59
	s_wait_alu 0xfffe
	s_xor_b32 exec_lo, exec_lo, s39
	s_cbranch_execz .LBB109_18
; %bb.17:                               ;   in Loop: Header=BB109_2 Depth=1
	ds_load_u8 v68, v61 offset:1
	s_wait_dscnt 0x1
	v_mov_b32_e32 v66, v58
.LBB109_18:                             ;   in Loop: Header=BB109_2 Depth=1
	s_or_b32 exec_lo, exec_lo, s39
	v_add_nc_u32_e32 v69, 1, v60
	v_add_nc_u32_e32 v70, 1, v61
	s_wait_dscnt 0x0
	v_and_b32_e32 v71, 0xff, v66
	v_and_b32_e32 v72, 0xff, v68
	v_cndmask_b32_e64 v69, v69, v60, s38
	v_cndmask_b32_e64 v70, v61, v70, s38
	s_delay_alu instid0(VALU_DEP_3) | instskip(NEXT) | instid1(VALU_DEP_3)
	v_cmp_lt_u16_e64 s40, v72, v71
                                        ; implicit-def: $vgpr71
	v_cmp_ge_i32_e64 s39, v69, v16
	s_delay_alu instid0(VALU_DEP_3)
	v_cmp_lt_i32_e64 s41, v70, v17
	s_or_b32 s39, s39, s40
	s_wait_alu 0xfffe
	s_and_b32 s39, s41, s39
	s_wait_alu 0xfffe
	s_xor_b32 s40, s39, -1
	s_wait_alu 0xfffe
	s_and_saveexec_b32 s41, s40
	s_wait_alu 0xfffe
	s_xor_b32 s40, exec_lo, s41
; %bb.19:                               ;   in Loop: Header=BB109_2 Depth=1
	ds_load_u8 v71, v69 offset:1
; %bb.20:                               ;   in Loop: Header=BB109_2 Depth=1
	s_wait_alu 0xfffe
	s_or_saveexec_b32 s40, s40
	v_mov_b32_e32 v72, v68
	s_wait_alu 0xfffe
	s_xor_b32 exec_lo, exec_lo, s40
	s_cbranch_execz .LBB109_22
; %bb.21:                               ;   in Loop: Header=BB109_2 Depth=1
	ds_load_u8 v72, v70 offset:1
	s_wait_dscnt 0x1
	v_mov_b32_e32 v71, v66
.LBB109_22:                             ;   in Loop: Header=BB109_2 Depth=1
	s_or_b32 exec_lo, exec_lo, s40
	v_add_nc_u32_e32 v73, 1, v69
	v_add_nc_u32_e32 v74, 1, v70
	s_wait_dscnt 0x0
	v_and_b32_e32 v75, 0xff, v71
	v_and_b32_e32 v76, 0xff, v72
	v_cndmask_b32_e64 v73, v73, v69, s39
	v_cndmask_b32_e64 v74, v70, v74, s39
	s_delay_alu instid0(VALU_DEP_3) | instskip(NEXT) | instid1(VALU_DEP_3)
	v_cmp_lt_u16_e64 s41, v76, v75
                                        ; implicit-def: $vgpr76
	v_cmp_ge_i32_e64 s40, v73, v16
	s_delay_alu instid0(VALU_DEP_3)
	v_cmp_lt_i32_e64 s42, v74, v17
	s_or_b32 s40, s40, s41
	s_wait_alu 0xfffe
	s_and_b32 s40, s42, s40
	s_wait_alu 0xfffe
	s_xor_b32 s41, s40, -1
	s_wait_alu 0xfffe
	s_and_saveexec_b32 s42, s41
	s_wait_alu 0xfffe
	s_xor_b32 s41, exec_lo, s42
; %bb.23:                               ;   in Loop: Header=BB109_2 Depth=1
	ds_load_u8 v76, v73 offset:1
; %bb.24:                               ;   in Loop: Header=BB109_2 Depth=1
	s_wait_alu 0xfffe
	s_or_saveexec_b32 s41, s41
	v_mov_b32_e32 v78, v72
	s_wait_alu 0xfffe
	s_xor_b32 exec_lo, exec_lo, s41
	s_cbranch_execz .LBB109_26
; %bb.25:                               ;   in Loop: Header=BB109_2 Depth=1
	ds_load_u8 v78, v74 offset:1
	s_wait_dscnt 0x1
	v_mov_b32_e32 v76, v71
.LBB109_26:                             ;   in Loop: Header=BB109_2 Depth=1
	s_or_b32 exec_lo, exec_lo, s41
	v_add_nc_u32_e32 v75, 1, v73
	v_add_nc_u32_e32 v77, 1, v74
	s_wait_dscnt 0x0
	v_and_b32_e32 v79, 0xff, v76
                                        ; implicit-def: $vgpr83
	s_delay_alu instid0(VALU_DEP_3) | instskip(SKIP_2) | instid1(VALU_DEP_3)
	v_cndmask_b32_e64 v81, v75, v73, s40
	v_and_b32_e32 v75, 0xff, v78
	v_cndmask_b32_e64 v82, v74, v77, s40
	v_cmp_ge_i32_e64 s41, v81, v16
	s_delay_alu instid0(VALU_DEP_3) | instskip(NEXT) | instid1(VALU_DEP_3)
	v_cmp_lt_u16_e64 s42, v75, v79
	v_cmp_lt_i32_e64 s43, v82, v17
	s_or_b32 s41, s41, s42
	s_wait_alu 0xfffe
	s_and_b32 s42, s43, s41
	s_wait_alu 0xfffe
	s_xor_b32 s41, s42, -1
	s_wait_alu 0xfffe
	s_and_saveexec_b32 s43, s41
	s_wait_alu 0xfffe
	s_xor_b32 s41, exec_lo, s43
; %bb.27:                               ;   in Loop: Header=BB109_2 Depth=1
	ds_load_u8 v83, v81 offset:1
; %bb.28:                               ;   in Loop: Header=BB109_2 Depth=1
	s_wait_alu 0xfffe
	s_or_saveexec_b32 s41, s41
	v_mov_b32_e32 v84, v78
	s_wait_alu 0xfffe
	s_xor_b32 exec_lo, exec_lo, s41
	s_cbranch_execz .LBB109_30
; %bb.29:                               ;   in Loop: Header=BB109_2 Depth=1
	ds_load_u8 v84, v82 offset:1
	s_wait_dscnt 0x1
	v_mov_b32_e32 v83, v76
.LBB109_30:                             ;   in Loop: Header=BB109_2 Depth=1
	s_or_b32 exec_lo, exec_lo, s41
	v_add_nc_u32_e32 v75, 1, v81
	v_add_nc_u32_e32 v77, 1, v82
	s_wait_dscnt 0x0
	v_and_b32_e32 v85, 0xff, v83
	s_delay_alu instid0(VALU_DEP_3) | instskip(SKIP_2) | instid1(VALU_DEP_3)
	v_cndmask_b32_e64 v79, v75, v81, s42
	v_and_b32_e32 v75, 0xff, v84
	v_cndmask_b32_e64 v80, v82, v77, s42
	v_cmp_ge_i32_e64 s41, v79, v16
	s_delay_alu instid0(VALU_DEP_3) | instskip(NEXT) | instid1(VALU_DEP_3)
	v_cmp_lt_u16_e64 s43, v75, v85
	v_cmp_lt_i32_e64 s44, v80, v17
                                        ; implicit-def: $vgpr75
	s_or_b32 s41, s41, s43
	s_wait_alu 0xfffe
	s_and_b32 s41, s44, s41
	s_wait_alu 0xfffe
	s_xor_b32 s43, s41, -1
	s_wait_alu 0xfffe
	s_and_saveexec_b32 s44, s43
	s_delay_alu instid0(SALU_CYCLE_1)
	s_xor_b32 s43, exec_lo, s44
; %bb.31:                               ;   in Loop: Header=BB109_2 Depth=1
	ds_load_u8 v75, v79 offset:1
; %bb.32:                               ;   in Loop: Header=BB109_2 Depth=1
	s_wait_alu 0xfffe
	s_or_saveexec_b32 s43, s43
	v_mov_b32_e32 v77, v84
	s_wait_alu 0xfffe
	s_xor_b32 exec_lo, exec_lo, s43
	s_cbranch_execz .LBB109_34
; %bb.33:                               ;   in Loop: Header=BB109_2 Depth=1
	ds_load_u8 v77, v80 offset:1
	s_wait_dscnt 0x1
	v_mov_b32_e32 v75, v83
.LBB109_34:                             ;   in Loop: Header=BB109_2 Depth=1
	s_or_b32 exec_lo, exec_lo, s43
	v_perm_b32 v85, v67, v1, 0xc0c0004
	v_perm_b32 v1, v1, v67, 0xc0c0004
	;; [unrolled: 1-line block ×5, first 2 shown]
	v_cndmask_b32_e64 v66, v66, v68, s39
	v_cndmask_b32_e64 v1, v1, v85, s7
	v_perm_b32 v65, 0, v3, 0xc0c0001
	v_cndmask_b32_e64 v52, v52, v53, s36
	v_lshl_or_b32 v2, v62, 16, v2
	v_cndmask_b32_e64 v54, v54, v55, s37
	v_lshl_or_b32 v1, v3, 16, v1
	v_lshlrev_b32_e32 v3, 16, v65
	v_cndmask_b32_e64 v55, v56, v57, s37
	v_perm_b32 v62, v2, v2, 0x7060405
	v_add_nc_u32_e32 v64, 1, v79
	v_add_nc_u32_e32 v63, 1, v80
	v_and_or_b32 v3, 0xffff, v1, v3
	v_cndmask_b32_e64 v58, v58, v59, s38
	v_cndmask_b32_e64 v2, v2, v62, s9
	;; [unrolled: 1-line block ×6, first 2 shown]
	v_perm_b32 v62, v2, v2, 0x6070504
	v_cndmask_b32_e64 v76, v76, v78, s42
	v_cmp_ge_i32_e64 s8, v60, v16
	v_perm_b32 v3, v1, v1, 0x7050604
	v_cmp_lt_i32_e64 s9, v57, v17
	v_cndmask_b32_e64 v2, v2, v62, s12
	v_cndmask_b32_e64 v69, v69, v70, s39
	;; [unrolled: 1-line block ×5, first 2 shown]
	v_lshlrev_b16 v62, 8, v2
	s_wait_loadcnt_dscnt 0x0
	s_barrier_signal -1
	v_lshrrev_b32_e32 v3, 16, v1
	s_barrier_wait -1
	global_inv scope:SCOPE_SE
	v_and_b32_e32 v3, 0xff, v3
	s_delay_alu instid0(VALU_DEP_1) | instskip(NEXT) | instid1(VALU_DEP_1)
	v_or_b32_e32 v3, v3, v62
	v_lshlrev_b32_e32 v3, 16, v3
	s_delay_alu instid0(VALU_DEP_1) | instskip(NEXT) | instid1(VALU_DEP_1)
	v_and_or_b32 v3, 0xffff, v1, v3
	v_cndmask_b32_e64 v3, v1, v3, s10
	v_perm_b32 v1, v1, v2, 0x3020107
	s_delay_alu instid0(VALU_DEP_2) | instskip(NEXT) | instid1(VALU_DEP_2)
	v_perm_b32 v62, 0, v3, 0xc0c0001
	v_cndmask_b32_e64 v1, v2, v1, s10
	s_delay_alu instid0(VALU_DEP_2) | instskip(NEXT) | instid1(VALU_DEP_1)
	v_and_or_b32 v62, 0xffff0000, v3, v62
	v_cndmask_b32_e64 v3, v3, v62, s13
	s_delay_alu instid0(VALU_DEP_1) | instskip(NEXT) | instid1(VALU_DEP_1)
	v_lshrrev_b32_e32 v62, 16, v3
	v_perm_b32 v2, 0, v62, 0xc0c0001
	v_perm_b32 v62, v1, v1, 0x7050604
	s_delay_alu instid0(VALU_DEP_2) | instskip(NEXT) | instid1(VALU_DEP_2)
	v_lshlrev_b32_e32 v2, 16, v2
	v_cndmask_b32_e64 v1, v1, v62, s14
	s_delay_alu instid0(VALU_DEP_2) | instskip(NEXT) | instid1(VALU_DEP_2)
	v_and_or_b32 v2, 0xffff, v3, v2
	v_perm_b32 v62, v1, v1, 0x7060405
	s_delay_alu instid0(VALU_DEP_2) | instskip(NEXT) | instid1(VALU_DEP_2)
	v_cndmask_b32_e64 v2, v3, v2, s15
	v_cndmask_b32_e64 v1, v1, v62, s16
	s_delay_alu instid0(VALU_DEP_2) | instskip(NEXT) | instid1(VALU_DEP_2)
	v_perm_b32 v3, v2, v2, 0x7050604
	v_perm_b32 v62, v1, v1, 0x6070504
	s_delay_alu instid0(VALU_DEP_2) | instskip(NEXT) | instid1(VALU_DEP_2)
	v_cndmask_b32_e64 v2, v2, v3, s18
	v_cndmask_b32_e64 v1, v1, v62, s19
	s_delay_alu instid0(VALU_DEP_2) | instskip(NEXT) | instid1(VALU_DEP_2)
	v_lshrrev_b32_e32 v3, 16, v2
	v_lshlrev_b16 v62, 8, v1
	s_delay_alu instid0(VALU_DEP_2) | instskip(NEXT) | instid1(VALU_DEP_1)
	v_and_b32_e32 v3, 0xff, v3
	v_or_b32_e32 v3, v3, v62
	s_delay_alu instid0(VALU_DEP_1) | instskip(NEXT) | instid1(VALU_DEP_1)
	v_lshlrev_b32_e32 v3, 16, v3
	v_and_or_b32 v3, 0xffff, v2, v3
	s_delay_alu instid0(VALU_DEP_1) | instskip(SKIP_1) | instid1(VALU_DEP_2)
	v_cndmask_b32_e64 v3, v2, v3, s17
	v_perm_b32 v2, v2, v1, 0x3020107
	v_perm_b32 v62, 0, v3, 0xc0c0001
	s_delay_alu instid0(VALU_DEP_2) | instskip(NEXT) | instid1(VALU_DEP_2)
	v_cndmask_b32_e64 v1, v1, v2, s17
	v_and_or_b32 v62, 0xffff0000, v3, v62
	s_delay_alu instid0(VALU_DEP_1) | instskip(NEXT) | instid1(VALU_DEP_1)
	v_cndmask_b32_e64 v3, v3, v62, s20
	v_lshrrev_b32_e32 v62, 16, v3
	s_delay_alu instid0(VALU_DEP_1) | instskip(SKIP_1) | instid1(VALU_DEP_2)
	v_perm_b32 v2, 0, v62, 0xc0c0001
	v_perm_b32 v62, v1, v1, 0x7050604
	v_lshlrev_b32_e32 v2, 16, v2
	s_delay_alu instid0(VALU_DEP_2) | instskip(NEXT) | instid1(VALU_DEP_2)
	v_cndmask_b32_e64 v1, v1, v62, s22
	v_and_or_b32 v2, 0xffff, v3, v2
	s_delay_alu instid0(VALU_DEP_2) | instskip(NEXT) | instid1(VALU_DEP_2)
	v_perm_b32 v62, v1, v1, 0x7060405
	v_cndmask_b32_e64 v2, v3, v2, s23
	s_delay_alu instid0(VALU_DEP_2) | instskip(NEXT) | instid1(VALU_DEP_2)
	v_cndmask_b32_e64 v1, v1, v62, s25
	v_perm_b32 v3, v2, v2, 0x7050604
	s_delay_alu instid0(VALU_DEP_2) | instskip(NEXT) | instid1(VALU_DEP_2)
	v_perm_b32 v62, v1, v1, 0x6070504
	v_cndmask_b32_e64 v2, v2, v3, s28
	s_delay_alu instid0(VALU_DEP_2) | instskip(NEXT) | instid1(VALU_DEP_2)
	v_cndmask_b32_e64 v1, v1, v62, s29
	v_lshrrev_b32_e32 v3, 16, v2
	s_delay_alu instid0(VALU_DEP_2) | instskip(NEXT) | instid1(VALU_DEP_2)
	v_lshlrev_b16 v62, 8, v1
	v_and_b32_e32 v3, 0xff, v3
	s_delay_alu instid0(VALU_DEP_1) | instskip(NEXT) | instid1(VALU_DEP_1)
	v_or_b32_e32 v3, v3, v62
	v_lshlrev_b32_e32 v3, 16, v3
	s_delay_alu instid0(VALU_DEP_1) | instskip(NEXT) | instid1(VALU_DEP_1)
	v_and_or_b32 v3, 0xffff, v2, v3
	v_cndmask_b32_e64 v3, v2, v3, s26
	v_perm_b32 v2, v2, v1, 0x3020107
	s_delay_alu instid0(VALU_DEP_2) | instskip(NEXT) | instid1(VALU_DEP_2)
	v_perm_b32 v62, 0, v3, 0xc0c0001
	v_cndmask_b32_e64 v1, v1, v2, s26
	s_delay_alu instid0(VALU_DEP_2) | instskip(NEXT) | instid1(VALU_DEP_2)
	v_and_or_b32 v62, 0xffff0000, v3, v62
	v_perm_b32 v68, v1, v1, 0x7050604
	s_delay_alu instid0(VALU_DEP_2) | instskip(NEXT) | instid1(VALU_DEP_2)
	v_cndmask_b32_e64 v3, v3, v62, s34
	v_cndmask_b32_e64 v1, v1, v68, s33
	;; [unrolled: 1-line block ×3, first 2 shown]
	s_delay_alu instid0(VALU_DEP_3) | instskip(NEXT) | instid1(VALU_DEP_3)
	v_lshrrev_b32_e32 v65, 16, v3
	v_perm_b32 v53, v1, v1, 0x7060405
	s_delay_alu instid0(VALU_DEP_3) | instskip(NEXT) | instid1(VALU_DEP_3)
	v_and_b32_e32 v62, 0xff, v62
	v_perm_b32 v2, 0, v65, 0xc0c0001
	s_delay_alu instid0(VALU_DEP_3) | instskip(SKIP_2) | instid1(VALU_DEP_4)
	v_cndmask_b32_e64 v1, v1, v53, s27
	v_cndmask_b32_e64 v65, v71, v72, s40
	;; [unrolled: 1-line block ×3, first 2 shown]
	v_lshlrev_b32_e32 v2, 16, v2
	s_delay_alu instid0(VALU_DEP_4) | instskip(NEXT) | instid1(VALU_DEP_2)
	v_perm_b32 v56, v1, v1, 0x6070504
	v_and_or_b32 v2, 0xffff, v3, v2
	s_delay_alu instid0(VALU_DEP_2) | instskip(SKIP_1) | instid1(VALU_DEP_3)
	v_cndmask_b32_e64 v1, v1, v56, s30
	v_and_b32_e32 v56, 0xff, v58
	v_cndmask_b32_e64 v2, v3, v2, s35
	v_cndmask_b32_e64 v3, v4, v51, s36
	v_and_b32_e32 v4, 0xff, v75
	v_and_b32_e32 v51, 0xff, v77
	s_delay_alu instid0(VALU_DEP_4) | instskip(NEXT) | instid1(VALU_DEP_2)
	v_perm_b32 v53, v2, v2, 0x7050604
	v_cmp_lt_u16_e64 s7, v51, v4
	v_and_b32_e32 v51, 0xff, v52
	s_delay_alu instid0(VALU_DEP_3)
	v_cndmask_b32_e64 v53, v2, v53, s31
	v_lshlrev_b16 v52, 8, v1
	v_lshlrev_b16 v4, 8, v54
	s_or_b32 s7, s8, s7
	v_lshlrev_b16 v54, 8, v66
	v_lshrrev_b32_e32 v2, 16, v53
	v_perm_b32 v58, v53, v1, 0x3020107
	s_wait_alu 0xfffe
	s_and_b32 s7, s9, s7
	s_wait_alu 0xfffe
	v_cndmask_b32_e64 v61, v75, v77, s7
	v_and_b32_e32 v2, 0xff, v2
	v_cndmask_b32_e64 v1, v1, v58, s21
	v_and_b32_e32 v58, 0xff, v65
	v_or_b32_e32 v65, v51, v4
	v_lshlrev_b16 v4, 8, v61
	v_or_b32_e32 v2, v2, v52
	v_perm_b32 v63, v1, v1, 0x7050604
	v_lshlrev_b16 v52, 8, v76
	v_cndmask_b32_e64 v51, v60, v57, s7
	v_or_b32_e32 v56, v56, v54
	v_lshlrev_b32_e32 v2, 16, v2
	v_or_b32_e32 v57, v62, v4
	v_or_b32_e32 v58, v58, v52
	s_delay_alu instid0(VALU_DEP_4) | instskip(NEXT) | instid1(VALU_DEP_4)
	v_lshlrev_b32_e32 v56, 16, v56
	v_and_or_b32 v64, 0xffff, v53, v2
	v_cndmask_b32_e64 v2, v1, v63, s24
	s_delay_alu instid0(VALU_DEP_4) | instskip(SKIP_1) | instid1(VALU_DEP_4)
	v_and_b32_e32 v58, 0xffff, v58
	v_lshlrev_b32_e32 v57, 16, v57
	v_cndmask_b32_e64 v1, v53, v64, s21
	ds_store_b64 v5, v[1:2]
	s_wait_loadcnt_dscnt 0x0
	s_barrier_signal -1
	s_barrier_wait -1
	global_inv scope:SCOPE_SE
	ds_load_u8 v1, v3
	ds_load_u8 v51, v51
	;; [unrolled: 1-line block ×8, first 2 shown]
	v_and_b32_e32 v55, 0xffff, v65
	s_wait_loadcnt_dscnt 0x0
	s_barrier_signal -1
	s_barrier_wait -1
	global_inv scope:SCOPE_SE
	v_or_b32_e32 v55, v55, v56
	v_or_b32_e32 v56, v58, v57
	ds_store_b64 v5, v[55:56]
	v_mov_b32_e32 v56, v45
	s_wait_loadcnt_dscnt 0x0
	s_barrier_signal -1
	s_barrier_wait -1
	global_inv scope:SCOPE_SE
	s_and_saveexec_b32 s8, s1
	s_cbranch_execz .LBB109_38
; %bb.35:                               ;   in Loop: Header=BB109_2 Depth=1
	v_dual_mov_b32 v56, v45 :: v_dual_mov_b32 v55, v38
	s_mov_b32 s9, 0
.LBB109_36:                             ;   Parent Loop BB109_2 Depth=1
                                        ; =>  This Inner Loop Header: Depth=2
	s_delay_alu instid0(VALU_DEP_1) | instskip(NEXT) | instid1(VALU_DEP_1)
	v_sub_nc_u32_e32 v57, v55, v56
	v_lshrrev_b32_e32 v57, 1, v57
	s_delay_alu instid0(VALU_DEP_1) | instskip(NEXT) | instid1(VALU_DEP_1)
	v_add_nc_u32_e32 v57, v57, v56
	v_add_nc_u32_e32 v58, v7, v57
	v_xad_u32 v59, v57, -1, v31
	v_add_nc_u32_e32 v60, 1, v57
	ds_load_u8 v58, v58
	ds_load_u8 v59, v59
	s_wait_dscnt 0x0
	v_cmp_lt_u16_e64 s7, v59, v58
	s_wait_alu 0xf1ff
	s_delay_alu instid0(VALU_DEP_1) | instskip(SKIP_1) | instid1(VALU_DEP_1)
	v_cndmask_b32_e64 v55, v55, v57, s7
	v_cndmask_b32_e64 v56, v60, v56, s7
	v_cmp_ge_i32_e64 s7, v56, v55
	s_wait_alu 0xfffe
	s_or_b32 s9, s7, s9
	s_wait_alu 0xfffe
	s_and_not1_b32 exec_lo, exec_lo, s9
	s_cbranch_execnz .LBB109_36
; %bb.37:                               ;   in Loop: Header=BB109_2 Depth=1
	s_or_b32 exec_lo, exec_lo, s9
.LBB109_38:                             ;   in Loop: Header=BB109_2 Depth=1
	s_wait_alu 0xfffe
	s_or_b32 exec_lo, exec_lo, s8
	v_add_nc_u32_e32 v55, v56, v7
	v_sub_nc_u32_e32 v56, v31, v56
	ds_load_u8 v57, v55
	ds_load_u8 v58, v56
	v_cmp_le_i32_e64 s7, v18, v55
	v_cmp_gt_i32_e64 s9, v19, v56
	s_wait_dscnt 0x1
	v_and_b32_e32 v59, 0xff, v57
	s_wait_dscnt 0x0
	v_and_b32_e32 v60, 0xff, v58
	s_delay_alu instid0(VALU_DEP_1)
	v_cmp_lt_u16_e64 s8, v60, v59
                                        ; implicit-def: $vgpr59
	s_or_b32 s7, s7, s8
	s_wait_alu 0xfffe
	s_and_b32 s7, s9, s7
	s_wait_alu 0xfffe
	s_xor_b32 s8, s7, -1
	s_wait_alu 0xfffe
	s_and_saveexec_b32 s9, s8
	s_wait_alu 0xfffe
	s_xor_b32 s8, exec_lo, s9
; %bb.39:                               ;   in Loop: Header=BB109_2 Depth=1
	ds_load_u8 v59, v55 offset:1
; %bb.40:                               ;   in Loop: Header=BB109_2 Depth=1
	s_wait_alu 0xfffe
	s_or_saveexec_b32 s8, s8
	v_mov_b32_e32 v60, v58
	s_wait_alu 0xfffe
	s_xor_b32 exec_lo, exec_lo, s8
	s_cbranch_execz .LBB109_42
; %bb.41:                               ;   in Loop: Header=BB109_2 Depth=1
	ds_load_u8 v60, v56 offset:1
	s_wait_dscnt 0x1
	v_mov_b32_e32 v59, v57
.LBB109_42:                             ;   in Loop: Header=BB109_2 Depth=1
	s_or_b32 exec_lo, exec_lo, s8
	v_add_nc_u32_e32 v61, 1, v55
	v_add_nc_u32_e32 v62, 1, v56
	s_wait_dscnt 0x0
	v_and_b32_e32 v63, 0xff, v59
	v_and_b32_e32 v64, 0xff, v60
	v_cndmask_b32_e64 v61, v61, v55, s7
	v_cndmask_b32_e64 v62, v56, v62, s7
	s_delay_alu instid0(VALU_DEP_3) | instskip(NEXT) | instid1(VALU_DEP_3)
	v_cmp_lt_u16_e64 s9, v64, v63
                                        ; implicit-def: $vgpr63
	v_cmp_ge_i32_e64 s8, v61, v18
	s_delay_alu instid0(VALU_DEP_3)
	v_cmp_lt_i32_e64 s10, v62, v19
	s_or_b32 s8, s8, s9
	s_wait_alu 0xfffe
	s_and_b32 s8, s10, s8
	s_wait_alu 0xfffe
	s_xor_b32 s9, s8, -1
	s_wait_alu 0xfffe
	s_and_saveexec_b32 s10, s9
	s_wait_alu 0xfffe
	s_xor_b32 s9, exec_lo, s10
; %bb.43:                               ;   in Loop: Header=BB109_2 Depth=1
	ds_load_u8 v63, v61 offset:1
; %bb.44:                               ;   in Loop: Header=BB109_2 Depth=1
	s_wait_alu 0xfffe
	s_or_saveexec_b32 s9, s9
	v_mov_b32_e32 v64, v60
	s_wait_alu 0xfffe
	s_xor_b32 exec_lo, exec_lo, s9
	s_cbranch_execz .LBB109_46
; %bb.45:                               ;   in Loop: Header=BB109_2 Depth=1
	ds_load_u8 v64, v62 offset:1
	s_wait_dscnt 0x1
	v_mov_b32_e32 v63, v59
.LBB109_46:                             ;   in Loop: Header=BB109_2 Depth=1
	s_or_b32 exec_lo, exec_lo, s9
	v_add_nc_u32_e32 v65, 1, v61
	v_add_nc_u32_e32 v66, 1, v62
	s_wait_dscnt 0x0
	v_and_b32_e32 v67, 0xff, v63
	v_and_b32_e32 v68, 0xff, v64
	v_cndmask_b32_e64 v65, v65, v61, s8
	v_cndmask_b32_e64 v66, v62, v66, s8
	s_delay_alu instid0(VALU_DEP_3) | instskip(NEXT) | instid1(VALU_DEP_3)
	v_cmp_lt_u16_e64 s10, v68, v67
                                        ; implicit-def: $vgpr67
	v_cmp_ge_i32_e64 s9, v65, v18
	s_delay_alu instid0(VALU_DEP_3)
	v_cmp_lt_i32_e64 s11, v66, v19
	s_or_b32 s9, s9, s10
	s_wait_alu 0xfffe
	s_and_b32 s9, s11, s9
	s_wait_alu 0xfffe
	s_xor_b32 s10, s9, -1
	s_wait_alu 0xfffe
	s_and_saveexec_b32 s11, s10
	s_wait_alu 0xfffe
	s_xor_b32 s10, exec_lo, s11
; %bb.47:                               ;   in Loop: Header=BB109_2 Depth=1
	ds_load_u8 v67, v65 offset:1
; %bb.48:                               ;   in Loop: Header=BB109_2 Depth=1
	s_wait_alu 0xfffe
	s_or_saveexec_b32 s10, s10
	v_mov_b32_e32 v68, v64
	s_wait_alu 0xfffe
	s_xor_b32 exec_lo, exec_lo, s10
	s_cbranch_execz .LBB109_50
; %bb.49:                               ;   in Loop: Header=BB109_2 Depth=1
	ds_load_u8 v68, v66 offset:1
	s_wait_dscnt 0x1
	v_mov_b32_e32 v67, v63
.LBB109_50:                             ;   in Loop: Header=BB109_2 Depth=1
	s_or_b32 exec_lo, exec_lo, s10
	v_add_nc_u32_e32 v69, 1, v65
	v_add_nc_u32_e32 v70, 1, v66
	s_wait_dscnt 0x0
	v_and_b32_e32 v71, 0xff, v67
	v_and_b32_e32 v72, 0xff, v68
	v_cndmask_b32_e64 v69, v69, v65, s9
	v_cndmask_b32_e64 v70, v66, v70, s9
	s_delay_alu instid0(VALU_DEP_3) | instskip(NEXT) | instid1(VALU_DEP_3)
	v_cmp_lt_u16_e64 s11, v72, v71
                                        ; implicit-def: $vgpr71
	v_cmp_ge_i32_e64 s10, v69, v18
	s_delay_alu instid0(VALU_DEP_3)
	v_cmp_lt_i32_e64 s12, v70, v19
	s_or_b32 s10, s10, s11
	s_wait_alu 0xfffe
	s_and_b32 s10, s12, s10
	s_wait_alu 0xfffe
	s_xor_b32 s11, s10, -1
	s_wait_alu 0xfffe
	s_and_saveexec_b32 s12, s11
	s_wait_alu 0xfffe
	s_xor_b32 s11, exec_lo, s12
; %bb.51:                               ;   in Loop: Header=BB109_2 Depth=1
	ds_load_u8 v71, v69 offset:1
; %bb.52:                               ;   in Loop: Header=BB109_2 Depth=1
	s_wait_alu 0xfffe
	s_or_saveexec_b32 s11, s11
	v_mov_b32_e32 v72, v68
	s_wait_alu 0xfffe
	s_xor_b32 exec_lo, exec_lo, s11
	s_cbranch_execz .LBB109_54
; %bb.53:                               ;   in Loop: Header=BB109_2 Depth=1
	ds_load_u8 v72, v70 offset:1
	s_wait_dscnt 0x1
	v_mov_b32_e32 v71, v67
.LBB109_54:                             ;   in Loop: Header=BB109_2 Depth=1
	s_or_b32 exec_lo, exec_lo, s11
	v_add_nc_u32_e32 v73, 1, v69
	v_add_nc_u32_e32 v74, 1, v70
	s_wait_dscnt 0x0
	v_and_b32_e32 v75, 0xff, v71
	v_and_b32_e32 v76, 0xff, v72
	v_cndmask_b32_e64 v73, v73, v69, s10
	v_cndmask_b32_e64 v74, v70, v74, s10
	s_delay_alu instid0(VALU_DEP_3) | instskip(NEXT) | instid1(VALU_DEP_3)
	v_cmp_lt_u16_e64 s12, v76, v75
                                        ; implicit-def: $vgpr75
	v_cmp_ge_i32_e64 s11, v73, v18
	s_delay_alu instid0(VALU_DEP_3)
	v_cmp_lt_i32_e64 s13, v74, v19
	s_or_b32 s11, s11, s12
	s_wait_alu 0xfffe
	s_and_b32 s11, s13, s11
	s_wait_alu 0xfffe
	s_xor_b32 s12, s11, -1
	s_wait_alu 0xfffe
	s_and_saveexec_b32 s13, s12
	s_wait_alu 0xfffe
	s_xor_b32 s12, exec_lo, s13
; %bb.55:                               ;   in Loop: Header=BB109_2 Depth=1
	ds_load_u8 v75, v73 offset:1
; %bb.56:                               ;   in Loop: Header=BB109_2 Depth=1
	s_wait_alu 0xfffe
	s_or_saveexec_b32 s12, s12
	v_mov_b32_e32 v76, v72
	s_wait_alu 0xfffe
	s_xor_b32 exec_lo, exec_lo, s12
	s_cbranch_execz .LBB109_58
; %bb.57:                               ;   in Loop: Header=BB109_2 Depth=1
	ds_load_u8 v76, v74 offset:1
	s_wait_dscnt 0x1
	v_mov_b32_e32 v75, v71
.LBB109_58:                             ;   in Loop: Header=BB109_2 Depth=1
	s_or_b32 exec_lo, exec_lo, s12
	v_add_nc_u32_e32 v77, 1, v73
	v_add_nc_u32_e32 v78, 1, v74
	s_wait_dscnt 0x0
	v_and_b32_e32 v79, 0xff, v75
	v_and_b32_e32 v80, 0xff, v76
	v_cndmask_b32_e64 v77, v77, v73, s11
	v_cndmask_b32_e64 v78, v74, v78, s11
	s_delay_alu instid0(VALU_DEP_3) | instskip(NEXT) | instid1(VALU_DEP_3)
	v_cmp_lt_u16_e64 s13, v80, v79
                                        ; implicit-def: $vgpr80
	v_cmp_ge_i32_e64 s12, v77, v18
	s_delay_alu instid0(VALU_DEP_3)
	v_cmp_lt_i32_e64 s14, v78, v19
	s_or_b32 s12, s12, s13
	s_wait_alu 0xfffe
	s_and_b32 s12, s14, s12
	s_wait_alu 0xfffe
	s_xor_b32 s13, s12, -1
	s_wait_alu 0xfffe
	s_and_saveexec_b32 s14, s13
	s_wait_alu 0xfffe
	s_xor_b32 s13, exec_lo, s14
; %bb.59:                               ;   in Loop: Header=BB109_2 Depth=1
	ds_load_u8 v80, v77 offset:1
; %bb.60:                               ;   in Loop: Header=BB109_2 Depth=1
	s_wait_alu 0xfffe
	s_or_saveexec_b32 s13, s13
	v_mov_b32_e32 v82, v76
	s_wait_alu 0xfffe
	s_xor_b32 exec_lo, exec_lo, s13
	s_cbranch_execz .LBB109_62
; %bb.61:                               ;   in Loop: Header=BB109_2 Depth=1
	ds_load_u8 v82, v78 offset:1
	s_wait_dscnt 0x1
	v_mov_b32_e32 v80, v75
.LBB109_62:                             ;   in Loop: Header=BB109_2 Depth=1
	s_or_b32 exec_lo, exec_lo, s13
	v_add_nc_u32_e32 v79, 1, v77
	v_add_nc_u32_e32 v81, 1, v78
	s_wait_dscnt 0x0
	v_and_b32_e32 v85, 0xff, v80
	s_delay_alu instid0(VALU_DEP_3) | instskip(SKIP_2) | instid1(VALU_DEP_3)
	v_cndmask_b32_e64 v83, v79, v77, s12
	v_and_b32_e32 v79, 0xff, v82
	v_cndmask_b32_e64 v84, v78, v81, s12
	v_cmp_ge_i32_e64 s13, v83, v18
	s_delay_alu instid0(VALU_DEP_3) | instskip(NEXT) | instid1(VALU_DEP_3)
	v_cmp_lt_u16_e64 s14, v79, v85
	v_cmp_lt_i32_e64 s15, v84, v19
                                        ; implicit-def: $vgpr79
	s_or_b32 s13, s13, s14
	s_wait_alu 0xfffe
	s_and_b32 s13, s15, s13
	s_wait_alu 0xfffe
	s_xor_b32 s14, s13, -1
	s_wait_alu 0xfffe
	s_and_saveexec_b32 s15, s14
	s_wait_alu 0xfffe
	s_xor_b32 s14, exec_lo, s15
; %bb.63:                               ;   in Loop: Header=BB109_2 Depth=1
	ds_load_u8 v79, v83 offset:1
; %bb.64:                               ;   in Loop: Header=BB109_2 Depth=1
	s_wait_alu 0xfffe
	s_or_saveexec_b32 s14, s14
	v_mov_b32_e32 v81, v82
	s_wait_alu 0xfffe
	s_xor_b32 exec_lo, exec_lo, s14
	s_cbranch_execz .LBB109_66
; %bb.65:                               ;   in Loop: Header=BB109_2 Depth=1
	ds_load_u8 v81, v84 offset:1
	s_wait_dscnt 0x1
	v_mov_b32_e32 v79, v80
.LBB109_66:                             ;   in Loop: Header=BB109_2 Depth=1
	s_or_b32 exec_lo, exec_lo, s14
	v_add_nc_u32_e32 v86, 1, v83
	v_add_nc_u32_e32 v85, 1, v84
	v_cndmask_b32_e64 v80, v80, v82, s13
	v_cndmask_b32_e64 v82, v83, v84, s13
	;; [unrolled: 1-line block ×5, first 2 shown]
	s_wait_dscnt 0x0
	v_and_b32_e32 v69, 0xff, v79
	v_and_b32_e32 v70, 0xff, v81
	v_cndmask_b32_e64 v84, v84, v85, s13
	v_cndmask_b32_e64 v63, v63, v64, s9
	;; [unrolled: 1-line block ×3, first 2 shown]
	v_cmp_ge_i32_e64 s9, v83, v18
	v_cmp_lt_u16_e64 s10, v70, v69
	v_cndmask_b32_e64 v57, v57, v58, s7
	v_cndmask_b32_e64 v55, v55, v56, s7
	v_cmp_lt_i32_e64 s7, v84, v19
	v_perm_b32 v52, v52, v53, 0xc0c0004
	v_perm_b32 v51, v54, v51, 0xc0c0004
	;; [unrolled: 1-line block ×4, first 2 shown]
	v_cndmask_b32_e64 v59, v59, v60, s8
	v_cndmask_b32_e64 v60, v61, v62, s8
	s_or_b32 s8, s9, s10
	v_cndmask_b32_e64 v75, v75, v76, s12
	s_wait_alu 0xfffe
	s_and_b32 s7, s7, s8
	v_cndmask_b32_e64 v71, v71, v72, s11
	s_wait_alu 0xfffe
	v_cndmask_b32_e64 v4, v79, v81, s7
	v_lshl_or_b32 v2, v51, 16, v52
	v_lshl_or_b32 v1, v3, 16, v1
	s_wait_loadcnt 0x0
	s_barrier_signal -1
	s_barrier_wait -1
	global_inv scope:SCOPE_SE
	ds_store_b64 v5, v[1:2]
	v_lshlrev_b16 v1, 8, v59
	v_and_b32_e32 v2, 0xff, v57
	v_lshlrev_b16 v3, 8, v67
	v_and_b32_e32 v51, 0xff, v63
	;; [unrolled: 2-line block ×3, first 2 shown]
	v_and_b32_e32 v56, 0xff, v80
	v_lshlrev_b16 v4, 8, v4
	v_cndmask_b32_e64 v53, v83, v84, s7
	v_cndmask_b32_e64 v76, v77, v78, s12
	;; [unrolled: 1-line block ×3, first 2 shown]
	s_wait_loadcnt_dscnt 0x0
	s_barrier_signal -1
	s_barrier_wait -1
	global_inv scope:SCOPE_SE
	v_or_b32_e32 v57, v2, v1
	v_or_b32_e32 v58, v51, v3
	;; [unrolled: 1-line block ×4, first 2 shown]
	ds_load_u8 v1, v55
	ds_load_u8 v51, v53
	;; [unrolled: 1-line block ×8, first 2 shown]
	v_and_b32_e32 v55, 0xffff, v57
	v_lshlrev_b32_e32 v57, 16, v58
	v_and_b32_e32 v58, 0xffff, v59
	v_lshlrev_b32_e32 v56, 16, v56
	s_wait_loadcnt_dscnt 0x0
	s_barrier_signal -1
	v_or_b32_e32 v55, v55, v57
	s_barrier_wait -1
	v_or_b32_e32 v56, v58, v56
	global_inv scope:SCOPE_SE
	ds_store_b64 v5, v[55:56]
	v_mov_b32_e32 v56, v46
	s_wait_loadcnt_dscnt 0x0
	s_barrier_signal -1
	s_barrier_wait -1
	global_inv scope:SCOPE_SE
	s_and_saveexec_b32 s8, s2
	s_cbranch_execz .LBB109_70
; %bb.67:                               ;   in Loop: Header=BB109_2 Depth=1
	v_dual_mov_b32 v56, v46 :: v_dual_mov_b32 v55, v39
	s_mov_b32 s9, 0
.LBB109_68:                             ;   Parent Loop BB109_2 Depth=1
                                        ; =>  This Inner Loop Header: Depth=2
	s_delay_alu instid0(VALU_DEP_1) | instskip(NEXT) | instid1(VALU_DEP_1)
	v_sub_nc_u32_e32 v57, v55, v56
	v_lshrrev_b32_e32 v57, 1, v57
	s_delay_alu instid0(VALU_DEP_1) | instskip(NEXT) | instid1(VALU_DEP_1)
	v_add_nc_u32_e32 v57, v57, v56
	v_add_nc_u32_e32 v58, v8, v57
	v_xad_u32 v59, v57, -1, v32
	v_add_nc_u32_e32 v60, 1, v57
	ds_load_u8 v58, v58
	ds_load_u8 v59, v59
	s_wait_dscnt 0x0
	v_cmp_lt_u16_e64 s7, v59, v58
	s_wait_alu 0xf1ff
	s_delay_alu instid0(VALU_DEP_1) | instskip(SKIP_1) | instid1(VALU_DEP_1)
	v_cndmask_b32_e64 v55, v55, v57, s7
	v_cndmask_b32_e64 v56, v60, v56, s7
	v_cmp_ge_i32_e64 s7, v56, v55
	s_wait_alu 0xfffe
	s_or_b32 s9, s7, s9
	s_wait_alu 0xfffe
	s_and_not1_b32 exec_lo, exec_lo, s9
	s_cbranch_execnz .LBB109_68
; %bb.69:                               ;   in Loop: Header=BB109_2 Depth=1
	s_or_b32 exec_lo, exec_lo, s9
.LBB109_70:                             ;   in Loop: Header=BB109_2 Depth=1
	s_wait_alu 0xfffe
	s_or_b32 exec_lo, exec_lo, s8
	v_add_nc_u32_e32 v55, v56, v8
	v_sub_nc_u32_e32 v56, v32, v56
	ds_load_u8 v57, v55
	ds_load_u8 v58, v56
	v_cmp_le_i32_e64 s7, v20, v55
	v_cmp_gt_i32_e64 s9, v21, v56
	s_wait_dscnt 0x1
	v_and_b32_e32 v59, 0xff, v57
	s_wait_dscnt 0x0
	v_and_b32_e32 v60, 0xff, v58
	s_delay_alu instid0(VALU_DEP_1)
	v_cmp_lt_u16_e64 s8, v60, v59
                                        ; implicit-def: $vgpr59
	s_or_b32 s7, s7, s8
	s_wait_alu 0xfffe
	s_and_b32 s7, s9, s7
	s_wait_alu 0xfffe
	s_xor_b32 s8, s7, -1
	s_wait_alu 0xfffe
	s_and_saveexec_b32 s9, s8
	s_wait_alu 0xfffe
	s_xor_b32 s8, exec_lo, s9
; %bb.71:                               ;   in Loop: Header=BB109_2 Depth=1
	ds_load_u8 v59, v55 offset:1
; %bb.72:                               ;   in Loop: Header=BB109_2 Depth=1
	s_wait_alu 0xfffe
	s_or_saveexec_b32 s8, s8
	v_mov_b32_e32 v60, v58
	s_wait_alu 0xfffe
	s_xor_b32 exec_lo, exec_lo, s8
	s_cbranch_execz .LBB109_74
; %bb.73:                               ;   in Loop: Header=BB109_2 Depth=1
	ds_load_u8 v60, v56 offset:1
	s_wait_dscnt 0x1
	v_mov_b32_e32 v59, v57
.LBB109_74:                             ;   in Loop: Header=BB109_2 Depth=1
	s_or_b32 exec_lo, exec_lo, s8
	v_add_nc_u32_e32 v61, 1, v55
	v_add_nc_u32_e32 v62, 1, v56
	s_wait_dscnt 0x0
	v_and_b32_e32 v63, 0xff, v59
	v_and_b32_e32 v64, 0xff, v60
	v_cndmask_b32_e64 v61, v61, v55, s7
	v_cndmask_b32_e64 v62, v56, v62, s7
	s_delay_alu instid0(VALU_DEP_3) | instskip(NEXT) | instid1(VALU_DEP_3)
	v_cmp_lt_u16_e64 s9, v64, v63
                                        ; implicit-def: $vgpr63
	v_cmp_ge_i32_e64 s8, v61, v20
	s_delay_alu instid0(VALU_DEP_3)
	v_cmp_lt_i32_e64 s10, v62, v21
	s_or_b32 s8, s8, s9
	s_wait_alu 0xfffe
	s_and_b32 s8, s10, s8
	s_wait_alu 0xfffe
	s_xor_b32 s9, s8, -1
	s_wait_alu 0xfffe
	s_and_saveexec_b32 s10, s9
	s_wait_alu 0xfffe
	s_xor_b32 s9, exec_lo, s10
; %bb.75:                               ;   in Loop: Header=BB109_2 Depth=1
	ds_load_u8 v63, v61 offset:1
; %bb.76:                               ;   in Loop: Header=BB109_2 Depth=1
	s_wait_alu 0xfffe
	s_or_saveexec_b32 s9, s9
	v_mov_b32_e32 v64, v60
	s_wait_alu 0xfffe
	s_xor_b32 exec_lo, exec_lo, s9
	s_cbranch_execz .LBB109_78
; %bb.77:                               ;   in Loop: Header=BB109_2 Depth=1
	ds_load_u8 v64, v62 offset:1
	s_wait_dscnt 0x1
	v_mov_b32_e32 v63, v59
.LBB109_78:                             ;   in Loop: Header=BB109_2 Depth=1
	s_or_b32 exec_lo, exec_lo, s9
	v_add_nc_u32_e32 v65, 1, v61
	v_add_nc_u32_e32 v66, 1, v62
	s_wait_dscnt 0x0
	v_and_b32_e32 v67, 0xff, v63
	v_and_b32_e32 v68, 0xff, v64
	v_cndmask_b32_e64 v65, v65, v61, s8
	v_cndmask_b32_e64 v66, v62, v66, s8
	s_delay_alu instid0(VALU_DEP_3) | instskip(NEXT) | instid1(VALU_DEP_3)
	v_cmp_lt_u16_e64 s10, v68, v67
                                        ; implicit-def: $vgpr67
	v_cmp_ge_i32_e64 s9, v65, v20
	s_delay_alu instid0(VALU_DEP_3)
	v_cmp_lt_i32_e64 s11, v66, v21
	s_or_b32 s9, s9, s10
	s_wait_alu 0xfffe
	s_and_b32 s9, s11, s9
	s_wait_alu 0xfffe
	s_xor_b32 s10, s9, -1
	s_wait_alu 0xfffe
	s_and_saveexec_b32 s11, s10
	s_wait_alu 0xfffe
	s_xor_b32 s10, exec_lo, s11
; %bb.79:                               ;   in Loop: Header=BB109_2 Depth=1
	ds_load_u8 v67, v65 offset:1
; %bb.80:                               ;   in Loop: Header=BB109_2 Depth=1
	s_wait_alu 0xfffe
	s_or_saveexec_b32 s10, s10
	v_mov_b32_e32 v68, v64
	s_wait_alu 0xfffe
	s_xor_b32 exec_lo, exec_lo, s10
	s_cbranch_execz .LBB109_82
; %bb.81:                               ;   in Loop: Header=BB109_2 Depth=1
	ds_load_u8 v68, v66 offset:1
	s_wait_dscnt 0x1
	v_mov_b32_e32 v67, v63
.LBB109_82:                             ;   in Loop: Header=BB109_2 Depth=1
	s_or_b32 exec_lo, exec_lo, s10
	v_add_nc_u32_e32 v69, 1, v65
	v_add_nc_u32_e32 v70, 1, v66
	s_wait_dscnt 0x0
	v_and_b32_e32 v71, 0xff, v67
	v_and_b32_e32 v72, 0xff, v68
	v_cndmask_b32_e64 v69, v69, v65, s9
	v_cndmask_b32_e64 v70, v66, v70, s9
	s_delay_alu instid0(VALU_DEP_3) | instskip(NEXT) | instid1(VALU_DEP_3)
	v_cmp_lt_u16_e64 s11, v72, v71
                                        ; implicit-def: $vgpr71
	v_cmp_ge_i32_e64 s10, v69, v20
	s_delay_alu instid0(VALU_DEP_3)
	v_cmp_lt_i32_e64 s12, v70, v21
	s_or_b32 s10, s10, s11
	s_wait_alu 0xfffe
	s_and_b32 s10, s12, s10
	s_wait_alu 0xfffe
	s_xor_b32 s11, s10, -1
	s_wait_alu 0xfffe
	s_and_saveexec_b32 s12, s11
	s_wait_alu 0xfffe
	s_xor_b32 s11, exec_lo, s12
; %bb.83:                               ;   in Loop: Header=BB109_2 Depth=1
	ds_load_u8 v71, v69 offset:1
; %bb.84:                               ;   in Loop: Header=BB109_2 Depth=1
	s_wait_alu 0xfffe
	s_or_saveexec_b32 s11, s11
	v_mov_b32_e32 v72, v68
	s_wait_alu 0xfffe
	s_xor_b32 exec_lo, exec_lo, s11
	s_cbranch_execz .LBB109_86
; %bb.85:                               ;   in Loop: Header=BB109_2 Depth=1
	ds_load_u8 v72, v70 offset:1
	s_wait_dscnt 0x1
	v_mov_b32_e32 v71, v67
.LBB109_86:                             ;   in Loop: Header=BB109_2 Depth=1
	s_or_b32 exec_lo, exec_lo, s11
	v_add_nc_u32_e32 v73, 1, v69
	v_add_nc_u32_e32 v74, 1, v70
	s_wait_dscnt 0x0
	v_and_b32_e32 v75, 0xff, v71
	v_and_b32_e32 v76, 0xff, v72
	v_cndmask_b32_e64 v73, v73, v69, s10
	v_cndmask_b32_e64 v74, v70, v74, s10
	s_delay_alu instid0(VALU_DEP_3) | instskip(NEXT) | instid1(VALU_DEP_3)
	v_cmp_lt_u16_e64 s12, v76, v75
                                        ; implicit-def: $vgpr75
	v_cmp_ge_i32_e64 s11, v73, v20
	s_delay_alu instid0(VALU_DEP_3)
	v_cmp_lt_i32_e64 s13, v74, v21
	s_or_b32 s11, s11, s12
	s_wait_alu 0xfffe
	s_and_b32 s11, s13, s11
	s_wait_alu 0xfffe
	s_xor_b32 s12, s11, -1
	s_wait_alu 0xfffe
	s_and_saveexec_b32 s13, s12
	s_wait_alu 0xfffe
	s_xor_b32 s12, exec_lo, s13
; %bb.87:                               ;   in Loop: Header=BB109_2 Depth=1
	ds_load_u8 v75, v73 offset:1
; %bb.88:                               ;   in Loop: Header=BB109_2 Depth=1
	s_wait_alu 0xfffe
	s_or_saveexec_b32 s12, s12
	v_mov_b32_e32 v76, v72
	s_wait_alu 0xfffe
	s_xor_b32 exec_lo, exec_lo, s12
	s_cbranch_execz .LBB109_90
; %bb.89:                               ;   in Loop: Header=BB109_2 Depth=1
	ds_load_u8 v76, v74 offset:1
	s_wait_dscnt 0x1
	v_mov_b32_e32 v75, v71
.LBB109_90:                             ;   in Loop: Header=BB109_2 Depth=1
	s_or_b32 exec_lo, exec_lo, s12
	v_add_nc_u32_e32 v77, 1, v73
	v_add_nc_u32_e32 v78, 1, v74
	s_wait_dscnt 0x0
	v_and_b32_e32 v79, 0xff, v75
	v_and_b32_e32 v80, 0xff, v76
	v_cndmask_b32_e64 v77, v77, v73, s11
	v_cndmask_b32_e64 v78, v74, v78, s11
	s_delay_alu instid0(VALU_DEP_3) | instskip(NEXT) | instid1(VALU_DEP_3)
	v_cmp_lt_u16_e64 s13, v80, v79
                                        ; implicit-def: $vgpr80
	v_cmp_ge_i32_e64 s12, v77, v20
	s_delay_alu instid0(VALU_DEP_3)
	v_cmp_lt_i32_e64 s14, v78, v21
	s_or_b32 s12, s12, s13
	s_wait_alu 0xfffe
	s_and_b32 s12, s14, s12
	s_wait_alu 0xfffe
	s_xor_b32 s13, s12, -1
	s_wait_alu 0xfffe
	s_and_saveexec_b32 s14, s13
	s_wait_alu 0xfffe
	s_xor_b32 s13, exec_lo, s14
; %bb.91:                               ;   in Loop: Header=BB109_2 Depth=1
	ds_load_u8 v80, v77 offset:1
; %bb.92:                               ;   in Loop: Header=BB109_2 Depth=1
	s_wait_alu 0xfffe
	s_or_saveexec_b32 s13, s13
	v_mov_b32_e32 v82, v76
	s_wait_alu 0xfffe
	s_xor_b32 exec_lo, exec_lo, s13
	s_cbranch_execz .LBB109_94
; %bb.93:                               ;   in Loop: Header=BB109_2 Depth=1
	ds_load_u8 v82, v78 offset:1
	s_wait_dscnt 0x1
	v_mov_b32_e32 v80, v75
.LBB109_94:                             ;   in Loop: Header=BB109_2 Depth=1
	s_or_b32 exec_lo, exec_lo, s13
	v_add_nc_u32_e32 v79, 1, v77
	v_add_nc_u32_e32 v81, 1, v78
	s_wait_dscnt 0x0
	v_and_b32_e32 v85, 0xff, v80
	s_delay_alu instid0(VALU_DEP_3) | instskip(SKIP_2) | instid1(VALU_DEP_3)
	v_cndmask_b32_e64 v83, v79, v77, s12
	v_and_b32_e32 v79, 0xff, v82
	v_cndmask_b32_e64 v84, v78, v81, s12
	v_cmp_ge_i32_e64 s13, v83, v20
	s_delay_alu instid0(VALU_DEP_3) | instskip(NEXT) | instid1(VALU_DEP_3)
	v_cmp_lt_u16_e64 s14, v79, v85
	v_cmp_lt_i32_e64 s15, v84, v21
                                        ; implicit-def: $vgpr79
	s_or_b32 s13, s13, s14
	s_wait_alu 0xfffe
	s_and_b32 s13, s15, s13
	s_wait_alu 0xfffe
	s_xor_b32 s14, s13, -1
	s_wait_alu 0xfffe
	s_and_saveexec_b32 s15, s14
	s_wait_alu 0xfffe
	s_xor_b32 s14, exec_lo, s15
; %bb.95:                               ;   in Loop: Header=BB109_2 Depth=1
	ds_load_u8 v79, v83 offset:1
; %bb.96:                               ;   in Loop: Header=BB109_2 Depth=1
	s_wait_alu 0xfffe
	s_or_saveexec_b32 s14, s14
	v_mov_b32_e32 v81, v82
	s_wait_alu 0xfffe
	s_xor_b32 exec_lo, exec_lo, s14
	s_cbranch_execz .LBB109_98
; %bb.97:                               ;   in Loop: Header=BB109_2 Depth=1
	ds_load_u8 v81, v84 offset:1
	s_wait_dscnt 0x1
	v_mov_b32_e32 v79, v80
.LBB109_98:                             ;   in Loop: Header=BB109_2 Depth=1
	s_or_b32 exec_lo, exec_lo, s14
	v_add_nc_u32_e32 v86, 1, v83
	v_add_nc_u32_e32 v85, 1, v84
	v_cndmask_b32_e64 v80, v80, v82, s13
	v_cndmask_b32_e64 v82, v83, v84, s13
	;; [unrolled: 1-line block ×5, first 2 shown]
	s_wait_dscnt 0x0
	v_and_b32_e32 v69, 0xff, v79
	v_and_b32_e32 v70, 0xff, v81
	v_cndmask_b32_e64 v84, v84, v85, s13
	v_cndmask_b32_e64 v63, v63, v64, s9
	;; [unrolled: 1-line block ×3, first 2 shown]
	v_cmp_ge_i32_e64 s9, v83, v20
	v_cmp_lt_u16_e64 s10, v70, v69
	v_cndmask_b32_e64 v57, v57, v58, s7
	v_cndmask_b32_e64 v55, v55, v56, s7
	v_cmp_lt_i32_e64 s7, v84, v21
	v_perm_b32 v52, v52, v53, 0xc0c0004
	v_perm_b32 v51, v54, v51, 0xc0c0004
	;; [unrolled: 1-line block ×4, first 2 shown]
	v_cndmask_b32_e64 v59, v59, v60, s8
	v_cndmask_b32_e64 v60, v61, v62, s8
	s_or_b32 s8, s9, s10
	v_cndmask_b32_e64 v75, v75, v76, s12
	s_wait_alu 0xfffe
	s_and_b32 s7, s7, s8
	v_cndmask_b32_e64 v71, v71, v72, s11
	s_wait_alu 0xfffe
	v_cndmask_b32_e64 v4, v79, v81, s7
	v_lshl_or_b32 v2, v51, 16, v52
	v_lshl_or_b32 v1, v3, 16, v1
	s_wait_loadcnt 0x0
	s_barrier_signal -1
	s_barrier_wait -1
	global_inv scope:SCOPE_SE
	ds_store_b64 v5, v[1:2]
	v_lshlrev_b16 v1, 8, v59
	v_and_b32_e32 v2, 0xff, v57
	v_lshlrev_b16 v3, 8, v67
	v_and_b32_e32 v51, 0xff, v63
	;; [unrolled: 2-line block ×3, first 2 shown]
	v_and_b32_e32 v56, 0xff, v80
	v_lshlrev_b16 v4, 8, v4
	v_cndmask_b32_e64 v53, v83, v84, s7
	v_cndmask_b32_e64 v76, v77, v78, s12
	;; [unrolled: 1-line block ×3, first 2 shown]
	s_wait_loadcnt_dscnt 0x0
	s_barrier_signal -1
	s_barrier_wait -1
	global_inv scope:SCOPE_SE
	v_or_b32_e32 v57, v2, v1
	v_or_b32_e32 v58, v51, v3
	;; [unrolled: 1-line block ×4, first 2 shown]
	ds_load_u8 v1, v55
	ds_load_u8 v51, v53
	;; [unrolled: 1-line block ×8, first 2 shown]
	v_and_b32_e32 v55, 0xffff, v57
	v_lshlrev_b32_e32 v57, 16, v58
	v_and_b32_e32 v58, 0xffff, v59
	v_lshlrev_b32_e32 v56, 16, v56
	s_wait_loadcnt_dscnt 0x0
	s_barrier_signal -1
	v_or_b32_e32 v55, v55, v57
	s_barrier_wait -1
	v_or_b32_e32 v56, v58, v56
	global_inv scope:SCOPE_SE
	ds_store_b64 v5, v[55:56]
	v_mov_b32_e32 v56, v47
	s_wait_loadcnt_dscnt 0x0
	s_barrier_signal -1
	s_barrier_wait -1
	global_inv scope:SCOPE_SE
	s_and_saveexec_b32 s8, s3
	s_cbranch_execz .LBB109_102
; %bb.99:                               ;   in Loop: Header=BB109_2 Depth=1
	v_dual_mov_b32 v56, v47 :: v_dual_mov_b32 v55, v40
	s_mov_b32 s9, 0
.LBB109_100:                            ;   Parent Loop BB109_2 Depth=1
                                        ; =>  This Inner Loop Header: Depth=2
	s_delay_alu instid0(VALU_DEP_1) | instskip(NEXT) | instid1(VALU_DEP_1)
	v_sub_nc_u32_e32 v57, v55, v56
	v_lshrrev_b32_e32 v57, 1, v57
	s_delay_alu instid0(VALU_DEP_1) | instskip(NEXT) | instid1(VALU_DEP_1)
	v_add_nc_u32_e32 v57, v57, v56
	v_add_nc_u32_e32 v58, v9, v57
	v_xad_u32 v59, v57, -1, v33
	v_add_nc_u32_e32 v60, 1, v57
	ds_load_u8 v58, v58
	ds_load_u8 v59, v59
	s_wait_dscnt 0x0
	v_cmp_lt_u16_e64 s7, v59, v58
	s_wait_alu 0xf1ff
	s_delay_alu instid0(VALU_DEP_1) | instskip(SKIP_1) | instid1(VALU_DEP_1)
	v_cndmask_b32_e64 v55, v55, v57, s7
	v_cndmask_b32_e64 v56, v60, v56, s7
	v_cmp_ge_i32_e64 s7, v56, v55
	s_wait_alu 0xfffe
	s_or_b32 s9, s7, s9
	s_wait_alu 0xfffe
	s_and_not1_b32 exec_lo, exec_lo, s9
	s_cbranch_execnz .LBB109_100
; %bb.101:                              ;   in Loop: Header=BB109_2 Depth=1
	s_or_b32 exec_lo, exec_lo, s9
.LBB109_102:                            ;   in Loop: Header=BB109_2 Depth=1
	s_wait_alu 0xfffe
	s_or_b32 exec_lo, exec_lo, s8
	v_add_nc_u32_e32 v55, v56, v9
	v_sub_nc_u32_e32 v56, v33, v56
	ds_load_u8 v57, v55
	ds_load_u8 v58, v56
	v_cmp_le_i32_e64 s7, v22, v55
	v_cmp_gt_i32_e64 s9, v23, v56
	s_wait_dscnt 0x1
	v_and_b32_e32 v59, 0xff, v57
	s_wait_dscnt 0x0
	v_and_b32_e32 v60, 0xff, v58
	s_delay_alu instid0(VALU_DEP_1)
	v_cmp_lt_u16_e64 s8, v60, v59
                                        ; implicit-def: $vgpr59
	s_or_b32 s7, s7, s8
	s_wait_alu 0xfffe
	s_and_b32 s7, s9, s7
	s_wait_alu 0xfffe
	s_xor_b32 s8, s7, -1
	s_wait_alu 0xfffe
	s_and_saveexec_b32 s9, s8
	s_wait_alu 0xfffe
	s_xor_b32 s8, exec_lo, s9
; %bb.103:                              ;   in Loop: Header=BB109_2 Depth=1
	ds_load_u8 v59, v55 offset:1
; %bb.104:                              ;   in Loop: Header=BB109_2 Depth=1
	s_wait_alu 0xfffe
	s_or_saveexec_b32 s8, s8
	v_mov_b32_e32 v60, v58
	s_wait_alu 0xfffe
	s_xor_b32 exec_lo, exec_lo, s8
	s_cbranch_execz .LBB109_106
; %bb.105:                              ;   in Loop: Header=BB109_2 Depth=1
	ds_load_u8 v60, v56 offset:1
	s_wait_dscnt 0x1
	v_mov_b32_e32 v59, v57
.LBB109_106:                            ;   in Loop: Header=BB109_2 Depth=1
	s_or_b32 exec_lo, exec_lo, s8
	v_add_nc_u32_e32 v61, 1, v55
	v_add_nc_u32_e32 v62, 1, v56
	s_wait_dscnt 0x0
	v_and_b32_e32 v63, 0xff, v59
	v_and_b32_e32 v64, 0xff, v60
	v_cndmask_b32_e64 v61, v61, v55, s7
	v_cndmask_b32_e64 v62, v56, v62, s7
	s_delay_alu instid0(VALU_DEP_3) | instskip(NEXT) | instid1(VALU_DEP_3)
	v_cmp_lt_u16_e64 s9, v64, v63
                                        ; implicit-def: $vgpr63
	v_cmp_ge_i32_e64 s8, v61, v22
	s_delay_alu instid0(VALU_DEP_3)
	v_cmp_lt_i32_e64 s10, v62, v23
	s_or_b32 s8, s8, s9
	s_wait_alu 0xfffe
	s_and_b32 s8, s10, s8
	s_wait_alu 0xfffe
	s_xor_b32 s9, s8, -1
	s_wait_alu 0xfffe
	s_and_saveexec_b32 s10, s9
	s_wait_alu 0xfffe
	s_xor_b32 s9, exec_lo, s10
; %bb.107:                              ;   in Loop: Header=BB109_2 Depth=1
	ds_load_u8 v63, v61 offset:1
; %bb.108:                              ;   in Loop: Header=BB109_2 Depth=1
	s_wait_alu 0xfffe
	s_or_saveexec_b32 s9, s9
	v_mov_b32_e32 v64, v60
	s_wait_alu 0xfffe
	s_xor_b32 exec_lo, exec_lo, s9
	s_cbranch_execz .LBB109_110
; %bb.109:                              ;   in Loop: Header=BB109_2 Depth=1
	ds_load_u8 v64, v62 offset:1
	s_wait_dscnt 0x1
	v_mov_b32_e32 v63, v59
.LBB109_110:                            ;   in Loop: Header=BB109_2 Depth=1
	s_or_b32 exec_lo, exec_lo, s9
	v_add_nc_u32_e32 v65, 1, v61
	v_add_nc_u32_e32 v66, 1, v62
	s_wait_dscnt 0x0
	v_and_b32_e32 v67, 0xff, v63
	v_and_b32_e32 v68, 0xff, v64
	v_cndmask_b32_e64 v65, v65, v61, s8
	v_cndmask_b32_e64 v66, v62, v66, s8
	s_delay_alu instid0(VALU_DEP_3) | instskip(NEXT) | instid1(VALU_DEP_3)
	v_cmp_lt_u16_e64 s10, v68, v67
                                        ; implicit-def: $vgpr67
	v_cmp_ge_i32_e64 s9, v65, v22
	s_delay_alu instid0(VALU_DEP_3)
	v_cmp_lt_i32_e64 s11, v66, v23
	s_or_b32 s9, s9, s10
	s_wait_alu 0xfffe
	s_and_b32 s9, s11, s9
	s_wait_alu 0xfffe
	s_xor_b32 s10, s9, -1
	s_wait_alu 0xfffe
	s_and_saveexec_b32 s11, s10
	s_wait_alu 0xfffe
	s_xor_b32 s10, exec_lo, s11
; %bb.111:                              ;   in Loop: Header=BB109_2 Depth=1
	ds_load_u8 v67, v65 offset:1
; %bb.112:                              ;   in Loop: Header=BB109_2 Depth=1
	s_wait_alu 0xfffe
	s_or_saveexec_b32 s10, s10
	v_mov_b32_e32 v68, v64
	s_wait_alu 0xfffe
	s_xor_b32 exec_lo, exec_lo, s10
	s_cbranch_execz .LBB109_114
; %bb.113:                              ;   in Loop: Header=BB109_2 Depth=1
	ds_load_u8 v68, v66 offset:1
	s_wait_dscnt 0x1
	v_mov_b32_e32 v67, v63
.LBB109_114:                            ;   in Loop: Header=BB109_2 Depth=1
	s_or_b32 exec_lo, exec_lo, s10
	v_add_nc_u32_e32 v69, 1, v65
	v_add_nc_u32_e32 v70, 1, v66
	s_wait_dscnt 0x0
	v_and_b32_e32 v71, 0xff, v67
	v_and_b32_e32 v72, 0xff, v68
	v_cndmask_b32_e64 v69, v69, v65, s9
	v_cndmask_b32_e64 v70, v66, v70, s9
	s_delay_alu instid0(VALU_DEP_3) | instskip(NEXT) | instid1(VALU_DEP_3)
	v_cmp_lt_u16_e64 s11, v72, v71
                                        ; implicit-def: $vgpr71
	v_cmp_ge_i32_e64 s10, v69, v22
	s_delay_alu instid0(VALU_DEP_3)
	v_cmp_lt_i32_e64 s12, v70, v23
	s_or_b32 s10, s10, s11
	s_wait_alu 0xfffe
	s_and_b32 s10, s12, s10
	s_wait_alu 0xfffe
	s_xor_b32 s11, s10, -1
	s_wait_alu 0xfffe
	s_and_saveexec_b32 s12, s11
	s_wait_alu 0xfffe
	s_xor_b32 s11, exec_lo, s12
; %bb.115:                              ;   in Loop: Header=BB109_2 Depth=1
	ds_load_u8 v71, v69 offset:1
; %bb.116:                              ;   in Loop: Header=BB109_2 Depth=1
	s_wait_alu 0xfffe
	s_or_saveexec_b32 s11, s11
	v_mov_b32_e32 v72, v68
	s_wait_alu 0xfffe
	s_xor_b32 exec_lo, exec_lo, s11
	s_cbranch_execz .LBB109_118
; %bb.117:                              ;   in Loop: Header=BB109_2 Depth=1
	ds_load_u8 v72, v70 offset:1
	s_wait_dscnt 0x1
	v_mov_b32_e32 v71, v67
.LBB109_118:                            ;   in Loop: Header=BB109_2 Depth=1
	s_or_b32 exec_lo, exec_lo, s11
	v_add_nc_u32_e32 v73, 1, v69
	v_add_nc_u32_e32 v74, 1, v70
	s_wait_dscnt 0x0
	v_and_b32_e32 v75, 0xff, v71
	v_and_b32_e32 v76, 0xff, v72
	v_cndmask_b32_e64 v73, v73, v69, s10
	v_cndmask_b32_e64 v74, v70, v74, s10
	s_delay_alu instid0(VALU_DEP_3) | instskip(NEXT) | instid1(VALU_DEP_3)
	v_cmp_lt_u16_e64 s12, v76, v75
                                        ; implicit-def: $vgpr75
	v_cmp_ge_i32_e64 s11, v73, v22
	s_delay_alu instid0(VALU_DEP_3)
	v_cmp_lt_i32_e64 s13, v74, v23
	s_or_b32 s11, s11, s12
	s_wait_alu 0xfffe
	s_and_b32 s11, s13, s11
	s_wait_alu 0xfffe
	s_xor_b32 s12, s11, -1
	s_wait_alu 0xfffe
	s_and_saveexec_b32 s13, s12
	s_wait_alu 0xfffe
	s_xor_b32 s12, exec_lo, s13
; %bb.119:                              ;   in Loop: Header=BB109_2 Depth=1
	ds_load_u8 v75, v73 offset:1
; %bb.120:                              ;   in Loop: Header=BB109_2 Depth=1
	s_wait_alu 0xfffe
	s_or_saveexec_b32 s12, s12
	v_mov_b32_e32 v76, v72
	s_wait_alu 0xfffe
	s_xor_b32 exec_lo, exec_lo, s12
	s_cbranch_execz .LBB109_122
; %bb.121:                              ;   in Loop: Header=BB109_2 Depth=1
	ds_load_u8 v76, v74 offset:1
	s_wait_dscnt 0x1
	v_mov_b32_e32 v75, v71
.LBB109_122:                            ;   in Loop: Header=BB109_2 Depth=1
	s_or_b32 exec_lo, exec_lo, s12
	v_add_nc_u32_e32 v77, 1, v73
	v_add_nc_u32_e32 v78, 1, v74
	s_wait_dscnt 0x0
	v_and_b32_e32 v79, 0xff, v75
	v_and_b32_e32 v80, 0xff, v76
	v_cndmask_b32_e64 v77, v77, v73, s11
	v_cndmask_b32_e64 v78, v74, v78, s11
	s_delay_alu instid0(VALU_DEP_3) | instskip(NEXT) | instid1(VALU_DEP_3)
	v_cmp_lt_u16_e64 s13, v80, v79
                                        ; implicit-def: $vgpr80
	v_cmp_ge_i32_e64 s12, v77, v22
	s_delay_alu instid0(VALU_DEP_3)
	v_cmp_lt_i32_e64 s14, v78, v23
	s_or_b32 s12, s12, s13
	s_wait_alu 0xfffe
	s_and_b32 s12, s14, s12
	s_wait_alu 0xfffe
	s_xor_b32 s13, s12, -1
	s_wait_alu 0xfffe
	s_and_saveexec_b32 s14, s13
	s_wait_alu 0xfffe
	s_xor_b32 s13, exec_lo, s14
; %bb.123:                              ;   in Loop: Header=BB109_2 Depth=1
	ds_load_u8 v80, v77 offset:1
; %bb.124:                              ;   in Loop: Header=BB109_2 Depth=1
	s_wait_alu 0xfffe
	s_or_saveexec_b32 s13, s13
	v_mov_b32_e32 v82, v76
	s_wait_alu 0xfffe
	s_xor_b32 exec_lo, exec_lo, s13
	s_cbranch_execz .LBB109_126
; %bb.125:                              ;   in Loop: Header=BB109_2 Depth=1
	ds_load_u8 v82, v78 offset:1
	s_wait_dscnt 0x1
	v_mov_b32_e32 v80, v75
.LBB109_126:                            ;   in Loop: Header=BB109_2 Depth=1
	s_or_b32 exec_lo, exec_lo, s13
	v_add_nc_u32_e32 v79, 1, v77
	v_add_nc_u32_e32 v81, 1, v78
	s_wait_dscnt 0x0
	v_and_b32_e32 v85, 0xff, v80
	s_delay_alu instid0(VALU_DEP_3) | instskip(SKIP_2) | instid1(VALU_DEP_3)
	v_cndmask_b32_e64 v83, v79, v77, s12
	v_and_b32_e32 v79, 0xff, v82
	v_cndmask_b32_e64 v84, v78, v81, s12
	v_cmp_ge_i32_e64 s13, v83, v22
	s_delay_alu instid0(VALU_DEP_3) | instskip(NEXT) | instid1(VALU_DEP_3)
	v_cmp_lt_u16_e64 s14, v79, v85
	v_cmp_lt_i32_e64 s15, v84, v23
                                        ; implicit-def: $vgpr79
	s_or_b32 s13, s13, s14
	s_wait_alu 0xfffe
	s_and_b32 s13, s15, s13
	s_wait_alu 0xfffe
	s_xor_b32 s14, s13, -1
	s_wait_alu 0xfffe
	s_and_saveexec_b32 s15, s14
	s_wait_alu 0xfffe
	s_xor_b32 s14, exec_lo, s15
; %bb.127:                              ;   in Loop: Header=BB109_2 Depth=1
	ds_load_u8 v79, v83 offset:1
; %bb.128:                              ;   in Loop: Header=BB109_2 Depth=1
	s_wait_alu 0xfffe
	s_or_saveexec_b32 s14, s14
	v_mov_b32_e32 v81, v82
	s_wait_alu 0xfffe
	s_xor_b32 exec_lo, exec_lo, s14
	s_cbranch_execz .LBB109_130
; %bb.129:                              ;   in Loop: Header=BB109_2 Depth=1
	ds_load_u8 v81, v84 offset:1
	s_wait_dscnt 0x1
	v_mov_b32_e32 v79, v80
.LBB109_130:                            ;   in Loop: Header=BB109_2 Depth=1
	s_or_b32 exec_lo, exec_lo, s14
	v_add_nc_u32_e32 v86, 1, v83
	v_add_nc_u32_e32 v85, 1, v84
	v_cndmask_b32_e64 v80, v80, v82, s13
	v_cndmask_b32_e64 v82, v83, v84, s13
	;; [unrolled: 1-line block ×5, first 2 shown]
	s_wait_dscnt 0x0
	v_and_b32_e32 v69, 0xff, v79
	v_and_b32_e32 v70, 0xff, v81
	v_cndmask_b32_e64 v84, v84, v85, s13
	v_cndmask_b32_e64 v63, v63, v64, s9
	;; [unrolled: 1-line block ×3, first 2 shown]
	v_cmp_ge_i32_e64 s9, v83, v22
	v_cmp_lt_u16_e64 s10, v70, v69
	v_cndmask_b32_e64 v57, v57, v58, s7
	v_cndmask_b32_e64 v55, v55, v56, s7
	v_cmp_lt_i32_e64 s7, v84, v23
	v_perm_b32 v52, v52, v53, 0xc0c0004
	v_perm_b32 v51, v54, v51, 0xc0c0004
	;; [unrolled: 1-line block ×4, first 2 shown]
	v_cndmask_b32_e64 v59, v59, v60, s8
	v_cndmask_b32_e64 v60, v61, v62, s8
	s_or_b32 s8, s9, s10
	v_cndmask_b32_e64 v75, v75, v76, s12
	s_wait_alu 0xfffe
	s_and_b32 s7, s7, s8
	v_cndmask_b32_e64 v71, v71, v72, s11
	s_wait_alu 0xfffe
	v_cndmask_b32_e64 v4, v79, v81, s7
	v_lshl_or_b32 v2, v51, 16, v52
	v_lshl_or_b32 v1, v3, 16, v1
	s_wait_loadcnt 0x0
	s_barrier_signal -1
	s_barrier_wait -1
	global_inv scope:SCOPE_SE
	ds_store_b64 v5, v[1:2]
	v_lshlrev_b16 v1, 8, v59
	v_and_b32_e32 v2, 0xff, v57
	v_lshlrev_b16 v3, 8, v67
	v_and_b32_e32 v51, 0xff, v63
	v_lshlrev_b16 v52, 8, v75
	v_and_b32_e32 v54, 0xff, v71
	v_and_b32_e32 v56, 0xff, v80
	v_lshlrev_b16 v4, 8, v4
	v_cndmask_b32_e64 v53, v83, v84, s7
	v_cndmask_b32_e64 v76, v77, v78, s12
	;; [unrolled: 1-line block ×3, first 2 shown]
	s_wait_loadcnt_dscnt 0x0
	s_barrier_signal -1
	s_barrier_wait -1
	global_inv scope:SCOPE_SE
	v_or_b32_e32 v57, v2, v1
	v_or_b32_e32 v58, v51, v3
	;; [unrolled: 1-line block ×4, first 2 shown]
	ds_load_u8 v1, v55
	ds_load_u8 v51, v53
	;; [unrolled: 1-line block ×8, first 2 shown]
	v_and_b32_e32 v55, 0xffff, v57
	v_lshlrev_b32_e32 v57, 16, v58
	v_and_b32_e32 v58, 0xffff, v59
	v_lshlrev_b32_e32 v56, 16, v56
	s_wait_loadcnt_dscnt 0x0
	s_barrier_signal -1
	v_or_b32_e32 v55, v55, v57
	s_barrier_wait -1
	v_or_b32_e32 v56, v58, v56
	global_inv scope:SCOPE_SE
	ds_store_b64 v5, v[55:56]
	v_mov_b32_e32 v56, v48
	s_wait_loadcnt_dscnt 0x0
	s_barrier_signal -1
	s_barrier_wait -1
	global_inv scope:SCOPE_SE
	s_and_saveexec_b32 s8, s4
	s_cbranch_execz .LBB109_134
; %bb.131:                              ;   in Loop: Header=BB109_2 Depth=1
	v_dual_mov_b32 v56, v48 :: v_dual_mov_b32 v55, v41
	s_mov_b32 s9, 0
.LBB109_132:                            ;   Parent Loop BB109_2 Depth=1
                                        ; =>  This Inner Loop Header: Depth=2
	s_delay_alu instid0(VALU_DEP_1) | instskip(NEXT) | instid1(VALU_DEP_1)
	v_sub_nc_u32_e32 v57, v55, v56
	v_lshrrev_b32_e32 v57, 1, v57
	s_delay_alu instid0(VALU_DEP_1) | instskip(NEXT) | instid1(VALU_DEP_1)
	v_add_nc_u32_e32 v57, v57, v56
	v_add_nc_u32_e32 v58, v10, v57
	v_xad_u32 v59, v57, -1, v34
	v_add_nc_u32_e32 v60, 1, v57
	ds_load_u8 v58, v58
	ds_load_u8 v59, v59
	s_wait_dscnt 0x0
	v_cmp_lt_u16_e64 s7, v59, v58
	s_wait_alu 0xf1ff
	s_delay_alu instid0(VALU_DEP_1) | instskip(SKIP_1) | instid1(VALU_DEP_1)
	v_cndmask_b32_e64 v55, v55, v57, s7
	v_cndmask_b32_e64 v56, v60, v56, s7
	v_cmp_ge_i32_e64 s7, v56, v55
	s_wait_alu 0xfffe
	s_or_b32 s9, s7, s9
	s_wait_alu 0xfffe
	s_and_not1_b32 exec_lo, exec_lo, s9
	s_cbranch_execnz .LBB109_132
; %bb.133:                              ;   in Loop: Header=BB109_2 Depth=1
	s_or_b32 exec_lo, exec_lo, s9
.LBB109_134:                            ;   in Loop: Header=BB109_2 Depth=1
	s_wait_alu 0xfffe
	s_or_b32 exec_lo, exec_lo, s8
	v_add_nc_u32_e32 v55, v56, v10
	v_sub_nc_u32_e32 v56, v34, v56
	ds_load_u8 v57, v55
	ds_load_u8 v58, v56
	v_cmp_le_i32_e64 s7, v24, v55
	v_cmp_gt_i32_e64 s9, v25, v56
	s_wait_dscnt 0x1
	v_and_b32_e32 v59, 0xff, v57
	s_wait_dscnt 0x0
	v_and_b32_e32 v60, 0xff, v58
	s_delay_alu instid0(VALU_DEP_1)
	v_cmp_lt_u16_e64 s8, v60, v59
                                        ; implicit-def: $vgpr59
	s_or_b32 s7, s7, s8
	s_wait_alu 0xfffe
	s_and_b32 s7, s9, s7
	s_wait_alu 0xfffe
	s_xor_b32 s8, s7, -1
	s_wait_alu 0xfffe
	s_and_saveexec_b32 s9, s8
	s_wait_alu 0xfffe
	s_xor_b32 s8, exec_lo, s9
; %bb.135:                              ;   in Loop: Header=BB109_2 Depth=1
	ds_load_u8 v59, v55 offset:1
; %bb.136:                              ;   in Loop: Header=BB109_2 Depth=1
	s_wait_alu 0xfffe
	s_or_saveexec_b32 s8, s8
	v_mov_b32_e32 v60, v58
	s_wait_alu 0xfffe
	s_xor_b32 exec_lo, exec_lo, s8
	s_cbranch_execz .LBB109_138
; %bb.137:                              ;   in Loop: Header=BB109_2 Depth=1
	ds_load_u8 v60, v56 offset:1
	s_wait_dscnt 0x1
	v_mov_b32_e32 v59, v57
.LBB109_138:                            ;   in Loop: Header=BB109_2 Depth=1
	s_or_b32 exec_lo, exec_lo, s8
	v_add_nc_u32_e32 v61, 1, v55
	v_add_nc_u32_e32 v62, 1, v56
	s_wait_dscnt 0x0
	v_and_b32_e32 v63, 0xff, v59
	v_and_b32_e32 v64, 0xff, v60
	v_cndmask_b32_e64 v61, v61, v55, s7
	v_cndmask_b32_e64 v62, v56, v62, s7
	s_delay_alu instid0(VALU_DEP_3) | instskip(NEXT) | instid1(VALU_DEP_3)
	v_cmp_lt_u16_e64 s9, v64, v63
                                        ; implicit-def: $vgpr63
	v_cmp_ge_i32_e64 s8, v61, v24
	s_delay_alu instid0(VALU_DEP_3)
	v_cmp_lt_i32_e64 s10, v62, v25
	s_or_b32 s8, s8, s9
	s_wait_alu 0xfffe
	s_and_b32 s8, s10, s8
	s_wait_alu 0xfffe
	s_xor_b32 s9, s8, -1
	s_wait_alu 0xfffe
	s_and_saveexec_b32 s10, s9
	s_wait_alu 0xfffe
	s_xor_b32 s9, exec_lo, s10
; %bb.139:                              ;   in Loop: Header=BB109_2 Depth=1
	ds_load_u8 v63, v61 offset:1
; %bb.140:                              ;   in Loop: Header=BB109_2 Depth=1
	s_wait_alu 0xfffe
	s_or_saveexec_b32 s9, s9
	v_mov_b32_e32 v64, v60
	s_wait_alu 0xfffe
	s_xor_b32 exec_lo, exec_lo, s9
	s_cbranch_execz .LBB109_142
; %bb.141:                              ;   in Loop: Header=BB109_2 Depth=1
	ds_load_u8 v64, v62 offset:1
	s_wait_dscnt 0x1
	v_mov_b32_e32 v63, v59
.LBB109_142:                            ;   in Loop: Header=BB109_2 Depth=1
	s_or_b32 exec_lo, exec_lo, s9
	v_add_nc_u32_e32 v65, 1, v61
	v_add_nc_u32_e32 v66, 1, v62
	s_wait_dscnt 0x0
	v_and_b32_e32 v67, 0xff, v63
	v_and_b32_e32 v68, 0xff, v64
	v_cndmask_b32_e64 v65, v65, v61, s8
	v_cndmask_b32_e64 v66, v62, v66, s8
	s_delay_alu instid0(VALU_DEP_3) | instskip(NEXT) | instid1(VALU_DEP_3)
	v_cmp_lt_u16_e64 s10, v68, v67
                                        ; implicit-def: $vgpr67
	v_cmp_ge_i32_e64 s9, v65, v24
	s_delay_alu instid0(VALU_DEP_3)
	v_cmp_lt_i32_e64 s11, v66, v25
	s_or_b32 s9, s9, s10
	s_wait_alu 0xfffe
	s_and_b32 s9, s11, s9
	s_wait_alu 0xfffe
	s_xor_b32 s10, s9, -1
	s_wait_alu 0xfffe
	s_and_saveexec_b32 s11, s10
	s_wait_alu 0xfffe
	s_xor_b32 s10, exec_lo, s11
; %bb.143:                              ;   in Loop: Header=BB109_2 Depth=1
	ds_load_u8 v67, v65 offset:1
; %bb.144:                              ;   in Loop: Header=BB109_2 Depth=1
	s_wait_alu 0xfffe
	s_or_saveexec_b32 s10, s10
	v_mov_b32_e32 v68, v64
	s_wait_alu 0xfffe
	s_xor_b32 exec_lo, exec_lo, s10
	s_cbranch_execz .LBB109_146
; %bb.145:                              ;   in Loop: Header=BB109_2 Depth=1
	ds_load_u8 v68, v66 offset:1
	s_wait_dscnt 0x1
	v_mov_b32_e32 v67, v63
.LBB109_146:                            ;   in Loop: Header=BB109_2 Depth=1
	s_or_b32 exec_lo, exec_lo, s10
	v_add_nc_u32_e32 v69, 1, v65
	v_add_nc_u32_e32 v70, 1, v66
	s_wait_dscnt 0x0
	v_and_b32_e32 v71, 0xff, v67
	v_and_b32_e32 v72, 0xff, v68
	v_cndmask_b32_e64 v69, v69, v65, s9
	v_cndmask_b32_e64 v70, v66, v70, s9
	s_delay_alu instid0(VALU_DEP_3) | instskip(NEXT) | instid1(VALU_DEP_3)
	v_cmp_lt_u16_e64 s11, v72, v71
                                        ; implicit-def: $vgpr71
	v_cmp_ge_i32_e64 s10, v69, v24
	s_delay_alu instid0(VALU_DEP_3)
	v_cmp_lt_i32_e64 s12, v70, v25
	s_or_b32 s10, s10, s11
	s_wait_alu 0xfffe
	s_and_b32 s10, s12, s10
	s_wait_alu 0xfffe
	s_xor_b32 s11, s10, -1
	s_wait_alu 0xfffe
	s_and_saveexec_b32 s12, s11
	s_wait_alu 0xfffe
	s_xor_b32 s11, exec_lo, s12
; %bb.147:                              ;   in Loop: Header=BB109_2 Depth=1
	ds_load_u8 v71, v69 offset:1
; %bb.148:                              ;   in Loop: Header=BB109_2 Depth=1
	s_wait_alu 0xfffe
	s_or_saveexec_b32 s11, s11
	v_mov_b32_e32 v72, v68
	s_wait_alu 0xfffe
	s_xor_b32 exec_lo, exec_lo, s11
	s_cbranch_execz .LBB109_150
; %bb.149:                              ;   in Loop: Header=BB109_2 Depth=1
	ds_load_u8 v72, v70 offset:1
	s_wait_dscnt 0x1
	v_mov_b32_e32 v71, v67
.LBB109_150:                            ;   in Loop: Header=BB109_2 Depth=1
	s_or_b32 exec_lo, exec_lo, s11
	v_add_nc_u32_e32 v73, 1, v69
	v_add_nc_u32_e32 v74, 1, v70
	s_wait_dscnt 0x0
	v_and_b32_e32 v75, 0xff, v71
	v_and_b32_e32 v76, 0xff, v72
	v_cndmask_b32_e64 v73, v73, v69, s10
	v_cndmask_b32_e64 v74, v70, v74, s10
	s_delay_alu instid0(VALU_DEP_3) | instskip(NEXT) | instid1(VALU_DEP_3)
	v_cmp_lt_u16_e64 s12, v76, v75
                                        ; implicit-def: $vgpr75
	v_cmp_ge_i32_e64 s11, v73, v24
	s_delay_alu instid0(VALU_DEP_3)
	v_cmp_lt_i32_e64 s13, v74, v25
	s_or_b32 s11, s11, s12
	s_wait_alu 0xfffe
	s_and_b32 s11, s13, s11
	s_wait_alu 0xfffe
	s_xor_b32 s12, s11, -1
	s_wait_alu 0xfffe
	s_and_saveexec_b32 s13, s12
	s_wait_alu 0xfffe
	s_xor_b32 s12, exec_lo, s13
; %bb.151:                              ;   in Loop: Header=BB109_2 Depth=1
	ds_load_u8 v75, v73 offset:1
; %bb.152:                              ;   in Loop: Header=BB109_2 Depth=1
	s_wait_alu 0xfffe
	s_or_saveexec_b32 s12, s12
	v_mov_b32_e32 v76, v72
	s_wait_alu 0xfffe
	s_xor_b32 exec_lo, exec_lo, s12
	s_cbranch_execz .LBB109_154
; %bb.153:                              ;   in Loop: Header=BB109_2 Depth=1
	ds_load_u8 v76, v74 offset:1
	s_wait_dscnt 0x1
	v_mov_b32_e32 v75, v71
.LBB109_154:                            ;   in Loop: Header=BB109_2 Depth=1
	s_or_b32 exec_lo, exec_lo, s12
	v_add_nc_u32_e32 v77, 1, v73
	v_add_nc_u32_e32 v78, 1, v74
	s_wait_dscnt 0x0
	v_and_b32_e32 v79, 0xff, v75
	v_and_b32_e32 v80, 0xff, v76
	v_cndmask_b32_e64 v77, v77, v73, s11
	v_cndmask_b32_e64 v78, v74, v78, s11
	s_delay_alu instid0(VALU_DEP_3) | instskip(NEXT) | instid1(VALU_DEP_3)
	v_cmp_lt_u16_e64 s13, v80, v79
                                        ; implicit-def: $vgpr80
	v_cmp_ge_i32_e64 s12, v77, v24
	s_delay_alu instid0(VALU_DEP_3)
	v_cmp_lt_i32_e64 s14, v78, v25
	s_or_b32 s12, s12, s13
	s_wait_alu 0xfffe
	s_and_b32 s12, s14, s12
	s_wait_alu 0xfffe
	s_xor_b32 s13, s12, -1
	s_wait_alu 0xfffe
	s_and_saveexec_b32 s14, s13
	s_wait_alu 0xfffe
	s_xor_b32 s13, exec_lo, s14
; %bb.155:                              ;   in Loop: Header=BB109_2 Depth=1
	ds_load_u8 v80, v77 offset:1
; %bb.156:                              ;   in Loop: Header=BB109_2 Depth=1
	s_wait_alu 0xfffe
	s_or_saveexec_b32 s13, s13
	v_mov_b32_e32 v82, v76
	s_wait_alu 0xfffe
	s_xor_b32 exec_lo, exec_lo, s13
	s_cbranch_execz .LBB109_158
; %bb.157:                              ;   in Loop: Header=BB109_2 Depth=1
	ds_load_u8 v82, v78 offset:1
	s_wait_dscnt 0x1
	v_mov_b32_e32 v80, v75
.LBB109_158:                            ;   in Loop: Header=BB109_2 Depth=1
	s_or_b32 exec_lo, exec_lo, s13
	v_add_nc_u32_e32 v79, 1, v77
	v_add_nc_u32_e32 v81, 1, v78
	s_wait_dscnt 0x0
	v_and_b32_e32 v85, 0xff, v80
	s_delay_alu instid0(VALU_DEP_3) | instskip(SKIP_2) | instid1(VALU_DEP_3)
	v_cndmask_b32_e64 v83, v79, v77, s12
	v_and_b32_e32 v79, 0xff, v82
	v_cndmask_b32_e64 v84, v78, v81, s12
	v_cmp_ge_i32_e64 s13, v83, v24
	s_delay_alu instid0(VALU_DEP_3) | instskip(NEXT) | instid1(VALU_DEP_3)
	v_cmp_lt_u16_e64 s14, v79, v85
	v_cmp_lt_i32_e64 s15, v84, v25
                                        ; implicit-def: $vgpr79
	s_or_b32 s13, s13, s14
	s_wait_alu 0xfffe
	s_and_b32 s13, s15, s13
	s_wait_alu 0xfffe
	s_xor_b32 s14, s13, -1
	s_wait_alu 0xfffe
	s_and_saveexec_b32 s15, s14
	s_wait_alu 0xfffe
	s_xor_b32 s14, exec_lo, s15
; %bb.159:                              ;   in Loop: Header=BB109_2 Depth=1
	ds_load_u8 v79, v83 offset:1
; %bb.160:                              ;   in Loop: Header=BB109_2 Depth=1
	s_wait_alu 0xfffe
	s_or_saveexec_b32 s14, s14
	v_mov_b32_e32 v81, v82
	s_wait_alu 0xfffe
	s_xor_b32 exec_lo, exec_lo, s14
	s_cbranch_execz .LBB109_162
; %bb.161:                              ;   in Loop: Header=BB109_2 Depth=1
	ds_load_u8 v81, v84 offset:1
	s_wait_dscnt 0x1
	v_mov_b32_e32 v79, v80
.LBB109_162:                            ;   in Loop: Header=BB109_2 Depth=1
	s_or_b32 exec_lo, exec_lo, s14
	v_add_nc_u32_e32 v86, 1, v83
	v_add_nc_u32_e32 v85, 1, v84
	v_cndmask_b32_e64 v80, v80, v82, s13
	v_cndmask_b32_e64 v82, v83, v84, s13
	;; [unrolled: 1-line block ×5, first 2 shown]
	s_wait_dscnt 0x0
	v_and_b32_e32 v69, 0xff, v79
	v_and_b32_e32 v70, 0xff, v81
	v_cndmask_b32_e64 v84, v84, v85, s13
	v_cndmask_b32_e64 v63, v63, v64, s9
	;; [unrolled: 1-line block ×3, first 2 shown]
	v_cmp_ge_i32_e64 s9, v83, v24
	v_cmp_lt_u16_e64 s10, v70, v69
	v_cndmask_b32_e64 v57, v57, v58, s7
	v_cndmask_b32_e64 v55, v55, v56, s7
	v_cmp_lt_i32_e64 s7, v84, v25
	v_perm_b32 v52, v52, v53, 0xc0c0004
	v_perm_b32 v51, v54, v51, 0xc0c0004
	;; [unrolled: 1-line block ×4, first 2 shown]
	v_cndmask_b32_e64 v59, v59, v60, s8
	v_cndmask_b32_e64 v60, v61, v62, s8
	s_or_b32 s8, s9, s10
	v_cndmask_b32_e64 v75, v75, v76, s12
	s_wait_alu 0xfffe
	s_and_b32 s7, s7, s8
	v_cndmask_b32_e64 v71, v71, v72, s11
	s_wait_alu 0xfffe
	v_cndmask_b32_e64 v4, v79, v81, s7
	v_lshl_or_b32 v2, v51, 16, v52
	v_lshl_or_b32 v1, v3, 16, v1
	s_wait_loadcnt 0x0
	s_barrier_signal -1
	s_barrier_wait -1
	global_inv scope:SCOPE_SE
	ds_store_b64 v5, v[1:2]
	v_lshlrev_b16 v1, 8, v59
	v_and_b32_e32 v2, 0xff, v57
	v_lshlrev_b16 v3, 8, v67
	v_and_b32_e32 v51, 0xff, v63
	;; [unrolled: 2-line block ×3, first 2 shown]
	v_and_b32_e32 v56, 0xff, v80
	v_lshlrev_b16 v4, 8, v4
	v_cndmask_b32_e64 v53, v83, v84, s7
	v_cndmask_b32_e64 v76, v77, v78, s12
	;; [unrolled: 1-line block ×3, first 2 shown]
	s_wait_loadcnt_dscnt 0x0
	s_barrier_signal -1
	s_barrier_wait -1
	global_inv scope:SCOPE_SE
	v_or_b32_e32 v57, v2, v1
	v_or_b32_e32 v58, v51, v3
	v_or_b32_e32 v59, v54, v52
	v_or_b32_e32 v56, v56, v4
	ds_load_u8 v1, v55
	ds_load_u8 v51, v53
	ds_load_u8 v2, v60
	ds_load_u8 v3, v64
	ds_load_u8 v4, v68
	ds_load_u8 v52, v72
	ds_load_u8 v53, v76
	ds_load_u8 v54, v82
	v_and_b32_e32 v55, 0xffff, v57
	v_lshlrev_b32_e32 v57, 16, v58
	v_and_b32_e32 v58, 0xffff, v59
	v_lshlrev_b32_e32 v56, 16, v56
	s_wait_loadcnt_dscnt 0x0
	s_barrier_signal -1
	v_or_b32_e32 v55, v55, v57
	s_barrier_wait -1
	v_or_b32_e32 v56, v58, v56
	global_inv scope:SCOPE_SE
	ds_store_b64 v5, v[55:56]
	v_mov_b32_e32 v56, v49
	s_wait_loadcnt_dscnt 0x0
	s_barrier_signal -1
	s_barrier_wait -1
	global_inv scope:SCOPE_SE
	s_and_saveexec_b32 s8, s5
	s_cbranch_execz .LBB109_166
; %bb.163:                              ;   in Loop: Header=BB109_2 Depth=1
	v_dual_mov_b32 v56, v49 :: v_dual_mov_b32 v55, v42
	s_mov_b32 s9, 0
.LBB109_164:                            ;   Parent Loop BB109_2 Depth=1
                                        ; =>  This Inner Loop Header: Depth=2
	s_delay_alu instid0(VALU_DEP_1) | instskip(NEXT) | instid1(VALU_DEP_1)
	v_sub_nc_u32_e32 v57, v55, v56
	v_lshrrev_b32_e32 v57, 1, v57
	s_delay_alu instid0(VALU_DEP_1) | instskip(NEXT) | instid1(VALU_DEP_1)
	v_add_nc_u32_e32 v57, v57, v56
	v_add_nc_u32_e32 v58, v11, v57
	v_xad_u32 v59, v57, -1, v35
	v_add_nc_u32_e32 v60, 1, v57
	ds_load_u8 v58, v58
	ds_load_u8 v59, v59
	s_wait_dscnt 0x0
	v_cmp_lt_u16_e64 s7, v59, v58
	s_wait_alu 0xf1ff
	s_delay_alu instid0(VALU_DEP_1) | instskip(SKIP_1) | instid1(VALU_DEP_1)
	v_cndmask_b32_e64 v55, v55, v57, s7
	v_cndmask_b32_e64 v56, v60, v56, s7
	v_cmp_ge_i32_e64 s7, v56, v55
	s_wait_alu 0xfffe
	s_or_b32 s9, s7, s9
	s_wait_alu 0xfffe
	s_and_not1_b32 exec_lo, exec_lo, s9
	s_cbranch_execnz .LBB109_164
; %bb.165:                              ;   in Loop: Header=BB109_2 Depth=1
	s_or_b32 exec_lo, exec_lo, s9
.LBB109_166:                            ;   in Loop: Header=BB109_2 Depth=1
	s_wait_alu 0xfffe
	s_or_b32 exec_lo, exec_lo, s8
	v_add_nc_u32_e32 v55, v56, v11
	v_sub_nc_u32_e32 v56, v35, v56
	ds_load_u8 v57, v55
	ds_load_u8 v58, v56
	v_cmp_le_i32_e64 s7, v26, v55
	v_cmp_gt_i32_e64 s9, v27, v56
	s_wait_dscnt 0x1
	v_and_b32_e32 v59, 0xff, v57
	s_wait_dscnt 0x0
	v_and_b32_e32 v60, 0xff, v58
	s_delay_alu instid0(VALU_DEP_1)
	v_cmp_lt_u16_e64 s8, v60, v59
                                        ; implicit-def: $vgpr59
	s_or_b32 s7, s7, s8
	s_wait_alu 0xfffe
	s_and_b32 s7, s9, s7
	s_wait_alu 0xfffe
	s_xor_b32 s8, s7, -1
	s_wait_alu 0xfffe
	s_and_saveexec_b32 s9, s8
	s_wait_alu 0xfffe
	s_xor_b32 s8, exec_lo, s9
; %bb.167:                              ;   in Loop: Header=BB109_2 Depth=1
	ds_load_u8 v59, v55 offset:1
; %bb.168:                              ;   in Loop: Header=BB109_2 Depth=1
	s_wait_alu 0xfffe
	s_or_saveexec_b32 s8, s8
	v_mov_b32_e32 v60, v58
	s_wait_alu 0xfffe
	s_xor_b32 exec_lo, exec_lo, s8
	s_cbranch_execz .LBB109_170
; %bb.169:                              ;   in Loop: Header=BB109_2 Depth=1
	ds_load_u8 v60, v56 offset:1
	s_wait_dscnt 0x1
	v_mov_b32_e32 v59, v57
.LBB109_170:                            ;   in Loop: Header=BB109_2 Depth=1
	s_or_b32 exec_lo, exec_lo, s8
	v_add_nc_u32_e32 v61, 1, v55
	v_add_nc_u32_e32 v62, 1, v56
	s_wait_dscnt 0x0
	v_and_b32_e32 v63, 0xff, v59
	v_and_b32_e32 v64, 0xff, v60
	v_cndmask_b32_e64 v61, v61, v55, s7
	v_cndmask_b32_e64 v62, v56, v62, s7
	s_delay_alu instid0(VALU_DEP_3) | instskip(NEXT) | instid1(VALU_DEP_3)
	v_cmp_lt_u16_e64 s9, v64, v63
                                        ; implicit-def: $vgpr63
	v_cmp_ge_i32_e64 s8, v61, v26
	s_delay_alu instid0(VALU_DEP_3)
	v_cmp_lt_i32_e64 s10, v62, v27
	s_or_b32 s8, s8, s9
	s_wait_alu 0xfffe
	s_and_b32 s8, s10, s8
	s_wait_alu 0xfffe
	s_xor_b32 s9, s8, -1
	s_wait_alu 0xfffe
	s_and_saveexec_b32 s10, s9
	s_wait_alu 0xfffe
	s_xor_b32 s9, exec_lo, s10
; %bb.171:                              ;   in Loop: Header=BB109_2 Depth=1
	ds_load_u8 v63, v61 offset:1
; %bb.172:                              ;   in Loop: Header=BB109_2 Depth=1
	s_wait_alu 0xfffe
	s_or_saveexec_b32 s9, s9
	v_mov_b32_e32 v64, v60
	s_wait_alu 0xfffe
	s_xor_b32 exec_lo, exec_lo, s9
	s_cbranch_execz .LBB109_174
; %bb.173:                              ;   in Loop: Header=BB109_2 Depth=1
	ds_load_u8 v64, v62 offset:1
	s_wait_dscnt 0x1
	v_mov_b32_e32 v63, v59
.LBB109_174:                            ;   in Loop: Header=BB109_2 Depth=1
	s_or_b32 exec_lo, exec_lo, s9
	v_add_nc_u32_e32 v65, 1, v61
	v_add_nc_u32_e32 v66, 1, v62
	s_wait_dscnt 0x0
	v_and_b32_e32 v67, 0xff, v63
	v_and_b32_e32 v68, 0xff, v64
	v_cndmask_b32_e64 v65, v65, v61, s8
	v_cndmask_b32_e64 v66, v62, v66, s8
	s_delay_alu instid0(VALU_DEP_3) | instskip(NEXT) | instid1(VALU_DEP_3)
	v_cmp_lt_u16_e64 s10, v68, v67
                                        ; implicit-def: $vgpr67
	v_cmp_ge_i32_e64 s9, v65, v26
	s_delay_alu instid0(VALU_DEP_3)
	v_cmp_lt_i32_e64 s11, v66, v27
	s_or_b32 s9, s9, s10
	s_wait_alu 0xfffe
	s_and_b32 s9, s11, s9
	s_wait_alu 0xfffe
	s_xor_b32 s10, s9, -1
	s_wait_alu 0xfffe
	s_and_saveexec_b32 s11, s10
	s_wait_alu 0xfffe
	s_xor_b32 s10, exec_lo, s11
; %bb.175:                              ;   in Loop: Header=BB109_2 Depth=1
	ds_load_u8 v67, v65 offset:1
; %bb.176:                              ;   in Loop: Header=BB109_2 Depth=1
	s_wait_alu 0xfffe
	s_or_saveexec_b32 s10, s10
	v_mov_b32_e32 v68, v64
	s_wait_alu 0xfffe
	s_xor_b32 exec_lo, exec_lo, s10
	s_cbranch_execz .LBB109_178
; %bb.177:                              ;   in Loop: Header=BB109_2 Depth=1
	ds_load_u8 v68, v66 offset:1
	s_wait_dscnt 0x1
	v_mov_b32_e32 v67, v63
.LBB109_178:                            ;   in Loop: Header=BB109_2 Depth=1
	s_or_b32 exec_lo, exec_lo, s10
	v_add_nc_u32_e32 v69, 1, v65
	v_add_nc_u32_e32 v70, 1, v66
	s_wait_dscnt 0x0
	v_and_b32_e32 v71, 0xff, v67
	v_and_b32_e32 v72, 0xff, v68
	v_cndmask_b32_e64 v69, v69, v65, s9
	v_cndmask_b32_e64 v70, v66, v70, s9
	s_delay_alu instid0(VALU_DEP_3) | instskip(NEXT) | instid1(VALU_DEP_3)
	v_cmp_lt_u16_e64 s11, v72, v71
                                        ; implicit-def: $vgpr71
	v_cmp_ge_i32_e64 s10, v69, v26
	s_delay_alu instid0(VALU_DEP_3)
	v_cmp_lt_i32_e64 s12, v70, v27
	s_or_b32 s10, s10, s11
	s_wait_alu 0xfffe
	s_and_b32 s10, s12, s10
	s_wait_alu 0xfffe
	s_xor_b32 s11, s10, -1
	s_wait_alu 0xfffe
	s_and_saveexec_b32 s12, s11
	s_wait_alu 0xfffe
	s_xor_b32 s11, exec_lo, s12
; %bb.179:                              ;   in Loop: Header=BB109_2 Depth=1
	ds_load_u8 v71, v69 offset:1
; %bb.180:                              ;   in Loop: Header=BB109_2 Depth=1
	s_wait_alu 0xfffe
	s_or_saveexec_b32 s11, s11
	v_mov_b32_e32 v72, v68
	s_wait_alu 0xfffe
	s_xor_b32 exec_lo, exec_lo, s11
	s_cbranch_execz .LBB109_182
; %bb.181:                              ;   in Loop: Header=BB109_2 Depth=1
	ds_load_u8 v72, v70 offset:1
	s_wait_dscnt 0x1
	v_mov_b32_e32 v71, v67
.LBB109_182:                            ;   in Loop: Header=BB109_2 Depth=1
	s_or_b32 exec_lo, exec_lo, s11
	v_add_nc_u32_e32 v73, 1, v69
	v_add_nc_u32_e32 v74, 1, v70
	s_wait_dscnt 0x0
	v_and_b32_e32 v75, 0xff, v71
	v_and_b32_e32 v76, 0xff, v72
	v_cndmask_b32_e64 v73, v73, v69, s10
	v_cndmask_b32_e64 v74, v70, v74, s10
	s_delay_alu instid0(VALU_DEP_3) | instskip(NEXT) | instid1(VALU_DEP_3)
	v_cmp_lt_u16_e64 s12, v76, v75
                                        ; implicit-def: $vgpr75
	v_cmp_ge_i32_e64 s11, v73, v26
	s_delay_alu instid0(VALU_DEP_3)
	v_cmp_lt_i32_e64 s13, v74, v27
	s_or_b32 s11, s11, s12
	s_wait_alu 0xfffe
	s_and_b32 s11, s13, s11
	s_wait_alu 0xfffe
	s_xor_b32 s12, s11, -1
	s_wait_alu 0xfffe
	s_and_saveexec_b32 s13, s12
	s_wait_alu 0xfffe
	s_xor_b32 s12, exec_lo, s13
; %bb.183:                              ;   in Loop: Header=BB109_2 Depth=1
	ds_load_u8 v75, v73 offset:1
; %bb.184:                              ;   in Loop: Header=BB109_2 Depth=1
	s_wait_alu 0xfffe
	s_or_saveexec_b32 s12, s12
	v_mov_b32_e32 v76, v72
	s_wait_alu 0xfffe
	s_xor_b32 exec_lo, exec_lo, s12
	s_cbranch_execz .LBB109_186
; %bb.185:                              ;   in Loop: Header=BB109_2 Depth=1
	ds_load_u8 v76, v74 offset:1
	s_wait_dscnt 0x1
	v_mov_b32_e32 v75, v71
.LBB109_186:                            ;   in Loop: Header=BB109_2 Depth=1
	s_or_b32 exec_lo, exec_lo, s12
	v_add_nc_u32_e32 v77, 1, v73
	v_add_nc_u32_e32 v78, 1, v74
	s_wait_dscnt 0x0
	v_and_b32_e32 v79, 0xff, v75
	v_and_b32_e32 v80, 0xff, v76
	v_cndmask_b32_e64 v77, v77, v73, s11
	v_cndmask_b32_e64 v78, v74, v78, s11
	s_delay_alu instid0(VALU_DEP_3) | instskip(NEXT) | instid1(VALU_DEP_3)
	v_cmp_lt_u16_e64 s13, v80, v79
                                        ; implicit-def: $vgpr80
	v_cmp_ge_i32_e64 s12, v77, v26
	s_delay_alu instid0(VALU_DEP_3)
	v_cmp_lt_i32_e64 s14, v78, v27
	s_or_b32 s12, s12, s13
	s_wait_alu 0xfffe
	s_and_b32 s12, s14, s12
	s_wait_alu 0xfffe
	s_xor_b32 s13, s12, -1
	s_wait_alu 0xfffe
	s_and_saveexec_b32 s14, s13
	s_wait_alu 0xfffe
	s_xor_b32 s13, exec_lo, s14
; %bb.187:                              ;   in Loop: Header=BB109_2 Depth=1
	ds_load_u8 v80, v77 offset:1
; %bb.188:                              ;   in Loop: Header=BB109_2 Depth=1
	s_wait_alu 0xfffe
	s_or_saveexec_b32 s13, s13
	v_mov_b32_e32 v82, v76
	s_wait_alu 0xfffe
	s_xor_b32 exec_lo, exec_lo, s13
	s_cbranch_execz .LBB109_190
; %bb.189:                              ;   in Loop: Header=BB109_2 Depth=1
	ds_load_u8 v82, v78 offset:1
	s_wait_dscnt 0x1
	v_mov_b32_e32 v80, v75
.LBB109_190:                            ;   in Loop: Header=BB109_2 Depth=1
	s_or_b32 exec_lo, exec_lo, s13
	v_add_nc_u32_e32 v79, 1, v77
	v_add_nc_u32_e32 v81, 1, v78
	s_wait_dscnt 0x0
	v_and_b32_e32 v85, 0xff, v80
	s_delay_alu instid0(VALU_DEP_3) | instskip(SKIP_2) | instid1(VALU_DEP_3)
	v_cndmask_b32_e64 v83, v79, v77, s12
	v_and_b32_e32 v79, 0xff, v82
	v_cndmask_b32_e64 v84, v78, v81, s12
	v_cmp_ge_i32_e64 s13, v83, v26
	s_delay_alu instid0(VALU_DEP_3) | instskip(NEXT) | instid1(VALU_DEP_3)
	v_cmp_lt_u16_e64 s14, v79, v85
	v_cmp_lt_i32_e64 s15, v84, v27
                                        ; implicit-def: $vgpr79
	s_or_b32 s13, s13, s14
	s_wait_alu 0xfffe
	s_and_b32 s13, s15, s13
	s_wait_alu 0xfffe
	s_xor_b32 s14, s13, -1
	s_wait_alu 0xfffe
	s_and_saveexec_b32 s15, s14
	s_wait_alu 0xfffe
	s_xor_b32 s14, exec_lo, s15
; %bb.191:                              ;   in Loop: Header=BB109_2 Depth=1
	ds_load_u8 v79, v83 offset:1
; %bb.192:                              ;   in Loop: Header=BB109_2 Depth=1
	s_wait_alu 0xfffe
	s_or_saveexec_b32 s14, s14
	v_mov_b32_e32 v81, v82
	s_wait_alu 0xfffe
	s_xor_b32 exec_lo, exec_lo, s14
	s_cbranch_execz .LBB109_194
; %bb.193:                              ;   in Loop: Header=BB109_2 Depth=1
	ds_load_u8 v81, v84 offset:1
	s_wait_dscnt 0x1
	v_mov_b32_e32 v79, v80
.LBB109_194:                            ;   in Loop: Header=BB109_2 Depth=1
	s_or_b32 exec_lo, exec_lo, s14
	v_add_nc_u32_e32 v86, 1, v83
	v_add_nc_u32_e32 v85, 1, v84
	v_cndmask_b32_e64 v80, v80, v82, s13
	v_cndmask_b32_e64 v82, v83, v84, s13
	;; [unrolled: 1-line block ×5, first 2 shown]
	s_wait_dscnt 0x0
	v_and_b32_e32 v69, 0xff, v79
	v_and_b32_e32 v70, 0xff, v81
	v_cndmask_b32_e64 v84, v84, v85, s13
	v_cndmask_b32_e64 v63, v63, v64, s9
	;; [unrolled: 1-line block ×3, first 2 shown]
	v_cmp_ge_i32_e64 s9, v83, v26
	v_cmp_lt_u16_e64 s10, v70, v69
	v_cndmask_b32_e64 v57, v57, v58, s7
	v_cndmask_b32_e64 v55, v55, v56, s7
	v_cmp_lt_i32_e64 s7, v84, v27
	v_perm_b32 v52, v52, v53, 0xc0c0004
	v_perm_b32 v51, v54, v51, 0xc0c0004
	;; [unrolled: 1-line block ×4, first 2 shown]
	v_cndmask_b32_e64 v59, v59, v60, s8
	v_cndmask_b32_e64 v60, v61, v62, s8
	s_or_b32 s8, s9, s10
	v_cndmask_b32_e64 v75, v75, v76, s12
	s_wait_alu 0xfffe
	s_and_b32 s7, s7, s8
	v_cndmask_b32_e64 v71, v71, v72, s11
	s_wait_alu 0xfffe
	v_cndmask_b32_e64 v4, v79, v81, s7
	v_lshl_or_b32 v2, v51, 16, v52
	v_lshl_or_b32 v1, v3, 16, v1
	s_wait_loadcnt 0x0
	s_barrier_signal -1
	s_barrier_wait -1
	global_inv scope:SCOPE_SE
	ds_store_b64 v5, v[1:2]
	v_lshlrev_b16 v1, 8, v59
	v_and_b32_e32 v2, 0xff, v57
	v_lshlrev_b16 v3, 8, v67
	v_and_b32_e32 v51, 0xff, v63
	;; [unrolled: 2-line block ×3, first 2 shown]
	v_and_b32_e32 v56, 0xff, v80
	v_lshlrev_b16 v4, 8, v4
	v_cndmask_b32_e64 v53, v83, v84, s7
	v_cndmask_b32_e64 v76, v77, v78, s12
	;; [unrolled: 1-line block ×3, first 2 shown]
	s_wait_loadcnt_dscnt 0x0
	s_barrier_signal -1
	s_barrier_wait -1
	global_inv scope:SCOPE_SE
	v_or_b32_e32 v57, v2, v1
	v_or_b32_e32 v58, v51, v3
	;; [unrolled: 1-line block ×4, first 2 shown]
	ds_load_u8 v1, v55
	ds_load_u8 v51, v53
	;; [unrolled: 1-line block ×8, first 2 shown]
	v_and_b32_e32 v55, 0xffff, v57
	v_lshlrev_b32_e32 v57, 16, v58
	v_and_b32_e32 v58, 0xffff, v59
	v_lshlrev_b32_e32 v56, 16, v56
	s_wait_loadcnt_dscnt 0x0
	s_barrier_signal -1
	v_or_b32_e32 v55, v55, v57
	s_barrier_wait -1
	v_or_b32_e32 v56, v58, v56
	global_inv scope:SCOPE_SE
	ds_store_b64 v5, v[55:56]
	v_mov_b32_e32 v56, v50
	s_wait_loadcnt_dscnt 0x0
	s_barrier_signal -1
	s_barrier_wait -1
	global_inv scope:SCOPE_SE
	s_and_saveexec_b32 s8, s6
	s_cbranch_execz .LBB109_198
; %bb.195:                              ;   in Loop: Header=BB109_2 Depth=1
	v_dual_mov_b32 v56, v50 :: v_dual_mov_b32 v55, v43
	s_mov_b32 s9, 0
.LBB109_196:                            ;   Parent Loop BB109_2 Depth=1
                                        ; =>  This Inner Loop Header: Depth=2
	s_delay_alu instid0(VALU_DEP_1) | instskip(NEXT) | instid1(VALU_DEP_1)
	v_sub_nc_u32_e32 v57, v55, v56
	v_lshrrev_b32_e32 v57, 1, v57
	s_delay_alu instid0(VALU_DEP_1) | instskip(NEXT) | instid1(VALU_DEP_1)
	v_add_nc_u32_e32 v57, v57, v56
	v_add_nc_u32_e32 v58, v12, v57
	v_xad_u32 v59, v57, -1, v36
	v_add_nc_u32_e32 v60, 1, v57
	ds_load_u8 v58, v58
	ds_load_u8 v59, v59
	s_wait_dscnt 0x0
	v_cmp_lt_u16_e64 s7, v59, v58
	s_wait_alu 0xf1ff
	s_delay_alu instid0(VALU_DEP_1) | instskip(SKIP_1) | instid1(VALU_DEP_1)
	v_cndmask_b32_e64 v55, v55, v57, s7
	v_cndmask_b32_e64 v56, v60, v56, s7
	v_cmp_ge_i32_e64 s7, v56, v55
	s_wait_alu 0xfffe
	s_or_b32 s9, s7, s9
	s_wait_alu 0xfffe
	s_and_not1_b32 exec_lo, exec_lo, s9
	s_cbranch_execnz .LBB109_196
; %bb.197:                              ;   in Loop: Header=BB109_2 Depth=1
	s_or_b32 exec_lo, exec_lo, s9
.LBB109_198:                            ;   in Loop: Header=BB109_2 Depth=1
	s_wait_alu 0xfffe
	s_or_b32 exec_lo, exec_lo, s8
	v_add_nc_u32_e32 v55, v56, v12
	v_sub_nc_u32_e32 v56, v36, v56
	ds_load_u8 v57, v55
	ds_load_u8 v58, v56
	v_cmp_le_i32_e64 s7, v28, v55
	v_cmp_gt_i32_e64 s9, v29, v56
	s_wait_dscnt 0x1
	v_and_b32_e32 v59, 0xff, v57
	s_wait_dscnt 0x0
	v_and_b32_e32 v60, 0xff, v58
	s_delay_alu instid0(VALU_DEP_1)
	v_cmp_lt_u16_e64 s8, v60, v59
                                        ; implicit-def: $vgpr59
	s_or_b32 s7, s7, s8
	s_wait_alu 0xfffe
	s_and_b32 s7, s9, s7
	s_wait_alu 0xfffe
	s_xor_b32 s8, s7, -1
	s_wait_alu 0xfffe
	s_and_saveexec_b32 s9, s8
	s_wait_alu 0xfffe
	s_xor_b32 s8, exec_lo, s9
; %bb.199:                              ;   in Loop: Header=BB109_2 Depth=1
	ds_load_u8 v59, v55 offset:1
; %bb.200:                              ;   in Loop: Header=BB109_2 Depth=1
	s_wait_alu 0xfffe
	s_or_saveexec_b32 s8, s8
	v_mov_b32_e32 v60, v58
	s_wait_alu 0xfffe
	s_xor_b32 exec_lo, exec_lo, s8
	s_cbranch_execz .LBB109_202
; %bb.201:                              ;   in Loop: Header=BB109_2 Depth=1
	ds_load_u8 v60, v56 offset:1
	s_wait_dscnt 0x1
	v_mov_b32_e32 v59, v57
.LBB109_202:                            ;   in Loop: Header=BB109_2 Depth=1
	s_or_b32 exec_lo, exec_lo, s8
	v_add_nc_u32_e32 v61, 1, v55
	v_add_nc_u32_e32 v62, 1, v56
	s_wait_dscnt 0x0
	v_and_b32_e32 v63, 0xff, v59
	v_and_b32_e32 v64, 0xff, v60
	v_cndmask_b32_e64 v61, v61, v55, s7
	v_cndmask_b32_e64 v62, v56, v62, s7
	s_delay_alu instid0(VALU_DEP_3) | instskip(NEXT) | instid1(VALU_DEP_3)
	v_cmp_lt_u16_e64 s9, v64, v63
                                        ; implicit-def: $vgpr63
	v_cmp_ge_i32_e64 s8, v61, v28
	s_delay_alu instid0(VALU_DEP_3)
	v_cmp_lt_i32_e64 s10, v62, v29
	s_or_b32 s8, s8, s9
	s_wait_alu 0xfffe
	s_and_b32 s8, s10, s8
	s_wait_alu 0xfffe
	s_xor_b32 s9, s8, -1
	s_wait_alu 0xfffe
	s_and_saveexec_b32 s10, s9
	s_wait_alu 0xfffe
	s_xor_b32 s9, exec_lo, s10
; %bb.203:                              ;   in Loop: Header=BB109_2 Depth=1
	ds_load_u8 v63, v61 offset:1
; %bb.204:                              ;   in Loop: Header=BB109_2 Depth=1
	s_wait_alu 0xfffe
	s_or_saveexec_b32 s9, s9
	v_mov_b32_e32 v64, v60
	s_wait_alu 0xfffe
	s_xor_b32 exec_lo, exec_lo, s9
	s_cbranch_execz .LBB109_206
; %bb.205:                              ;   in Loop: Header=BB109_2 Depth=1
	ds_load_u8 v64, v62 offset:1
	s_wait_dscnt 0x1
	v_mov_b32_e32 v63, v59
.LBB109_206:                            ;   in Loop: Header=BB109_2 Depth=1
	s_or_b32 exec_lo, exec_lo, s9
	v_add_nc_u32_e32 v65, 1, v61
	v_add_nc_u32_e32 v66, 1, v62
	s_wait_dscnt 0x0
	v_and_b32_e32 v67, 0xff, v63
	v_and_b32_e32 v68, 0xff, v64
	v_cndmask_b32_e64 v65, v65, v61, s8
	v_cndmask_b32_e64 v66, v62, v66, s8
	s_delay_alu instid0(VALU_DEP_3) | instskip(NEXT) | instid1(VALU_DEP_3)
	v_cmp_lt_u16_e64 s10, v68, v67
                                        ; implicit-def: $vgpr67
	v_cmp_ge_i32_e64 s9, v65, v28
	s_delay_alu instid0(VALU_DEP_3)
	v_cmp_lt_i32_e64 s11, v66, v29
	s_or_b32 s9, s9, s10
	s_wait_alu 0xfffe
	s_and_b32 s9, s11, s9
	s_wait_alu 0xfffe
	s_xor_b32 s10, s9, -1
	s_wait_alu 0xfffe
	s_and_saveexec_b32 s11, s10
	s_wait_alu 0xfffe
	s_xor_b32 s10, exec_lo, s11
; %bb.207:                              ;   in Loop: Header=BB109_2 Depth=1
	ds_load_u8 v67, v65 offset:1
; %bb.208:                              ;   in Loop: Header=BB109_2 Depth=1
	s_wait_alu 0xfffe
	s_or_saveexec_b32 s10, s10
	v_mov_b32_e32 v68, v64
	s_wait_alu 0xfffe
	s_xor_b32 exec_lo, exec_lo, s10
	s_cbranch_execz .LBB109_210
; %bb.209:                              ;   in Loop: Header=BB109_2 Depth=1
	ds_load_u8 v68, v66 offset:1
	s_wait_dscnt 0x1
	v_mov_b32_e32 v67, v63
.LBB109_210:                            ;   in Loop: Header=BB109_2 Depth=1
	s_or_b32 exec_lo, exec_lo, s10
	v_add_nc_u32_e32 v69, 1, v65
	v_add_nc_u32_e32 v70, 1, v66
	s_wait_dscnt 0x0
	v_and_b32_e32 v71, 0xff, v67
	v_and_b32_e32 v72, 0xff, v68
	v_cndmask_b32_e64 v69, v69, v65, s9
	v_cndmask_b32_e64 v70, v66, v70, s9
	s_delay_alu instid0(VALU_DEP_3) | instskip(NEXT) | instid1(VALU_DEP_3)
	v_cmp_lt_u16_e64 s11, v72, v71
                                        ; implicit-def: $vgpr71
	v_cmp_ge_i32_e64 s10, v69, v28
	s_delay_alu instid0(VALU_DEP_3)
	v_cmp_lt_i32_e64 s12, v70, v29
	s_or_b32 s10, s10, s11
	s_wait_alu 0xfffe
	s_and_b32 s10, s12, s10
	s_wait_alu 0xfffe
	s_xor_b32 s11, s10, -1
	s_wait_alu 0xfffe
	s_and_saveexec_b32 s12, s11
	s_wait_alu 0xfffe
	s_xor_b32 s11, exec_lo, s12
; %bb.211:                              ;   in Loop: Header=BB109_2 Depth=1
	ds_load_u8 v71, v69 offset:1
; %bb.212:                              ;   in Loop: Header=BB109_2 Depth=1
	s_wait_alu 0xfffe
	s_or_saveexec_b32 s11, s11
	v_mov_b32_e32 v72, v68
	s_wait_alu 0xfffe
	s_xor_b32 exec_lo, exec_lo, s11
	s_cbranch_execz .LBB109_214
; %bb.213:                              ;   in Loop: Header=BB109_2 Depth=1
	ds_load_u8 v72, v70 offset:1
	s_wait_dscnt 0x1
	v_mov_b32_e32 v71, v67
.LBB109_214:                            ;   in Loop: Header=BB109_2 Depth=1
	s_or_b32 exec_lo, exec_lo, s11
	v_add_nc_u32_e32 v73, 1, v69
	v_add_nc_u32_e32 v74, 1, v70
	s_wait_dscnt 0x0
	v_and_b32_e32 v75, 0xff, v71
	v_and_b32_e32 v76, 0xff, v72
	v_cndmask_b32_e64 v73, v73, v69, s10
	v_cndmask_b32_e64 v74, v70, v74, s10
	s_delay_alu instid0(VALU_DEP_3) | instskip(NEXT) | instid1(VALU_DEP_3)
	v_cmp_lt_u16_e64 s12, v76, v75
                                        ; implicit-def: $vgpr75
	v_cmp_ge_i32_e64 s11, v73, v28
	s_delay_alu instid0(VALU_DEP_3)
	v_cmp_lt_i32_e64 s13, v74, v29
	s_or_b32 s11, s11, s12
	s_wait_alu 0xfffe
	s_and_b32 s11, s13, s11
	s_wait_alu 0xfffe
	s_xor_b32 s12, s11, -1
	s_wait_alu 0xfffe
	s_and_saveexec_b32 s13, s12
	s_wait_alu 0xfffe
	s_xor_b32 s12, exec_lo, s13
; %bb.215:                              ;   in Loop: Header=BB109_2 Depth=1
	ds_load_u8 v75, v73 offset:1
; %bb.216:                              ;   in Loop: Header=BB109_2 Depth=1
	s_wait_alu 0xfffe
	s_or_saveexec_b32 s12, s12
	v_mov_b32_e32 v76, v72
	s_wait_alu 0xfffe
	s_xor_b32 exec_lo, exec_lo, s12
	s_cbranch_execz .LBB109_218
; %bb.217:                              ;   in Loop: Header=BB109_2 Depth=1
	ds_load_u8 v76, v74 offset:1
	s_wait_dscnt 0x1
	v_mov_b32_e32 v75, v71
.LBB109_218:                            ;   in Loop: Header=BB109_2 Depth=1
	s_or_b32 exec_lo, exec_lo, s12
	v_add_nc_u32_e32 v77, 1, v73
	v_add_nc_u32_e32 v78, 1, v74
	s_wait_dscnt 0x0
	v_and_b32_e32 v79, 0xff, v75
	v_and_b32_e32 v80, 0xff, v76
	v_cndmask_b32_e64 v77, v77, v73, s11
	v_cndmask_b32_e64 v78, v74, v78, s11
	s_delay_alu instid0(VALU_DEP_3) | instskip(NEXT) | instid1(VALU_DEP_3)
	v_cmp_lt_u16_e64 s13, v80, v79
                                        ; implicit-def: $vgpr80
	v_cmp_ge_i32_e64 s12, v77, v28
	s_delay_alu instid0(VALU_DEP_3)
	v_cmp_lt_i32_e64 s14, v78, v29
	s_or_b32 s12, s12, s13
	s_wait_alu 0xfffe
	s_and_b32 s12, s14, s12
	s_wait_alu 0xfffe
	s_xor_b32 s13, s12, -1
	s_wait_alu 0xfffe
	s_and_saveexec_b32 s14, s13
	s_wait_alu 0xfffe
	s_xor_b32 s13, exec_lo, s14
; %bb.219:                              ;   in Loop: Header=BB109_2 Depth=1
	ds_load_u8 v80, v77 offset:1
; %bb.220:                              ;   in Loop: Header=BB109_2 Depth=1
	s_wait_alu 0xfffe
	s_or_saveexec_b32 s13, s13
	v_mov_b32_e32 v82, v76
	s_wait_alu 0xfffe
	s_xor_b32 exec_lo, exec_lo, s13
	s_cbranch_execz .LBB109_222
; %bb.221:                              ;   in Loop: Header=BB109_2 Depth=1
	ds_load_u8 v82, v78 offset:1
	s_wait_dscnt 0x1
	v_mov_b32_e32 v80, v75
.LBB109_222:                            ;   in Loop: Header=BB109_2 Depth=1
	s_or_b32 exec_lo, exec_lo, s13
	v_add_nc_u32_e32 v79, 1, v77
	v_add_nc_u32_e32 v81, 1, v78
	s_wait_dscnt 0x0
	v_and_b32_e32 v85, 0xff, v80
	s_delay_alu instid0(VALU_DEP_3) | instskip(SKIP_2) | instid1(VALU_DEP_3)
	v_cndmask_b32_e64 v83, v79, v77, s12
	v_and_b32_e32 v79, 0xff, v82
	v_cndmask_b32_e64 v84, v78, v81, s12
	v_cmp_ge_i32_e64 s13, v83, v28
	s_delay_alu instid0(VALU_DEP_3) | instskip(NEXT) | instid1(VALU_DEP_3)
	v_cmp_lt_u16_e64 s14, v79, v85
	v_cmp_lt_i32_e64 s15, v84, v29
                                        ; implicit-def: $vgpr79
	s_or_b32 s13, s13, s14
	s_wait_alu 0xfffe
	s_and_b32 s13, s15, s13
	s_wait_alu 0xfffe
	s_xor_b32 s14, s13, -1
	s_wait_alu 0xfffe
	s_and_saveexec_b32 s15, s14
	s_wait_alu 0xfffe
	s_xor_b32 s14, exec_lo, s15
; %bb.223:                              ;   in Loop: Header=BB109_2 Depth=1
	ds_load_u8 v79, v83 offset:1
; %bb.224:                              ;   in Loop: Header=BB109_2 Depth=1
	s_wait_alu 0xfffe
	s_or_saveexec_b32 s14, s14
	v_mov_b32_e32 v81, v82
	s_wait_alu 0xfffe
	s_xor_b32 exec_lo, exec_lo, s14
	s_cbranch_execz .LBB109_226
; %bb.225:                              ;   in Loop: Header=BB109_2 Depth=1
	ds_load_u8 v81, v84 offset:1
	s_wait_dscnt 0x1
	v_mov_b32_e32 v79, v80
.LBB109_226:                            ;   in Loop: Header=BB109_2 Depth=1
	s_or_b32 exec_lo, exec_lo, s14
	v_add_nc_u32_e32 v86, 1, v83
	v_add_nc_u32_e32 v85, 1, v84
	v_cndmask_b32_e64 v80, v80, v82, s13
	v_cndmask_b32_e64 v82, v83, v84, s13
	;; [unrolled: 1-line block ×5, first 2 shown]
	s_wait_dscnt 0x0
	v_and_b32_e32 v69, 0xff, v79
	v_and_b32_e32 v70, 0xff, v81
	v_cndmask_b32_e64 v84, v84, v85, s13
	v_cndmask_b32_e64 v63, v63, v64, s9
	;; [unrolled: 1-line block ×3, first 2 shown]
	v_cmp_ge_i32_e64 s9, v83, v28
	v_cmp_lt_u16_e64 s10, v70, v69
	v_cndmask_b32_e64 v57, v57, v58, s7
	v_cndmask_b32_e64 v55, v55, v56, s7
	v_cmp_lt_i32_e64 s7, v84, v29
	v_perm_b32 v52, v52, v53, 0xc0c0004
	v_perm_b32 v51, v54, v51, 0xc0c0004
	;; [unrolled: 1-line block ×4, first 2 shown]
	v_cndmask_b32_e64 v59, v59, v60, s8
	v_cndmask_b32_e64 v60, v61, v62, s8
	s_or_b32 s8, s9, s10
	v_cndmask_b32_e64 v75, v75, v76, s12
	s_wait_alu 0xfffe
	s_and_b32 s7, s7, s8
	v_cndmask_b32_e64 v71, v71, v72, s11
	s_wait_alu 0xfffe
	v_cndmask_b32_e64 v4, v79, v81, s7
	v_lshl_or_b32 v2, v51, 16, v52
	v_lshl_or_b32 v1, v3, 16, v1
	s_wait_loadcnt 0x0
	s_barrier_signal -1
	s_barrier_wait -1
	global_inv scope:SCOPE_SE
	ds_store_b64 v5, v[1:2]
	v_lshlrev_b16 v1, 8, v59
	v_and_b32_e32 v2, 0xff, v57
	v_lshlrev_b16 v3, 8, v67
	v_and_b32_e32 v51, 0xff, v63
	;; [unrolled: 2-line block ×3, first 2 shown]
	v_and_b32_e32 v56, 0xff, v80
	v_lshlrev_b16 v4, 8, v4
	v_cndmask_b32_e64 v53, v83, v84, s7
	v_cndmask_b32_e64 v76, v77, v78, s12
	;; [unrolled: 1-line block ×3, first 2 shown]
	s_wait_loadcnt_dscnt 0x0
	s_barrier_signal -1
	s_barrier_wait -1
	global_inv scope:SCOPE_SE
	v_or_b32_e32 v57, v2, v1
	v_or_b32_e32 v58, v51, v3
	;; [unrolled: 1-line block ×4, first 2 shown]
	ds_load_u8 v1, v55
	ds_load_u8 v51, v53
	;; [unrolled: 1-line block ×8, first 2 shown]
	v_and_b32_e32 v55, 0xffff, v57
	v_lshlrev_b32_e32 v57, 16, v58
	v_and_b32_e32 v58, 0xffff, v59
	v_lshlrev_b32_e32 v56, 16, v56
	s_wait_loadcnt_dscnt 0x0
	s_barrier_signal -1
	v_or_b32_e32 v55, v55, v57
	s_barrier_wait -1
	v_or_b32_e32 v56, v58, v56
	global_inv scope:SCOPE_SE
	ds_store_b64 v5, v[55:56]
	v_mov_b32_e32 v55, v13
	s_wait_loadcnt_dscnt 0x0
	s_barrier_signal -1
	s_barrier_wait -1
	global_inv scope:SCOPE_SE
	s_and_saveexec_b32 s8, vcc_lo
	s_cbranch_execz .LBB109_230
; %bb.227:                              ;   in Loop: Header=BB109_2 Depth=1
	v_dual_mov_b32 v55, v13 :: v_dual_mov_b32 v56, v14
	s_mov_b32 s9, 0
.LBB109_228:                            ;   Parent Loop BB109_2 Depth=1
                                        ; =>  This Inner Loop Header: Depth=2
	s_delay_alu instid0(VALU_DEP_1) | instskip(NEXT) | instid1(VALU_DEP_1)
	v_sub_nc_u32_e32 v57, v56, v55
	v_lshrrev_b32_e32 v57, 1, v57
	s_delay_alu instid0(VALU_DEP_1) | instskip(NEXT) | instid1(VALU_DEP_1)
	v_add_nc_u32_e32 v57, v57, v55
	v_xad_u32 v58, v57, -1, v15
	v_add_nc_u32_e32 v60, 1, v57
	ds_load_u8 v59, v57
	ds_load_u8 v58, v58
	s_wait_dscnt 0x0
	v_cmp_lt_u16_e64 s7, v58, v59
	s_wait_alu 0xf1ff
	s_delay_alu instid0(VALU_DEP_1) | instskip(SKIP_1) | instid1(VALU_DEP_1)
	v_cndmask_b32_e64 v56, v56, v57, s7
	v_cndmask_b32_e64 v55, v60, v55, s7
	v_cmp_ge_i32_e64 s7, v55, v56
	s_wait_alu 0xfffe
	s_or_b32 s9, s7, s9
	s_wait_alu 0xfffe
	s_and_not1_b32 exec_lo, exec_lo, s9
	s_cbranch_execnz .LBB109_228
; %bb.229:                              ;   in Loop: Header=BB109_2 Depth=1
	s_or_b32 exec_lo, exec_lo, s9
.LBB109_230:                            ;   in Loop: Header=BB109_2 Depth=1
	s_wait_alu 0xfffe
	s_or_b32 exec_lo, exec_lo, s8
	v_sub_nc_u32_e32 v56, v15, v55
	v_cmp_le_i32_e64 s7, 0x400, v55
	ds_load_u8 v57, v55
	ds_load_u8 v58, v56
	v_cmp_gt_i32_e64 s9, 0x800, v56
	s_wait_dscnt 0x1
	v_and_b32_e32 v59, 0xff, v57
	s_wait_dscnt 0x0
	v_and_b32_e32 v60, 0xff, v58
	s_delay_alu instid0(VALU_DEP_1)
	v_cmp_lt_u16_e64 s8, v60, v59
                                        ; implicit-def: $vgpr59
	s_or_b32 s7, s7, s8
	s_wait_alu 0xfffe
	s_and_b32 s7, s9, s7
	s_wait_alu 0xfffe
	s_xor_b32 s8, s7, -1
	s_wait_alu 0xfffe
	s_and_saveexec_b32 s9, s8
	s_wait_alu 0xfffe
	s_xor_b32 s8, exec_lo, s9
; %bb.231:                              ;   in Loop: Header=BB109_2 Depth=1
	ds_load_u8 v59, v55 offset:1
; %bb.232:                              ;   in Loop: Header=BB109_2 Depth=1
	s_wait_alu 0xfffe
	s_or_saveexec_b32 s8, s8
	v_mov_b32_e32 v62, v58
	s_wait_alu 0xfffe
	s_xor_b32 exec_lo, exec_lo, s8
	s_cbranch_execz .LBB109_234
; %bb.233:                              ;   in Loop: Header=BB109_2 Depth=1
	ds_load_u8 v62, v56 offset:1
	s_wait_dscnt 0x1
	v_mov_b32_e32 v59, v57
.LBB109_234:                            ;   in Loop: Header=BB109_2 Depth=1
	s_or_b32 exec_lo, exec_lo, s8
	v_add_nc_u32_e32 v60, 1, v55
	v_add_nc_u32_e32 v61, 1, v56
	s_wait_dscnt 0x0
	v_and_b32_e32 v63, 0xff, v59
	v_and_b32_e32 v64, 0xff, v62
	v_cndmask_b32_e64 v60, v60, v55, s7
	v_cndmask_b32_e64 v61, v56, v61, s7
	s_delay_alu instid0(VALU_DEP_3) | instskip(NEXT) | instid1(VALU_DEP_3)
	v_cmp_lt_u16_e64 s9, v64, v63
                                        ; implicit-def: $vgpr63
	v_cmp_le_i32_e64 s8, 0x400, v60
	s_delay_alu instid0(VALU_DEP_3)
	v_cmp_gt_i32_e64 s10, 0x800, v61
	s_or_b32 s8, s8, s9
	s_wait_alu 0xfffe
	s_and_b32 s8, s10, s8
	s_wait_alu 0xfffe
	s_xor_b32 s9, s8, -1
	s_wait_alu 0xfffe
	s_and_saveexec_b32 s10, s9
	s_wait_alu 0xfffe
	s_xor_b32 s9, exec_lo, s10
; %bb.235:                              ;   in Loop: Header=BB109_2 Depth=1
	ds_load_u8 v63, v60 offset:1
; %bb.236:                              ;   in Loop: Header=BB109_2 Depth=1
	s_wait_alu 0xfffe
	s_or_saveexec_b32 s9, s9
	v_mov_b32_e32 v65, v62
	s_wait_alu 0xfffe
	s_xor_b32 exec_lo, exec_lo, s9
	s_cbranch_execz .LBB109_238
; %bb.237:                              ;   in Loop: Header=BB109_2 Depth=1
	ds_load_u8 v65, v61 offset:1
	s_wait_dscnt 0x1
	v_mov_b32_e32 v63, v59
.LBB109_238:                            ;   in Loop: Header=BB109_2 Depth=1
	s_or_b32 exec_lo, exec_lo, s9
	v_add_nc_u32_e32 v64, 1, v60
	v_add_nc_u32_e32 v66, 1, v61
	s_wait_dscnt 0x0
	v_and_b32_e32 v67, 0xff, v63
	v_and_b32_e32 v68, 0xff, v65
	v_cndmask_b32_e64 v64, v64, v60, s8
	v_cndmask_b32_e64 v66, v61, v66, s8
	s_delay_alu instid0(VALU_DEP_3) | instskip(NEXT) | instid1(VALU_DEP_3)
	v_cmp_lt_u16_e64 s10, v68, v67
                                        ; implicit-def: $vgpr67
	v_cmp_le_i32_e64 s9, 0x400, v64
	s_delay_alu instid0(VALU_DEP_3)
	v_cmp_gt_i32_e64 s11, 0x800, v66
	s_or_b32 s9, s9, s10
	s_wait_alu 0xfffe
	s_and_b32 s9, s11, s9
	s_wait_alu 0xfffe
	s_xor_b32 s10, s9, -1
	s_wait_alu 0xfffe
	s_and_saveexec_b32 s11, s10
	s_wait_alu 0xfffe
	s_xor_b32 s10, exec_lo, s11
; %bb.239:                              ;   in Loop: Header=BB109_2 Depth=1
	ds_load_u8 v67, v64 offset:1
; %bb.240:                              ;   in Loop: Header=BB109_2 Depth=1
	s_wait_alu 0xfffe
	s_or_saveexec_b32 s10, s10
	v_mov_b32_e32 v68, v65
	s_wait_alu 0xfffe
	s_xor_b32 exec_lo, exec_lo, s10
	s_cbranch_execz .LBB109_242
; %bb.241:                              ;   in Loop: Header=BB109_2 Depth=1
	ds_load_u8 v68, v66 offset:1
	s_wait_dscnt 0x1
	v_mov_b32_e32 v67, v63
.LBB109_242:                            ;   in Loop: Header=BB109_2 Depth=1
	s_or_b32 exec_lo, exec_lo, s10
	v_add_nc_u32_e32 v69, 1, v64
	v_add_nc_u32_e32 v70, 1, v66
	s_wait_dscnt 0x0
	v_and_b32_e32 v71, 0xff, v67
	v_and_b32_e32 v72, 0xff, v68
	v_cndmask_b32_e64 v69, v69, v64, s9
	v_cndmask_b32_e64 v70, v66, v70, s9
	s_delay_alu instid0(VALU_DEP_3) | instskip(NEXT) | instid1(VALU_DEP_3)
	v_cmp_lt_u16_e64 s11, v72, v71
                                        ; implicit-def: $vgpr71
	v_cmp_le_i32_e64 s10, 0x400, v69
	s_delay_alu instid0(VALU_DEP_3)
	v_cmp_gt_i32_e64 s12, 0x800, v70
	s_or_b32 s10, s10, s11
	s_wait_alu 0xfffe
	s_and_b32 s10, s12, s10
	s_wait_alu 0xfffe
	s_xor_b32 s11, s10, -1
	s_wait_alu 0xfffe
	s_and_saveexec_b32 s12, s11
	s_wait_alu 0xfffe
	s_xor_b32 s11, exec_lo, s12
; %bb.243:                              ;   in Loop: Header=BB109_2 Depth=1
	ds_load_u8 v71, v69 offset:1
; %bb.244:                              ;   in Loop: Header=BB109_2 Depth=1
	s_wait_alu 0xfffe
	s_or_saveexec_b32 s11, s11
	v_mov_b32_e32 v72, v68
	s_wait_alu 0xfffe
	s_xor_b32 exec_lo, exec_lo, s11
	s_cbranch_execz .LBB109_246
; %bb.245:                              ;   in Loop: Header=BB109_2 Depth=1
	ds_load_u8 v72, v70 offset:1
	s_wait_dscnt 0x1
	v_mov_b32_e32 v71, v67
.LBB109_246:                            ;   in Loop: Header=BB109_2 Depth=1
	s_or_b32 exec_lo, exec_lo, s11
	v_add_nc_u32_e32 v73, 1, v69
	v_add_nc_u32_e32 v74, 1, v70
	s_wait_dscnt 0x0
	v_and_b32_e32 v75, 0xff, v71
	v_and_b32_e32 v76, 0xff, v72
	v_cndmask_b32_e64 v73, v73, v69, s10
	v_cndmask_b32_e64 v74, v70, v74, s10
	s_delay_alu instid0(VALU_DEP_3) | instskip(NEXT) | instid1(VALU_DEP_3)
	v_cmp_lt_u16_e64 s12, v76, v75
                                        ; implicit-def: $vgpr75
	v_cmp_le_i32_e64 s11, 0x400, v73
	s_delay_alu instid0(VALU_DEP_3)
	v_cmp_gt_i32_e64 s13, 0x800, v74
	s_or_b32 s11, s11, s12
	s_wait_alu 0xfffe
	s_and_b32 s11, s13, s11
	s_wait_alu 0xfffe
	s_xor_b32 s12, s11, -1
	s_wait_alu 0xfffe
	s_and_saveexec_b32 s13, s12
	s_wait_alu 0xfffe
	s_xor_b32 s12, exec_lo, s13
; %bb.247:                              ;   in Loop: Header=BB109_2 Depth=1
	ds_load_u8 v75, v73 offset:1
; %bb.248:                              ;   in Loop: Header=BB109_2 Depth=1
	s_wait_alu 0xfffe
	s_or_saveexec_b32 s12, s12
	v_mov_b32_e32 v76, v72
	s_wait_alu 0xfffe
	s_xor_b32 exec_lo, exec_lo, s12
	s_cbranch_execz .LBB109_250
; %bb.249:                              ;   in Loop: Header=BB109_2 Depth=1
	ds_load_u8 v76, v74 offset:1
	s_wait_dscnt 0x1
	v_mov_b32_e32 v75, v71
.LBB109_250:                            ;   in Loop: Header=BB109_2 Depth=1
	s_or_b32 exec_lo, exec_lo, s12
	v_add_nc_u32_e32 v77, 1, v73
	v_add_nc_u32_e32 v79, 1, v74
	s_wait_dscnt 0x0
	v_and_b32_e32 v80, 0xff, v75
	s_delay_alu instid0(VALU_DEP_3) | instskip(SKIP_2) | instid1(VALU_DEP_3)
	v_cndmask_b32_e64 v78, v77, v73, s11
	v_and_b32_e32 v77, 0xff, v76
	v_cndmask_b32_e64 v79, v74, v79, s11
	v_cmp_le_i32_e64 s12, 0x400, v78
	s_delay_alu instid0(VALU_DEP_3) | instskip(NEXT) | instid1(VALU_DEP_3)
	v_cmp_lt_u16_e64 s13, v77, v80
	v_cmp_gt_i32_e64 s14, 0x800, v79
                                        ; implicit-def: $vgpr80
	s_or_b32 s12, s12, s13
	s_wait_alu 0xfffe
	s_and_b32 s12, s14, s12
	s_wait_alu 0xfffe
	s_xor_b32 s13, s12, -1
	s_wait_alu 0xfffe
	s_and_saveexec_b32 s14, s13
	s_wait_alu 0xfffe
	s_xor_b32 s13, exec_lo, s14
; %bb.251:                              ;   in Loop: Header=BB109_2 Depth=1
	ds_load_u8 v80, v78 offset:1
; %bb.252:                              ;   in Loop: Header=BB109_2 Depth=1
	s_wait_alu 0xfffe
	s_or_saveexec_b32 s13, s13
	v_mov_b32_e32 v83, v76
	s_wait_alu 0xfffe
	s_xor_b32 exec_lo, exec_lo, s13
	s_cbranch_execz .LBB109_254
; %bb.253:                              ;   in Loop: Header=BB109_2 Depth=1
	ds_load_u8 v83, v79 offset:1
	s_wait_dscnt 0x1
	v_mov_b32_e32 v80, v75
.LBB109_254:                            ;   in Loop: Header=BB109_2 Depth=1
	s_or_b32 exec_lo, exec_lo, s13
	v_add_nc_u32_e32 v77, 1, v78
	v_add_nc_u32_e32 v81, 1, v79
	s_wait_dscnt 0x0
	v_and_b32_e32 v82, 0xff, v80
	v_and_b32_e32 v84, 0xff, v83
                                        ; implicit-def: $vgpr85
	v_cndmask_b32_e64 v77, v77, v78, s12
	v_cndmask_b32_e64 v81, v79, v81, s12
	s_delay_alu instid0(VALU_DEP_3) | instskip(NEXT) | instid1(VALU_DEP_3)
	v_cmp_lt_u16_e64 s14, v84, v82
                                        ; implicit-def: $vgpr84
	v_cmp_le_i32_e64 s13, 0x400, v77
	s_delay_alu instid0(VALU_DEP_3)
	v_cmp_gt_i32_e64 s15, 0x800, v81
	s_or_b32 s13, s13, s14
	s_wait_alu 0xfffe
	s_and_b32 s13, s15, s13
	s_wait_alu 0xfffe
	s_xor_b32 s14, s13, -1
	s_wait_alu 0xfffe
	s_and_saveexec_b32 s15, s14
	s_wait_alu 0xfffe
	s_xor_b32 s14, exec_lo, s15
; %bb.255:                              ;   in Loop: Header=BB109_2 Depth=1
	ds_load_u8 v85, v77 offset:1
	v_add_nc_u32_e32 v84, 1, v77
; %bb.256:                              ;   in Loop: Header=BB109_2 Depth=1
	s_wait_alu 0xfffe
	s_or_saveexec_b32 s14, s14
	v_mov_b32_e32 v82, v77
	v_mov_b32_e32 v86, v83
	s_wait_alu 0xfffe
	s_xor_b32 exec_lo, exec_lo, s14
	s_cbranch_execz .LBB109_1
; %bb.257:                              ;   in Loop: Header=BB109_2 Depth=1
	ds_load_u8 v86, v81 offset:1
	s_wait_dscnt 0x1
	v_dual_mov_b32 v82, v81 :: v_dual_add_nc_u32 v85, 1, v81
	s_delay_alu instid0(VALU_DEP_1)
	v_dual_mov_b32 v84, v77 :: v_dual_mov_b32 v81, v85
	v_mov_b32_e32 v85, v80
	s_branch .LBB109_1
.LBB109_258:
	s_add_nc_u64 s[0:1], s[46:47], s[48:49]
	v_add_nc_u16 v2, v77, v52
	s_wait_alu 0xfffe
	v_add_co_u32 v0, s0, s0, v0
	s_wait_alu 0xf1ff
	v_add_co_ci_u32_e64 v1, null, s1, 0, s0
	v_add_nc_u16 v5, v62, v56
	v_add_nc_u16 v6, v63, v60
	;; [unrolled: 1-line block ×7, first 2 shown]
	s_clause 0x7
	global_store_b8 v[0:1], v2, off
	global_store_b8 v[0:1], v5, off offset:256
	global_store_b8 v[0:1], v6, off offset:512
	;; [unrolled: 1-line block ×7, first 2 shown]
	s_endpgm
	.section	.rodata,"a",@progbits
	.p2align	6, 0x0
	.amdhsa_kernel _Z17sort_pairs_kernelIhLj256ELj8EN10test_utils4lessELj10EEvPKT_PS2_T2_
		.amdhsa_group_segment_fixed_size 2049
		.amdhsa_private_segment_fixed_size 0
		.amdhsa_kernarg_size 20
		.amdhsa_user_sgpr_count 2
		.amdhsa_user_sgpr_dispatch_ptr 0
		.amdhsa_user_sgpr_queue_ptr 0
		.amdhsa_user_sgpr_kernarg_segment_ptr 1
		.amdhsa_user_sgpr_dispatch_id 0
		.amdhsa_user_sgpr_private_segment_size 0
		.amdhsa_wavefront_size32 1
		.amdhsa_uses_dynamic_stack 0
		.amdhsa_enable_private_segment 0
		.amdhsa_system_sgpr_workgroup_id_x 1
		.amdhsa_system_sgpr_workgroup_id_y 0
		.amdhsa_system_sgpr_workgroup_id_z 0
		.amdhsa_system_sgpr_workgroup_info 0
		.amdhsa_system_vgpr_workitem_id 0
		.amdhsa_next_free_vgpr 87
		.amdhsa_next_free_sgpr 50
		.amdhsa_reserve_vcc 1
		.amdhsa_float_round_mode_32 0
		.amdhsa_float_round_mode_16_64 0
		.amdhsa_float_denorm_mode_32 3
		.amdhsa_float_denorm_mode_16_64 3
		.amdhsa_fp16_overflow 0
		.amdhsa_workgroup_processor_mode 1
		.amdhsa_memory_ordered 1
		.amdhsa_forward_progress 1
		.amdhsa_inst_pref_size 151
		.amdhsa_round_robin_scheduling 0
		.amdhsa_exception_fp_ieee_invalid_op 0
		.amdhsa_exception_fp_denorm_src 0
		.amdhsa_exception_fp_ieee_div_zero 0
		.amdhsa_exception_fp_ieee_overflow 0
		.amdhsa_exception_fp_ieee_underflow 0
		.amdhsa_exception_fp_ieee_inexact 0
		.amdhsa_exception_int_div_zero 0
	.end_amdhsa_kernel
	.section	.text._Z17sort_pairs_kernelIhLj256ELj8EN10test_utils4lessELj10EEvPKT_PS2_T2_,"axG",@progbits,_Z17sort_pairs_kernelIhLj256ELj8EN10test_utils4lessELj10EEvPKT_PS2_T2_,comdat
.Lfunc_end109:
	.size	_Z17sort_pairs_kernelIhLj256ELj8EN10test_utils4lessELj10EEvPKT_PS2_T2_, .Lfunc_end109-_Z17sort_pairs_kernelIhLj256ELj8EN10test_utils4lessELj10EEvPKT_PS2_T2_
                                        ; -- End function
	.set _Z17sort_pairs_kernelIhLj256ELj8EN10test_utils4lessELj10EEvPKT_PS2_T2_.num_vgpr, 87
	.set _Z17sort_pairs_kernelIhLj256ELj8EN10test_utils4lessELj10EEvPKT_PS2_T2_.num_agpr, 0
	.set _Z17sort_pairs_kernelIhLj256ELj8EN10test_utils4lessELj10EEvPKT_PS2_T2_.numbered_sgpr, 50
	.set _Z17sort_pairs_kernelIhLj256ELj8EN10test_utils4lessELj10EEvPKT_PS2_T2_.num_named_barrier, 0
	.set _Z17sort_pairs_kernelIhLj256ELj8EN10test_utils4lessELj10EEvPKT_PS2_T2_.private_seg_size, 0
	.set _Z17sort_pairs_kernelIhLj256ELj8EN10test_utils4lessELj10EEvPKT_PS2_T2_.uses_vcc, 1
	.set _Z17sort_pairs_kernelIhLj256ELj8EN10test_utils4lessELj10EEvPKT_PS2_T2_.uses_flat_scratch, 0
	.set _Z17sort_pairs_kernelIhLj256ELj8EN10test_utils4lessELj10EEvPKT_PS2_T2_.has_dyn_sized_stack, 0
	.set _Z17sort_pairs_kernelIhLj256ELj8EN10test_utils4lessELj10EEvPKT_PS2_T2_.has_recursion, 0
	.set _Z17sort_pairs_kernelIhLj256ELj8EN10test_utils4lessELj10EEvPKT_PS2_T2_.has_indirect_call, 0
	.section	.AMDGPU.csdata,"",@progbits
; Kernel info:
; codeLenInByte = 19228
; TotalNumSgprs: 52
; NumVgprs: 87
; ScratchSize: 0
; MemoryBound: 0
; FloatMode: 240
; IeeeMode: 1
; LDSByteSize: 2049 bytes/workgroup (compile time only)
; SGPRBlocks: 0
; VGPRBlocks: 10
; NumSGPRsForWavesPerEU: 52
; NumVGPRsForWavesPerEU: 87
; Occupancy: 16
; WaveLimiterHint : 1
; COMPUTE_PGM_RSRC2:SCRATCH_EN: 0
; COMPUTE_PGM_RSRC2:USER_SGPR: 2
; COMPUTE_PGM_RSRC2:TRAP_HANDLER: 0
; COMPUTE_PGM_RSRC2:TGID_X_EN: 1
; COMPUTE_PGM_RSRC2:TGID_Y_EN: 0
; COMPUTE_PGM_RSRC2:TGID_Z_EN: 0
; COMPUTE_PGM_RSRC2:TIDIG_COMP_CNT: 0
	.section	.text._Z16sort_keys_kernelIhLj512ELj1EN10test_utils4lessELj10EEvPKT_PS2_T2_,"axG",@progbits,_Z16sort_keys_kernelIhLj512ELj1EN10test_utils4lessELj10EEvPKT_PS2_T2_,comdat
	.protected	_Z16sort_keys_kernelIhLj512ELj1EN10test_utils4lessELj10EEvPKT_PS2_T2_ ; -- Begin function _Z16sort_keys_kernelIhLj512ELj1EN10test_utils4lessELj10EEvPKT_PS2_T2_
	.globl	_Z16sort_keys_kernelIhLj512ELj1EN10test_utils4lessELj10EEvPKT_PS2_T2_
	.p2align	8
	.type	_Z16sort_keys_kernelIhLj512ELj1EN10test_utils4lessELj10EEvPKT_PS2_T2_,@function
_Z16sort_keys_kernelIhLj512ELj1EN10test_utils4lessELj10EEvPKT_PS2_T2_: ; @_Z16sort_keys_kernelIhLj512ELj1EN10test_utils4lessELj10EEvPKT_PS2_T2_
; %bb.0:
	s_load_b128 s[12:15], s[0:1], 0x0
	s_lshl_b32 s16, ttmp9, 9
	s_mov_b32 s17, 0
	v_and_b32_e32 v3, 0x1fc, v0
	v_and_b32_e32 v7, 0x1f8, v0
	;; [unrolled: 1-line block ×5, first 2 shown]
	v_or_b32_e32 v20, 2, v3
	v_add_nc_u32_e32 v5, 4, v3
	v_or_b32_e32 v22, 4, v7
	v_add_nc_u32_e32 v9, 8, v7
	v_or_b32_e32 v31, 8, v15
	v_add_nc_u32_e32 v18, 16, v15
	v_sub_nc_u32_e32 v11, v5, v20
	v_and_b32_e32 v24, 0x1c0, v0
	v_sub_nc_u32_e32 v16, v9, v22
	v_sub_nc_u32_e32 v10, v20, v3
	;; [unrolled: 1-line block ×4, first 2 shown]
	s_wait_kmcnt 0x0
	s_add_nc_u64 s[0:1], s[12:13], s[16:17]
	v_sub_nc_u32_e32 v17, v23, v16
	global_load_u8 v52, v0, s[0:1]
	v_cmp_ge_i32_e64 s0, v21, v11
	v_cmp_ge_i32_e64 s1, v23, v16
	v_and_b32_e32 v19, 0x1e0, v0
	v_and_b32_e32 v32, 15, v0
	v_sub_nc_u32_e32 v25, v18, v31
	v_or_b32_e32 v40, 32, v24
	v_add_nc_u32_e32 v28, 64, v24
	v_cndmask_b32_e64 v11, 0, v12, s0
	v_min_i32_e32 v12, v21, v10
	v_cndmask_b32_e64 v16, 0, v17, s1
	v_min_i32_e32 v17, v23, v14
	v_add_nc_u32_e32 v20, v20, v21
	v_or_b32_e32 v33, 16, v19
	v_add_nc_u32_e32 v21, 32, v19
	v_add_nc_u32_e32 v22, v22, v23
	v_sub_nc_u32_e32 v23, v31, v15
	v_sub_nc_u32_e32 v26, v32, v25
	v_and_b32_e32 v34, 31, v0
	v_cmp_ge_i32_e64 s2, v32, v25
	v_and_b32_e32 v41, 63, v0
	v_sub_nc_u32_e32 v36, v28, v40
	v_sub_nc_u32_e32 v29, v21, v33
	;; [unrolled: 1-line block ×3, first 2 shown]
	v_cndmask_b32_e64 v25, 0, v26, s2
	v_min_i32_e32 v26, v32, v23
	v_add_nc_u32_e32 v31, v31, v32
	v_add_nc_u32_e32 v32, v33, v34
	v_sub_nc_u32_e32 v37, v41, v36
	v_and_b32_e32 v33, 0x180, v0
	v_cmp_ge_i32_e64 s4, v41, v36
	v_and_b32_e32 v35, 0x100, v0
	v_and_b32_e32 v13, 1, v0
	v_sub_nc_u32_e32 v30, v34, v29
	v_or_b32_e32 v49, 64, v33
	v_cndmask_b32_e64 v36, 0, v37, s4
	v_add_nc_u32_e32 v37, 0x80, v33
	v_cmp_ge_i32_e64 s2, v34, v29
	v_or_b32_e32 v50, 0x80, v35
	v_add_nc_u32_e32 v39, 0x100, v35
	v_and_b32_e32 v51, 0x7f, v0
	v_sub_nc_u32_e32 v43, v37, v49
	v_add_nc_u32_e32 v6, -1, v13
	v_cmp_lt_i32_e32 vcc_lo, 0, v13
	v_and_b32_e32 v1, 0x1fe, v0
	s_wait_alu 0xf1ff
	v_cndmask_b32_e64 v29, 0, v30, s2
	v_min_i32_e32 v30, v34, v27
	v_sub_nc_u32_e32 v34, v40, v24
	v_and_b32_e32 v53, 0xff, v0
	v_sub_nc_u32_e32 v45, v39, v50
	v_sub_nc_u32_e32 v44, v51, v43
	v_cmp_ge_i32_e64 s5, v51, v43
	v_cndmask_b32_e32 v6, 0, v6, vcc_lo
	v_or_b32_e32 v2, 1, v1
	v_min_i32_e32 v38, v41, v34
	v_add_nc_u32_e32 v40, v40, v41
	v_sub_nc_u32_e32 v41, v49, v33
	v_sub_nc_u32_e32 v42, v50, v35
	;; [unrolled: 1-line block ×3, first 2 shown]
	s_wait_alu 0xf1ff
	v_cndmask_b32_e64 v43, 0, v44, s5
	v_cmp_ge_i32_e64 s5, v53, v45
	v_sub_nc_u32_e32 v4, v2, v1
	v_min_i32_e32 v44, v51, v41
	v_subrev_nc_u32_e64 v47, 0x100, v0 clamp
	v_min_i32_e32 v48, 0x100, v0
	s_wait_alu 0xf1ff
	v_cndmask_b32_e64 v45, 0, v46, s5
	v_min_i32_e32 v46, v53, v42
	v_min_i32_e32 v8, v13, v4
	v_add_nc_u32_e32 v13, v2, v13
	v_cmp_lt_i32_e64 s0, v11, v12
	v_cmp_lt_i32_e64 s1, v16, v17
	;; [unrolled: 1-line block ×6, first 2 shown]
	v_add_nc_u32_e32 v49, v49, v51
	v_cmp_lt_i32_e64 s6, v45, v46
	v_add_nc_u32_e32 v50, v50, v53
	v_cmp_lt_i32_e64 s7, v47, v48
	v_add_nc_u32_e32 v51, 0x100, v0
	s_mov_b32 s11, s17
	v_cmp_lt_i32_e32 vcc_lo, v6, v8
	s_branch .LBB110_2
.LBB110_1:                              ;   in Loop: Header=BB110_2 Depth=1
	s_wait_alu 0xfffe
	s_or_b32 exec_lo, exec_lo, s9
	v_sub_nc_u32_e32 v53, v51, v52
	v_cmp_le_i32_e64 s8, 0x100, v52
	s_add_co_i32 s11, s11, 1
	ds_load_u8 v54, v52
	ds_load_u8 v55, v53
	v_cmp_gt_i32_e64 s10, 0x200, v53
	s_wait_dscnt 0x1
	v_and_b32_e32 v56, 0xff, v54
	s_wait_dscnt 0x0
	v_and_b32_e32 v57, 0xff, v55
	s_delay_alu instid0(VALU_DEP_1)
	v_cmp_lt_u16_e64 s9, v57, v56
	s_or_b32 s8, s8, s9
	s_wait_alu 0xfffe
	s_and_b32 s8, s10, s8
	s_cmp_eq_u32 s11, 10
	s_wait_alu 0xfffe
	v_cndmask_b32_e64 v52, v54, v55, s8
	s_cbranch_scc1 .LBB110_38
.LBB110_2:                              ; =>This Loop Header: Depth=1
                                        ;     Child Loop BB110_4 Depth 2
                                        ;     Child Loop BB110_8 Depth 2
	;; [unrolled: 1-line block ×9, first 2 shown]
	s_wait_loadcnt 0x0
	s_barrier_signal -1
	s_barrier_wait -1
	global_inv scope:SCOPE_SE
	ds_store_b8 v0, v52
	v_mov_b32_e32 v52, v6
	s_wait_loadcnt_dscnt 0x0
	s_barrier_signal -1
	s_barrier_wait -1
	global_inv scope:SCOPE_SE
	s_and_saveexec_b32 s9, vcc_lo
	s_cbranch_execz .LBB110_6
; %bb.3:                                ;   in Loop: Header=BB110_2 Depth=1
	v_dual_mov_b32 v52, v6 :: v_dual_mov_b32 v53, v8
	s_mov_b32 s10, 0
.LBB110_4:                              ;   Parent Loop BB110_2 Depth=1
                                        ; =>  This Inner Loop Header: Depth=2
	s_delay_alu instid0(VALU_DEP_1) | instskip(NEXT) | instid1(VALU_DEP_1)
	v_sub_nc_u32_e32 v54, v53, v52
	v_lshrrev_b32_e32 v54, 1, v54
	s_delay_alu instid0(VALU_DEP_1) | instskip(NEXT) | instid1(VALU_DEP_1)
	v_add_nc_u32_e32 v54, v54, v52
	v_add_nc_u32_e32 v55, v1, v54
	v_xad_u32 v56, v54, -1, v13
	v_add_nc_u32_e32 v57, 1, v54
	ds_load_u8 v55, v55
	ds_load_u8 v56, v56
	s_wait_dscnt 0x0
	v_cmp_lt_u16_e64 s8, v56, v55
	s_wait_alu 0xf1ff
	s_delay_alu instid0(VALU_DEP_1) | instskip(SKIP_1) | instid1(VALU_DEP_1)
	v_cndmask_b32_e64 v53, v53, v54, s8
	v_cndmask_b32_e64 v52, v57, v52, s8
	v_cmp_ge_i32_e64 s8, v52, v53
	s_or_b32 s10, s8, s10
	s_delay_alu instid0(SALU_CYCLE_1)
	s_and_not1_b32 exec_lo, exec_lo, s10
	s_cbranch_execnz .LBB110_4
; %bb.5:                                ;   in Loop: Header=BB110_2 Depth=1
	s_or_b32 exec_lo, exec_lo, s10
.LBB110_6:                              ;   in Loop: Header=BB110_2 Depth=1
	s_wait_alu 0xfffe
	s_or_b32 exec_lo, exec_lo, s9
	v_add_nc_u32_e32 v53, v1, v52
	v_sub_nc_u32_e32 v54, v13, v52
	v_cmp_ge_i32_e64 s8, v52, v4
	v_mov_b32_e32 v52, v11
	ds_load_u8 v53, v53
	ds_load_u8 v55, v54
	v_cmp_ge_i32_e64 s10, v2, v54
	s_wait_loadcnt_dscnt 0x0
	s_barrier_signal -1
	s_barrier_wait -1
	global_inv scope:SCOPE_SE
	v_and_b32_e32 v56, 0xff, v53
	v_and_b32_e32 v57, 0xff, v55
	s_delay_alu instid0(VALU_DEP_1)
	v_cmp_lt_u16_e64 s9, v57, v56
	s_or_b32 s8, s8, s9
	s_wait_alu 0xfffe
	s_and_b32 s8, s10, s8
	s_wait_alu 0xfffe
	v_cndmask_b32_e64 v53, v53, v55, s8
	ds_store_b8 v0, v53
	s_wait_loadcnt_dscnt 0x0
	s_barrier_signal -1
	s_barrier_wait -1
	global_inv scope:SCOPE_SE
	s_and_saveexec_b32 s9, s0
	s_cbranch_execz .LBB110_10
; %bb.7:                                ;   in Loop: Header=BB110_2 Depth=1
	v_dual_mov_b32 v52, v11 :: v_dual_mov_b32 v53, v12
	s_mov_b32 s10, 0
.LBB110_8:                              ;   Parent Loop BB110_2 Depth=1
                                        ; =>  This Inner Loop Header: Depth=2
	s_delay_alu instid0(VALU_DEP_1) | instskip(NEXT) | instid1(VALU_DEP_1)
	v_sub_nc_u32_e32 v54, v53, v52
	v_lshrrev_b32_e32 v54, 1, v54
	s_delay_alu instid0(VALU_DEP_1) | instskip(NEXT) | instid1(VALU_DEP_1)
	v_add_nc_u32_e32 v54, v54, v52
	v_add_nc_u32_e32 v55, v3, v54
	v_xad_u32 v56, v54, -1, v20
	v_add_nc_u32_e32 v57, 1, v54
	ds_load_u8 v55, v55
	ds_load_u8 v56, v56
	s_wait_dscnt 0x0
	v_cmp_lt_u16_e64 s8, v56, v55
	s_wait_alu 0xf1ff
	s_delay_alu instid0(VALU_DEP_1) | instskip(SKIP_1) | instid1(VALU_DEP_1)
	v_cndmask_b32_e64 v53, v53, v54, s8
	v_cndmask_b32_e64 v52, v57, v52, s8
	v_cmp_ge_i32_e64 s8, v52, v53
	s_or_b32 s10, s8, s10
	s_delay_alu instid0(SALU_CYCLE_1)
	s_and_not1_b32 exec_lo, exec_lo, s10
	s_cbranch_execnz .LBB110_8
; %bb.9:                                ;   in Loop: Header=BB110_2 Depth=1
	s_or_b32 exec_lo, exec_lo, s10
.LBB110_10:                             ;   in Loop: Header=BB110_2 Depth=1
	s_wait_alu 0xfffe
	s_or_b32 exec_lo, exec_lo, s9
	v_add_nc_u32_e32 v53, v3, v52
	v_sub_nc_u32_e32 v54, v20, v52
	v_cmp_ge_i32_e64 s8, v52, v10
	v_mov_b32_e32 v52, v16
	ds_load_u8 v53, v53
	ds_load_u8 v55, v54
	v_cmp_gt_i32_e64 s10, v5, v54
	s_wait_loadcnt_dscnt 0x0
	s_barrier_signal -1
	s_barrier_wait -1
	global_inv scope:SCOPE_SE
	v_and_b32_e32 v56, 0xff, v53
	v_and_b32_e32 v57, 0xff, v55
	s_delay_alu instid0(VALU_DEP_1)
	v_cmp_lt_u16_e64 s9, v57, v56
	s_or_b32 s8, s8, s9
	s_wait_alu 0xfffe
	s_and_b32 s8, s10, s8
	s_wait_alu 0xfffe
	v_cndmask_b32_e64 v53, v53, v55, s8
	ds_store_b8 v0, v53
	s_wait_loadcnt_dscnt 0x0
	s_barrier_signal -1
	s_barrier_wait -1
	global_inv scope:SCOPE_SE
	s_and_saveexec_b32 s9, s1
	s_cbranch_execz .LBB110_14
; %bb.11:                               ;   in Loop: Header=BB110_2 Depth=1
	v_dual_mov_b32 v52, v16 :: v_dual_mov_b32 v53, v17
	s_mov_b32 s10, 0
.LBB110_12:                             ;   Parent Loop BB110_2 Depth=1
                                        ; =>  This Inner Loop Header: Depth=2
	s_delay_alu instid0(VALU_DEP_1) | instskip(NEXT) | instid1(VALU_DEP_1)
	v_sub_nc_u32_e32 v54, v53, v52
	v_lshrrev_b32_e32 v54, 1, v54
	s_delay_alu instid0(VALU_DEP_1) | instskip(NEXT) | instid1(VALU_DEP_1)
	v_add_nc_u32_e32 v54, v54, v52
	v_add_nc_u32_e32 v55, v7, v54
	v_xad_u32 v56, v54, -1, v22
	v_add_nc_u32_e32 v57, 1, v54
	ds_load_u8 v55, v55
	ds_load_u8 v56, v56
	s_wait_dscnt 0x0
	v_cmp_lt_u16_e64 s8, v56, v55
	s_wait_alu 0xf1ff
	s_delay_alu instid0(VALU_DEP_1) | instskip(SKIP_1) | instid1(VALU_DEP_1)
	v_cndmask_b32_e64 v53, v53, v54, s8
	v_cndmask_b32_e64 v52, v57, v52, s8
	v_cmp_ge_i32_e64 s8, v52, v53
	s_or_b32 s10, s8, s10
	s_delay_alu instid0(SALU_CYCLE_1)
	s_and_not1_b32 exec_lo, exec_lo, s10
	s_cbranch_execnz .LBB110_12
; %bb.13:                               ;   in Loop: Header=BB110_2 Depth=1
	s_or_b32 exec_lo, exec_lo, s10
.LBB110_14:                             ;   in Loop: Header=BB110_2 Depth=1
	s_wait_alu 0xfffe
	s_or_b32 exec_lo, exec_lo, s9
	v_add_nc_u32_e32 v53, v7, v52
	v_sub_nc_u32_e32 v54, v22, v52
	v_cmp_ge_i32_e64 s8, v52, v14
	v_mov_b32_e32 v52, v25
	ds_load_u8 v53, v53
	ds_load_u8 v55, v54
	v_cmp_gt_i32_e64 s10, v9, v54
	s_wait_loadcnt_dscnt 0x0
	s_barrier_signal -1
	s_barrier_wait -1
	global_inv scope:SCOPE_SE
	v_and_b32_e32 v56, 0xff, v53
	v_and_b32_e32 v57, 0xff, v55
	s_delay_alu instid0(VALU_DEP_1)
	v_cmp_lt_u16_e64 s9, v57, v56
	s_or_b32 s8, s8, s9
	s_wait_alu 0xfffe
	s_and_b32 s8, s10, s8
	s_wait_alu 0xfffe
	v_cndmask_b32_e64 v53, v53, v55, s8
	ds_store_b8 v0, v53
	s_wait_loadcnt_dscnt 0x0
	s_barrier_signal -1
	s_barrier_wait -1
	global_inv scope:SCOPE_SE
	s_and_saveexec_b32 s9, s2
	s_cbranch_execz .LBB110_18
; %bb.15:                               ;   in Loop: Header=BB110_2 Depth=1
	v_dual_mov_b32 v52, v25 :: v_dual_mov_b32 v53, v26
	s_mov_b32 s10, 0
.LBB110_16:                             ;   Parent Loop BB110_2 Depth=1
                                        ; =>  This Inner Loop Header: Depth=2
	s_delay_alu instid0(VALU_DEP_1) | instskip(NEXT) | instid1(VALU_DEP_1)
	v_sub_nc_u32_e32 v54, v53, v52
	v_lshrrev_b32_e32 v54, 1, v54
	s_delay_alu instid0(VALU_DEP_1) | instskip(NEXT) | instid1(VALU_DEP_1)
	v_add_nc_u32_e32 v54, v54, v52
	v_add_nc_u32_e32 v55, v15, v54
	v_xad_u32 v56, v54, -1, v31
	v_add_nc_u32_e32 v57, 1, v54
	ds_load_u8 v55, v55
	ds_load_u8 v56, v56
	s_wait_dscnt 0x0
	v_cmp_lt_u16_e64 s8, v56, v55
	s_wait_alu 0xf1ff
	s_delay_alu instid0(VALU_DEP_1) | instskip(SKIP_1) | instid1(VALU_DEP_1)
	v_cndmask_b32_e64 v53, v53, v54, s8
	v_cndmask_b32_e64 v52, v57, v52, s8
	v_cmp_ge_i32_e64 s8, v52, v53
	s_or_b32 s10, s8, s10
	s_delay_alu instid0(SALU_CYCLE_1)
	s_and_not1_b32 exec_lo, exec_lo, s10
	s_cbranch_execnz .LBB110_16
; %bb.17:                               ;   in Loop: Header=BB110_2 Depth=1
	s_or_b32 exec_lo, exec_lo, s10
.LBB110_18:                             ;   in Loop: Header=BB110_2 Depth=1
	;; [unrolled: 58-line block ×5, first 2 shown]
	s_wait_alu 0xfffe
	s_or_b32 exec_lo, exec_lo, s9
	v_add_nc_u32_e32 v53, v33, v52
	v_sub_nc_u32_e32 v54, v49, v52
	v_cmp_ge_i32_e64 s8, v52, v41
	ds_load_u8 v53, v53
	ds_load_u8 v55, v54
	v_cmp_gt_i32_e64 s10, v37, v54
	s_wait_loadcnt_dscnt 0x0
	s_barrier_signal -1
	s_barrier_wait -1
	global_inv scope:SCOPE_SE
	v_mov_b32_e32 v52, v45
	v_and_b32_e32 v56, 0xff, v53
	v_and_b32_e32 v57, 0xff, v55
	s_delay_alu instid0(VALU_DEP_1)
	v_cmp_lt_u16_e64 s9, v57, v56
	s_or_b32 s8, s8, s9
	s_wait_alu 0xfffe
	s_and_b32 s8, s10, s8
	s_wait_alu 0xfffe
	v_cndmask_b32_e64 v53, v53, v55, s8
	ds_store_b8 v0, v53
	s_wait_loadcnt_dscnt 0x0
	s_barrier_signal -1
	s_barrier_wait -1
	global_inv scope:SCOPE_SE
	s_and_saveexec_b32 s9, s6
	s_cbranch_execz .LBB110_34
; %bb.31:                               ;   in Loop: Header=BB110_2 Depth=1
	v_dual_mov_b32 v52, v45 :: v_dual_mov_b32 v53, v46
	s_mov_b32 s10, 0
.LBB110_32:                             ;   Parent Loop BB110_2 Depth=1
                                        ; =>  This Inner Loop Header: Depth=2
	s_delay_alu instid0(VALU_DEP_1) | instskip(NEXT) | instid1(VALU_DEP_1)
	v_sub_nc_u32_e32 v54, v53, v52
	v_lshrrev_b32_e32 v54, 1, v54
	s_delay_alu instid0(VALU_DEP_1) | instskip(NEXT) | instid1(VALU_DEP_1)
	v_add_nc_u32_e32 v54, v54, v52
	v_add_nc_u32_e32 v55, v35, v54
	v_xad_u32 v56, v54, -1, v50
	v_add_nc_u32_e32 v57, 1, v54
	ds_load_u8 v55, v55
	ds_load_u8 v56, v56
	s_wait_dscnt 0x0
	v_cmp_lt_u16_e64 s8, v56, v55
	s_wait_alu 0xf1ff
	s_delay_alu instid0(VALU_DEP_1) | instskip(SKIP_1) | instid1(VALU_DEP_1)
	v_cndmask_b32_e64 v53, v53, v54, s8
	v_cndmask_b32_e64 v52, v57, v52, s8
	v_cmp_ge_i32_e64 s8, v52, v53
	s_or_b32 s10, s8, s10
	s_delay_alu instid0(SALU_CYCLE_1)
	s_and_not1_b32 exec_lo, exec_lo, s10
	s_cbranch_execnz .LBB110_32
; %bb.33:                               ;   in Loop: Header=BB110_2 Depth=1
	s_or_b32 exec_lo, exec_lo, s10
.LBB110_34:                             ;   in Loop: Header=BB110_2 Depth=1
	s_wait_alu 0xfffe
	s_or_b32 exec_lo, exec_lo, s9
	v_add_nc_u32_e32 v53, v35, v52
	v_sub_nc_u32_e32 v54, v50, v52
	v_cmp_ge_i32_e64 s8, v52, v42
	ds_load_u8 v53, v53
	ds_load_u8 v55, v54
	v_cmp_gt_i32_e64 s10, v39, v54
	s_wait_loadcnt_dscnt 0x0
	s_barrier_signal -1
	s_barrier_wait -1
	global_inv scope:SCOPE_SE
	v_mov_b32_e32 v52, v47
	v_and_b32_e32 v56, 0xff, v53
	v_and_b32_e32 v57, 0xff, v55
	s_delay_alu instid0(VALU_DEP_1)
	v_cmp_lt_u16_e64 s9, v57, v56
	s_or_b32 s8, s8, s9
	s_wait_alu 0xfffe
	s_and_b32 s8, s10, s8
	s_wait_alu 0xfffe
	v_cndmask_b32_e64 v53, v53, v55, s8
	ds_store_b8 v0, v53
	s_wait_loadcnt_dscnt 0x0
	s_barrier_signal -1
	s_barrier_wait -1
	global_inv scope:SCOPE_SE
	s_and_saveexec_b32 s9, s7
	s_cbranch_execz .LBB110_1
; %bb.35:                               ;   in Loop: Header=BB110_2 Depth=1
	v_dual_mov_b32 v52, v47 :: v_dual_mov_b32 v53, v48
	s_mov_b32 s10, 0
.LBB110_36:                             ;   Parent Loop BB110_2 Depth=1
                                        ; =>  This Inner Loop Header: Depth=2
	s_delay_alu instid0(VALU_DEP_1) | instskip(NEXT) | instid1(VALU_DEP_1)
	v_sub_nc_u32_e32 v54, v53, v52
	v_lshrrev_b32_e32 v54, 1, v54
	s_delay_alu instid0(VALU_DEP_1) | instskip(NEXT) | instid1(VALU_DEP_1)
	v_add_nc_u32_e32 v54, v54, v52
	v_xad_u32 v55, v54, -1, v51
	v_add_nc_u32_e32 v57, 1, v54
	ds_load_u8 v56, v54
	ds_load_u8 v55, v55
	s_wait_dscnt 0x0
	v_cmp_lt_u16_e64 s8, v55, v56
	s_wait_alu 0xf1ff
	s_delay_alu instid0(VALU_DEP_1) | instskip(SKIP_1) | instid1(VALU_DEP_1)
	v_cndmask_b32_e64 v53, v53, v54, s8
	v_cndmask_b32_e64 v52, v57, v52, s8
	v_cmp_ge_i32_e64 s8, v52, v53
	s_or_b32 s10, s8, s10
	s_delay_alu instid0(SALU_CYCLE_1)
	s_and_not1_b32 exec_lo, exec_lo, s10
	s_cbranch_execnz .LBB110_36
; %bb.37:                               ;   in Loop: Header=BB110_2 Depth=1
	s_or_b32 exec_lo, exec_lo, s10
	s_branch .LBB110_1
.LBB110_38:
	s_add_nc_u64 s[0:1], s[14:15], s[16:17]
	s_wait_alu 0xfffe
	v_add_co_u32 v0, s0, s0, v0
	s_wait_alu 0xf1ff
	v_add_co_ci_u32_e64 v1, null, s1, 0, s0
	global_store_b8 v[0:1], v52, off
	s_endpgm
	.section	.rodata,"a",@progbits
	.p2align	6, 0x0
	.amdhsa_kernel _Z16sort_keys_kernelIhLj512ELj1EN10test_utils4lessELj10EEvPKT_PS2_T2_
		.amdhsa_group_segment_fixed_size 513
		.amdhsa_private_segment_fixed_size 0
		.amdhsa_kernarg_size 20
		.amdhsa_user_sgpr_count 2
		.amdhsa_user_sgpr_dispatch_ptr 0
		.amdhsa_user_sgpr_queue_ptr 0
		.amdhsa_user_sgpr_kernarg_segment_ptr 1
		.amdhsa_user_sgpr_dispatch_id 0
		.amdhsa_user_sgpr_private_segment_size 0
		.amdhsa_wavefront_size32 1
		.amdhsa_uses_dynamic_stack 0
		.amdhsa_enable_private_segment 0
		.amdhsa_system_sgpr_workgroup_id_x 1
		.amdhsa_system_sgpr_workgroup_id_y 0
		.amdhsa_system_sgpr_workgroup_id_z 0
		.amdhsa_system_sgpr_workgroup_info 0
		.amdhsa_system_vgpr_workitem_id 0
		.amdhsa_next_free_vgpr 58
		.amdhsa_next_free_sgpr 18
		.amdhsa_reserve_vcc 1
		.amdhsa_float_round_mode_32 0
		.amdhsa_float_round_mode_16_64 0
		.amdhsa_float_denorm_mode_32 3
		.amdhsa_float_denorm_mode_16_64 3
		.amdhsa_fp16_overflow 0
		.amdhsa_workgroup_processor_mode 1
		.amdhsa_memory_ordered 1
		.amdhsa_forward_progress 1
		.amdhsa_inst_pref_size 27
		.amdhsa_round_robin_scheduling 0
		.amdhsa_exception_fp_ieee_invalid_op 0
		.amdhsa_exception_fp_denorm_src 0
		.amdhsa_exception_fp_ieee_div_zero 0
		.amdhsa_exception_fp_ieee_overflow 0
		.amdhsa_exception_fp_ieee_underflow 0
		.amdhsa_exception_fp_ieee_inexact 0
		.amdhsa_exception_int_div_zero 0
	.end_amdhsa_kernel
	.section	.text._Z16sort_keys_kernelIhLj512ELj1EN10test_utils4lessELj10EEvPKT_PS2_T2_,"axG",@progbits,_Z16sort_keys_kernelIhLj512ELj1EN10test_utils4lessELj10EEvPKT_PS2_T2_,comdat
.Lfunc_end110:
	.size	_Z16sort_keys_kernelIhLj512ELj1EN10test_utils4lessELj10EEvPKT_PS2_T2_, .Lfunc_end110-_Z16sort_keys_kernelIhLj512ELj1EN10test_utils4lessELj10EEvPKT_PS2_T2_
                                        ; -- End function
	.set _Z16sort_keys_kernelIhLj512ELj1EN10test_utils4lessELj10EEvPKT_PS2_T2_.num_vgpr, 58
	.set _Z16sort_keys_kernelIhLj512ELj1EN10test_utils4lessELj10EEvPKT_PS2_T2_.num_agpr, 0
	.set _Z16sort_keys_kernelIhLj512ELj1EN10test_utils4lessELj10EEvPKT_PS2_T2_.numbered_sgpr, 18
	.set _Z16sort_keys_kernelIhLj512ELj1EN10test_utils4lessELj10EEvPKT_PS2_T2_.num_named_barrier, 0
	.set _Z16sort_keys_kernelIhLj512ELj1EN10test_utils4lessELj10EEvPKT_PS2_T2_.private_seg_size, 0
	.set _Z16sort_keys_kernelIhLj512ELj1EN10test_utils4lessELj10EEvPKT_PS2_T2_.uses_vcc, 1
	.set _Z16sort_keys_kernelIhLj512ELj1EN10test_utils4lessELj10EEvPKT_PS2_T2_.uses_flat_scratch, 0
	.set _Z16sort_keys_kernelIhLj512ELj1EN10test_utils4lessELj10EEvPKT_PS2_T2_.has_dyn_sized_stack, 0
	.set _Z16sort_keys_kernelIhLj512ELj1EN10test_utils4lessELj10EEvPKT_PS2_T2_.has_recursion, 0
	.set _Z16sort_keys_kernelIhLj512ELj1EN10test_utils4lessELj10EEvPKT_PS2_T2_.has_indirect_call, 0
	.section	.AMDGPU.csdata,"",@progbits
; Kernel info:
; codeLenInByte = 3336
; TotalNumSgprs: 20
; NumVgprs: 58
; ScratchSize: 0
; MemoryBound: 0
; FloatMode: 240
; IeeeMode: 1
; LDSByteSize: 513 bytes/workgroup (compile time only)
; SGPRBlocks: 0
; VGPRBlocks: 7
; NumSGPRsForWavesPerEU: 20
; NumVGPRsForWavesPerEU: 58
; Occupancy: 16
; WaveLimiterHint : 0
; COMPUTE_PGM_RSRC2:SCRATCH_EN: 0
; COMPUTE_PGM_RSRC2:USER_SGPR: 2
; COMPUTE_PGM_RSRC2:TRAP_HANDLER: 0
; COMPUTE_PGM_RSRC2:TGID_X_EN: 1
; COMPUTE_PGM_RSRC2:TGID_Y_EN: 0
; COMPUTE_PGM_RSRC2:TGID_Z_EN: 0
; COMPUTE_PGM_RSRC2:TIDIG_COMP_CNT: 0
	.section	.text._Z17sort_pairs_kernelIhLj512ELj1EN10test_utils4lessELj10EEvPKT_PS2_T2_,"axG",@progbits,_Z17sort_pairs_kernelIhLj512ELj1EN10test_utils4lessELj10EEvPKT_PS2_T2_,comdat
	.protected	_Z17sort_pairs_kernelIhLj512ELj1EN10test_utils4lessELj10EEvPKT_PS2_T2_ ; -- Begin function _Z17sort_pairs_kernelIhLj512ELj1EN10test_utils4lessELj10EEvPKT_PS2_T2_
	.globl	_Z17sort_pairs_kernelIhLj512ELj1EN10test_utils4lessELj10EEvPKT_PS2_T2_
	.p2align	8
	.type	_Z17sort_pairs_kernelIhLj512ELj1EN10test_utils4lessELj10EEvPKT_PS2_T2_,@function
_Z17sort_pairs_kernelIhLj512ELj1EN10test_utils4lessELj10EEvPKT_PS2_T2_: ; @_Z17sort_pairs_kernelIhLj512ELj1EN10test_utils4lessELj10EEvPKT_PS2_T2_
; %bb.0:
	s_load_b128 s[12:15], s[0:1], 0x0
	s_lshl_b32 s16, ttmp9, 9
	s_mov_b32 s17, 0
	v_and_b32_e32 v2, 0x1fc, v0
	v_and_b32_e32 v1, 0x1fe, v0
	;; [unrolled: 1-line block ×5, first 2 shown]
	v_or_b32_e32 v12, 2, v2
	v_add_nc_u32_e32 v13, 4, v2
	v_or_b32_e32 v11, 1, v1
	v_or_b32_e32 v14, 4, v3
	v_add_nc_u32_e32 v15, 8, v3
	v_and_b32_e32 v35, 1, v0
	v_sub_nc_u32_e32 v50, v13, v12
	v_and_b32_e32 v44, 7, v0
	v_and_b32_e32 v5, 0x1e0, v0
	v_or_b32_e32 v16, 8, v4
	v_add_nc_u32_e32 v17, 16, v4
	v_sub_nc_u32_e32 v36, v11, v1
	s_wait_kmcnt 0x0
	s_add_nc_u64 s[0:1], s[12:13], s[16:17]
	v_sub_nc_u32_e32 v37, v12, v2
	global_load_u8 v51, v0, s[0:1]
	v_sub_nc_u32_e32 v52, v15, v14
	v_sub_nc_u32_e32 v59, v43, v50
	v_cmp_ge_i32_e64 s1, v43, v50
	v_and_b32_e32 v45, 15, v0
	v_and_b32_e32 v6, 0x1c0, v0
	v_add_nc_u32_e32 v26, -1, v35
	v_or_b32_e32 v18, 16, v5
	v_add_nc_u32_e32 v19, 32, v5
	v_cmp_lt_i32_e64 s0, 0, v35
	v_add_nc_u32_e32 v27, v11, v35
	v_add_nc_u32_e32 v28, v12, v43
	v_sub_nc_u32_e32 v38, v14, v3
	v_sub_nc_u32_e32 v53, v17, v16
	v_min_i32_e32 v35, v35, v36
	v_min_i32_e32 v36, v43, v37
	v_sub_nc_u32_e32 v60, v44, v52
	v_cndmask_b32_e64 v43, 0, v59, s1
	v_cmp_ge_i32_e64 s1, v44, v52
	v_and_b32_e32 v46, 31, v0
	v_and_b32_e32 v7, 0x180, v0
	v_or_b32_e32 v20, 32, v6
	v_add_nc_u32_e32 v21, 64, v6
	v_add_nc_u32_e32 v29, v14, v44
	v_sub_nc_u32_e32 v39, v16, v4
	v_sub_nc_u32_e32 v54, v19, v18
	v_min_i32_e32 v37, v44, v38
	v_sub_nc_u32_e32 v61, v45, v53
	s_wait_alu 0xf1ff
	v_cndmask_b32_e64 v44, 0, v60, s1
	v_cmp_ge_i32_e64 s1, v45, v53
	v_and_b32_e32 v47, 63, v0
	v_and_b32_e32 v8, 0x100, v0
	v_or_b32_e32 v22, 64, v7
	v_add_nc_u32_e32 v23, 0x80, v7
	v_add_nc_u32_e32 v30, v16, v45
	v_sub_nc_u32_e32 v40, v18, v5
	v_sub_nc_u32_e32 v55, v21, v20
	v_min_i32_e32 v38, v45, v39
	v_sub_nc_u32_e32 v62, v46, v54
	s_wait_alu 0xf1ff
	v_cndmask_b32_e64 v45, 0, v61, s1
	v_cmp_ge_i32_e64 s1, v46, v54
	v_and_b32_e32 v48, 0x7f, v0
	v_or_b32_e32 v24, 0x80, v8
	v_add_nc_u32_e32 v25, 0x100, v8
	v_add_nc_u32_e32 v31, v18, v46
	v_sub_nc_u32_e32 v41, v20, v6
	v_sub_nc_u32_e32 v56, v23, v22
	v_min_i32_e32 v39, v46, v40
	v_sub_nc_u32_e32 v63, v47, v55
	s_wait_alu 0xf1ff
	v_cndmask_b32_e64 v46, 0, v62, s1
	v_cmp_ge_i32_e64 s1, v47, v55
	v_and_b32_e32 v49, 0xff, v0
	v_add_nc_u32_e32 v32, v20, v47
	v_sub_nc_u32_e32 v42, v22, v7
	v_sub_nc_u32_e32 v58, v25, v24
	v_min_i32_e32 v40, v47, v41
	v_sub_nc_u32_e32 v64, v48, v56
	s_wait_alu 0xf1ff
	v_cndmask_b32_e64 v47, 0, v63, s1
	v_cmp_ge_i32_e64 s1, v48, v56
	v_add_nc_u32_e32 v33, v22, v48
	v_sub_nc_u32_e32 v57, v24, v8
	v_min_i32_e32 v41, v48, v42
	v_sub_nc_u32_e32 v65, v49, v58
	s_wait_alu 0xf1ff
	v_cndmask_b32_e64 v48, 0, v64, s1
	v_cmp_ge_i32_e64 s1, v49, v58
	v_cndmask_b32_e64 v26, 0, v26, s0
	v_add_nc_u32_e32 v34, v24, v49
	v_min_i32_e32 v42, v49, v57
	v_subrev_nc_u32_e64 v9, 0x100, v0 clamp
	s_wait_alu 0xf1ff
	v_cndmask_b32_e64 v49, 0, v65, s1
	v_min_i32_e32 v10, 0x100, v0
	v_cmp_lt_i32_e64 s0, v26, v35
	v_cmp_lt_i32_e64 s1, v43, v36
	;; [unrolled: 1-line block ×8, first 2 shown]
	v_add_nc_u32_e32 v50, 0x100, v0
	s_mov_b32 s11, s17
	v_cmp_lt_i32_e32 vcc_lo, v9, v10
	s_wait_loadcnt 0x0
	v_add_nc_u16 v52, v51, 1
	s_branch .LBB111_2
.LBB111_1:                              ;   in Loop: Header=BB111_2 Depth=1
	s_wait_alu 0xfffe
	s_or_b32 exec_lo, exec_lo, s9
	v_sub_nc_u32_e32 v54, v50, v53
	v_cmp_le_i32_e64 s8, 0x100, v53
	s_add_co_i32 s11, s11, 1
	ds_load_u8 v51, v53
	ds_load_u8 v55, v54
	v_cmp_gt_i32_e64 s10, 0x200, v54
	s_wait_loadcnt_dscnt 0x0
	s_barrier_signal -1
	s_barrier_wait -1
	global_inv scope:SCOPE_SE
	ds_store_b8 v0, v52
	s_wait_loadcnt_dscnt 0x0
	s_barrier_signal -1
	s_barrier_wait -1
	global_inv scope:SCOPE_SE
	v_and_b32_e32 v56, 0xff, v51
	v_and_b32_e32 v57, 0xff, v55
	s_delay_alu instid0(VALU_DEP_1)
	v_cmp_lt_u16_e64 s9, v57, v56
	s_or_b32 s8, s8, s9
	s_wait_alu 0xfffe
	s_and_b32 s8, s10, s8
	s_cmp_eq_u32 s11, 10
	s_wait_alu 0xfffe
	v_cndmask_b32_e64 v53, v53, v54, s8
	v_cndmask_b32_e64 v51, v51, v55, s8
	ds_load_u8 v52, v53
	s_cbranch_scc1 .LBB111_38
.LBB111_2:                              ; =>This Loop Header: Depth=1
                                        ;     Child Loop BB111_4 Depth 2
                                        ;     Child Loop BB111_8 Depth 2
	;; [unrolled: 1-line block ×9, first 2 shown]
	s_barrier_signal -1
	s_barrier_wait -1
	global_inv scope:SCOPE_SE
	ds_store_b8 v0, v51
	v_mov_b32_e32 v51, v26
	s_wait_loadcnt_dscnt 0x0
	s_barrier_signal -1
	s_barrier_wait -1
	global_inv scope:SCOPE_SE
	s_and_saveexec_b32 s9, s0
	s_cbranch_execz .LBB111_6
; %bb.3:                                ;   in Loop: Header=BB111_2 Depth=1
	v_mov_b32_e32 v51, v26
	v_mov_b32_e32 v53, v35
	s_mov_b32 s10, 0
.LBB111_4:                              ;   Parent Loop BB111_2 Depth=1
                                        ; =>  This Inner Loop Header: Depth=2
	s_delay_alu instid0(VALU_DEP_1) | instskip(NEXT) | instid1(VALU_DEP_1)
	v_sub_nc_u32_e32 v54, v53, v51
	v_lshrrev_b32_e32 v54, 1, v54
	s_delay_alu instid0(VALU_DEP_1) | instskip(NEXT) | instid1(VALU_DEP_1)
	v_add_nc_u32_e32 v54, v54, v51
	v_add_nc_u32_e32 v55, v1, v54
	v_xad_u32 v56, v54, -1, v27
	v_add_nc_u32_e32 v57, 1, v54
	ds_load_u8 v55, v55
	ds_load_u8 v56, v56
	s_wait_dscnt 0x0
	v_cmp_lt_u16_e64 s8, v56, v55
	s_wait_alu 0xf1ff
	s_delay_alu instid0(VALU_DEP_1) | instskip(SKIP_1) | instid1(VALU_DEP_1)
	v_cndmask_b32_e64 v53, v53, v54, s8
	v_cndmask_b32_e64 v51, v57, v51, s8
	v_cmp_ge_i32_e64 s8, v51, v53
	s_or_b32 s10, s8, s10
	s_delay_alu instid0(SALU_CYCLE_1)
	s_and_not1_b32 exec_lo, exec_lo, s10
	s_cbranch_execnz .LBB111_4
; %bb.5:                                ;   in Loop: Header=BB111_2 Depth=1
	s_or_b32 exec_lo, exec_lo, s10
.LBB111_6:                              ;   in Loop: Header=BB111_2 Depth=1
	s_wait_alu 0xfffe
	s_or_b32 exec_lo, exec_lo, s9
	v_add_nc_u32_e32 v53, v51, v1
	v_sub_nc_u32_e32 v51, v27, v51
	ds_load_u8 v54, v53
	ds_load_u8 v55, v51
	v_cmp_le_i32_e64 s8, v11, v53
	s_wait_loadcnt_dscnt 0x0
	s_barrier_signal -1
	s_barrier_wait -1
	global_inv scope:SCOPE_SE
	ds_store_b8 v0, v52
	v_cmp_ge_i32_e64 s10, v11, v51
	s_wait_loadcnt_dscnt 0x0
	s_barrier_signal -1
	s_barrier_wait -1
	global_inv scope:SCOPE_SE
	v_mov_b32_e32 v52, v43
	v_and_b32_e32 v56, 0xff, v54
	v_and_b32_e32 v57, 0xff, v55
	s_delay_alu instid0(VALU_DEP_1)
	v_cmp_lt_u16_e64 s9, v57, v56
	s_or_b32 s8, s8, s9
	s_wait_alu 0xfffe
	s_and_b32 s8, s10, s8
	s_wait_alu 0xfffe
	v_cndmask_b32_e64 v51, v53, v51, s8
	v_cndmask_b32_e64 v54, v54, v55, s8
	ds_load_u8 v51, v51
	s_wait_loadcnt_dscnt 0x0
	s_barrier_signal -1
	s_barrier_wait -1
	global_inv scope:SCOPE_SE
	ds_store_b8 v0, v54
	s_wait_loadcnt_dscnt 0x0
	s_barrier_signal -1
	s_barrier_wait -1
	global_inv scope:SCOPE_SE
	s_and_saveexec_b32 s9, s1
	s_cbranch_execz .LBB111_10
; %bb.7:                                ;   in Loop: Header=BB111_2 Depth=1
	v_dual_mov_b32 v52, v43 :: v_dual_mov_b32 v53, v36
	s_mov_b32 s10, 0
.LBB111_8:                              ;   Parent Loop BB111_2 Depth=1
                                        ; =>  This Inner Loop Header: Depth=2
	s_delay_alu instid0(VALU_DEP_1) | instskip(NEXT) | instid1(VALU_DEP_1)
	v_sub_nc_u32_e32 v54, v53, v52
	v_lshrrev_b32_e32 v54, 1, v54
	s_delay_alu instid0(VALU_DEP_1) | instskip(NEXT) | instid1(VALU_DEP_1)
	v_add_nc_u32_e32 v54, v54, v52
	v_add_nc_u32_e32 v55, v2, v54
	v_xad_u32 v56, v54, -1, v28
	v_add_nc_u32_e32 v57, 1, v54
	ds_load_u8 v55, v55
	ds_load_u8 v56, v56
	s_wait_dscnt 0x0
	v_cmp_lt_u16_e64 s8, v56, v55
	s_wait_alu 0xf1ff
	s_delay_alu instid0(VALU_DEP_1) | instskip(SKIP_1) | instid1(VALU_DEP_1)
	v_cndmask_b32_e64 v53, v53, v54, s8
	v_cndmask_b32_e64 v52, v57, v52, s8
	v_cmp_ge_i32_e64 s8, v52, v53
	s_or_b32 s10, s8, s10
	s_delay_alu instid0(SALU_CYCLE_1)
	s_and_not1_b32 exec_lo, exec_lo, s10
	s_cbranch_execnz .LBB111_8
; %bb.9:                                ;   in Loop: Header=BB111_2 Depth=1
	s_or_b32 exec_lo, exec_lo, s10
.LBB111_10:                             ;   in Loop: Header=BB111_2 Depth=1
	s_wait_alu 0xfffe
	s_or_b32 exec_lo, exec_lo, s9
	v_add_nc_u32_e32 v53, v52, v2
	v_sub_nc_u32_e32 v52, v28, v52
	ds_load_u8 v54, v53
	ds_load_u8 v55, v52
	v_cmp_le_i32_e64 s8, v12, v53
	v_cmp_gt_i32_e64 s10, v13, v52
	s_wait_loadcnt_dscnt 0x0
	s_barrier_signal -1
	s_barrier_wait -1
	global_inv scope:SCOPE_SE
	ds_store_b8 v0, v51
	s_wait_loadcnt_dscnt 0x0
	s_barrier_signal -1
	s_barrier_wait -1
	global_inv scope:SCOPE_SE
	v_and_b32_e32 v56, 0xff, v54
	v_and_b32_e32 v57, 0xff, v55
	s_delay_alu instid0(VALU_DEP_1)
	v_cmp_lt_u16_e64 s9, v57, v56
	s_or_b32 s8, s8, s9
	s_wait_alu 0xfffe
	s_and_b32 s8, s10, s8
	s_wait_alu 0xfffe
	v_cndmask_b32_e64 v52, v53, v52, s8
	v_cndmask_b32_e64 v54, v54, v55, s8
	ds_load_u8 v51, v52
	v_mov_b32_e32 v52, v44
	s_wait_loadcnt_dscnt 0x0
	s_barrier_signal -1
	s_barrier_wait -1
	global_inv scope:SCOPE_SE
	ds_store_b8 v0, v54
	s_wait_loadcnt_dscnt 0x0
	s_barrier_signal -1
	s_barrier_wait -1
	global_inv scope:SCOPE_SE
	s_and_saveexec_b32 s9, s2
	s_cbranch_execz .LBB111_14
; %bb.11:                               ;   in Loop: Header=BB111_2 Depth=1
	v_dual_mov_b32 v52, v44 :: v_dual_mov_b32 v53, v37
	s_mov_b32 s10, 0
.LBB111_12:                             ;   Parent Loop BB111_2 Depth=1
                                        ; =>  This Inner Loop Header: Depth=2
	s_delay_alu instid0(VALU_DEP_1) | instskip(NEXT) | instid1(VALU_DEP_1)
	v_sub_nc_u32_e32 v54, v53, v52
	v_lshrrev_b32_e32 v54, 1, v54
	s_delay_alu instid0(VALU_DEP_1) | instskip(NEXT) | instid1(VALU_DEP_1)
	v_add_nc_u32_e32 v54, v54, v52
	v_add_nc_u32_e32 v55, v3, v54
	v_xad_u32 v56, v54, -1, v29
	v_add_nc_u32_e32 v57, 1, v54
	ds_load_u8 v55, v55
	ds_load_u8 v56, v56
	s_wait_dscnt 0x0
	v_cmp_lt_u16_e64 s8, v56, v55
	s_wait_alu 0xf1ff
	s_delay_alu instid0(VALU_DEP_1) | instskip(SKIP_1) | instid1(VALU_DEP_1)
	v_cndmask_b32_e64 v53, v53, v54, s8
	v_cndmask_b32_e64 v52, v57, v52, s8
	v_cmp_ge_i32_e64 s8, v52, v53
	s_or_b32 s10, s8, s10
	s_delay_alu instid0(SALU_CYCLE_1)
	s_and_not1_b32 exec_lo, exec_lo, s10
	s_cbranch_execnz .LBB111_12
; %bb.13:                               ;   in Loop: Header=BB111_2 Depth=1
	s_or_b32 exec_lo, exec_lo, s10
.LBB111_14:                             ;   in Loop: Header=BB111_2 Depth=1
	s_wait_alu 0xfffe
	s_or_b32 exec_lo, exec_lo, s9
	v_add_nc_u32_e32 v53, v52, v3
	v_sub_nc_u32_e32 v52, v29, v52
	ds_load_u8 v54, v53
	ds_load_u8 v55, v52
	v_cmp_le_i32_e64 s8, v14, v53
	v_cmp_gt_i32_e64 s10, v15, v52
	s_wait_loadcnt_dscnt 0x0
	s_barrier_signal -1
	s_barrier_wait -1
	global_inv scope:SCOPE_SE
	ds_store_b8 v0, v51
	s_wait_loadcnt_dscnt 0x0
	s_barrier_signal -1
	s_barrier_wait -1
	global_inv scope:SCOPE_SE
	v_and_b32_e32 v56, 0xff, v54
	v_and_b32_e32 v57, 0xff, v55
	s_delay_alu instid0(VALU_DEP_1)
	v_cmp_lt_u16_e64 s9, v57, v56
	s_or_b32 s8, s8, s9
	s_wait_alu 0xfffe
	s_and_b32 s8, s10, s8
	s_wait_alu 0xfffe
	v_cndmask_b32_e64 v52, v53, v52, s8
	v_cndmask_b32_e64 v54, v54, v55, s8
	ds_load_u8 v51, v52
	v_mov_b32_e32 v52, v45
	s_wait_loadcnt_dscnt 0x0
	s_barrier_signal -1
	s_barrier_wait -1
	global_inv scope:SCOPE_SE
	ds_store_b8 v0, v54
	s_wait_loadcnt_dscnt 0x0
	s_barrier_signal -1
	s_barrier_wait -1
	global_inv scope:SCOPE_SE
	s_and_saveexec_b32 s9, s3
	s_cbranch_execz .LBB111_18
; %bb.15:                               ;   in Loop: Header=BB111_2 Depth=1
	v_dual_mov_b32 v52, v45 :: v_dual_mov_b32 v53, v38
	s_mov_b32 s10, 0
.LBB111_16:                             ;   Parent Loop BB111_2 Depth=1
                                        ; =>  This Inner Loop Header: Depth=2
	s_delay_alu instid0(VALU_DEP_1) | instskip(NEXT) | instid1(VALU_DEP_1)
	v_sub_nc_u32_e32 v54, v53, v52
	v_lshrrev_b32_e32 v54, 1, v54
	s_delay_alu instid0(VALU_DEP_1) | instskip(NEXT) | instid1(VALU_DEP_1)
	v_add_nc_u32_e32 v54, v54, v52
	v_add_nc_u32_e32 v55, v4, v54
	v_xad_u32 v56, v54, -1, v30
	v_add_nc_u32_e32 v57, 1, v54
	ds_load_u8 v55, v55
	ds_load_u8 v56, v56
	s_wait_dscnt 0x0
	v_cmp_lt_u16_e64 s8, v56, v55
	s_wait_alu 0xf1ff
	s_delay_alu instid0(VALU_DEP_1) | instskip(SKIP_1) | instid1(VALU_DEP_1)
	v_cndmask_b32_e64 v53, v53, v54, s8
	v_cndmask_b32_e64 v52, v57, v52, s8
	v_cmp_ge_i32_e64 s8, v52, v53
	s_or_b32 s10, s8, s10
	s_delay_alu instid0(SALU_CYCLE_1)
	s_and_not1_b32 exec_lo, exec_lo, s10
	s_cbranch_execnz .LBB111_16
; %bb.17:                               ;   in Loop: Header=BB111_2 Depth=1
	s_or_b32 exec_lo, exec_lo, s10
.LBB111_18:                             ;   in Loop: Header=BB111_2 Depth=1
	s_wait_alu 0xfffe
	s_or_b32 exec_lo, exec_lo, s9
	v_add_nc_u32_e32 v53, v52, v4
	v_sub_nc_u32_e32 v52, v30, v52
	ds_load_u8 v54, v53
	ds_load_u8 v55, v52
	v_cmp_le_i32_e64 s8, v16, v53
	v_cmp_gt_i32_e64 s10, v17, v52
	s_wait_loadcnt_dscnt 0x0
	s_barrier_signal -1
	s_barrier_wait -1
	global_inv scope:SCOPE_SE
	ds_store_b8 v0, v51
	s_wait_loadcnt_dscnt 0x0
	s_barrier_signal -1
	s_barrier_wait -1
	global_inv scope:SCOPE_SE
	v_and_b32_e32 v56, 0xff, v54
	v_and_b32_e32 v57, 0xff, v55
	s_delay_alu instid0(VALU_DEP_1)
	v_cmp_lt_u16_e64 s9, v57, v56
	s_or_b32 s8, s8, s9
	s_wait_alu 0xfffe
	s_and_b32 s8, s10, s8
	s_wait_alu 0xfffe
	v_cndmask_b32_e64 v52, v53, v52, s8
	v_cndmask_b32_e64 v54, v54, v55, s8
	ds_load_u8 v51, v52
	v_mov_b32_e32 v52, v46
	s_wait_loadcnt_dscnt 0x0
	s_barrier_signal -1
	s_barrier_wait -1
	global_inv scope:SCOPE_SE
	ds_store_b8 v0, v54
	s_wait_loadcnt_dscnt 0x0
	s_barrier_signal -1
	s_barrier_wait -1
	global_inv scope:SCOPE_SE
	s_and_saveexec_b32 s9, s4
	s_cbranch_execz .LBB111_22
; %bb.19:                               ;   in Loop: Header=BB111_2 Depth=1
	v_dual_mov_b32 v52, v46 :: v_dual_mov_b32 v53, v39
	s_mov_b32 s10, 0
.LBB111_20:                             ;   Parent Loop BB111_2 Depth=1
                                        ; =>  This Inner Loop Header: Depth=2
	s_delay_alu instid0(VALU_DEP_1) | instskip(NEXT) | instid1(VALU_DEP_1)
	v_sub_nc_u32_e32 v54, v53, v52
	v_lshrrev_b32_e32 v54, 1, v54
	s_delay_alu instid0(VALU_DEP_1) | instskip(NEXT) | instid1(VALU_DEP_1)
	v_add_nc_u32_e32 v54, v54, v52
	v_add_nc_u32_e32 v55, v5, v54
	v_xad_u32 v56, v54, -1, v31
	v_add_nc_u32_e32 v57, 1, v54
	ds_load_u8 v55, v55
	ds_load_u8 v56, v56
	s_wait_dscnt 0x0
	v_cmp_lt_u16_e64 s8, v56, v55
	s_wait_alu 0xf1ff
	s_delay_alu instid0(VALU_DEP_1) | instskip(SKIP_1) | instid1(VALU_DEP_1)
	v_cndmask_b32_e64 v53, v53, v54, s8
	v_cndmask_b32_e64 v52, v57, v52, s8
	v_cmp_ge_i32_e64 s8, v52, v53
	s_or_b32 s10, s8, s10
	s_delay_alu instid0(SALU_CYCLE_1)
	s_and_not1_b32 exec_lo, exec_lo, s10
	s_cbranch_execnz .LBB111_20
; %bb.21:                               ;   in Loop: Header=BB111_2 Depth=1
	s_or_b32 exec_lo, exec_lo, s10
.LBB111_22:                             ;   in Loop: Header=BB111_2 Depth=1
	s_wait_alu 0xfffe
	s_or_b32 exec_lo, exec_lo, s9
	v_add_nc_u32_e32 v53, v52, v5
	v_sub_nc_u32_e32 v52, v31, v52
	ds_load_u8 v54, v53
	ds_load_u8 v55, v52
	v_cmp_le_i32_e64 s8, v18, v53
	v_cmp_gt_i32_e64 s10, v19, v52
	s_wait_loadcnt_dscnt 0x0
	s_barrier_signal -1
	s_barrier_wait -1
	global_inv scope:SCOPE_SE
	ds_store_b8 v0, v51
	s_wait_loadcnt_dscnt 0x0
	s_barrier_signal -1
	s_barrier_wait -1
	global_inv scope:SCOPE_SE
	v_and_b32_e32 v56, 0xff, v54
	v_and_b32_e32 v57, 0xff, v55
	s_delay_alu instid0(VALU_DEP_1)
	v_cmp_lt_u16_e64 s9, v57, v56
	s_or_b32 s8, s8, s9
	s_wait_alu 0xfffe
	s_and_b32 s8, s10, s8
	s_wait_alu 0xfffe
	v_cndmask_b32_e64 v52, v53, v52, s8
	v_cndmask_b32_e64 v54, v54, v55, s8
	ds_load_u8 v51, v52
	v_mov_b32_e32 v52, v47
	s_wait_loadcnt_dscnt 0x0
	s_barrier_signal -1
	s_barrier_wait -1
	global_inv scope:SCOPE_SE
	ds_store_b8 v0, v54
	s_wait_loadcnt_dscnt 0x0
	s_barrier_signal -1
	s_barrier_wait -1
	global_inv scope:SCOPE_SE
	s_and_saveexec_b32 s9, s5
	s_cbranch_execz .LBB111_26
; %bb.23:                               ;   in Loop: Header=BB111_2 Depth=1
	v_dual_mov_b32 v52, v47 :: v_dual_mov_b32 v53, v40
	s_mov_b32 s10, 0
.LBB111_24:                             ;   Parent Loop BB111_2 Depth=1
                                        ; =>  This Inner Loop Header: Depth=2
	s_delay_alu instid0(VALU_DEP_1) | instskip(NEXT) | instid1(VALU_DEP_1)
	v_sub_nc_u32_e32 v54, v53, v52
	v_lshrrev_b32_e32 v54, 1, v54
	s_delay_alu instid0(VALU_DEP_1) | instskip(NEXT) | instid1(VALU_DEP_1)
	v_add_nc_u32_e32 v54, v54, v52
	v_add_nc_u32_e32 v55, v6, v54
	v_xad_u32 v56, v54, -1, v32
	v_add_nc_u32_e32 v57, 1, v54
	ds_load_u8 v55, v55
	ds_load_u8 v56, v56
	s_wait_dscnt 0x0
	v_cmp_lt_u16_e64 s8, v56, v55
	s_wait_alu 0xf1ff
	s_delay_alu instid0(VALU_DEP_1) | instskip(SKIP_1) | instid1(VALU_DEP_1)
	v_cndmask_b32_e64 v53, v53, v54, s8
	v_cndmask_b32_e64 v52, v57, v52, s8
	v_cmp_ge_i32_e64 s8, v52, v53
	s_or_b32 s10, s8, s10
	s_delay_alu instid0(SALU_CYCLE_1)
	s_and_not1_b32 exec_lo, exec_lo, s10
	s_cbranch_execnz .LBB111_24
; %bb.25:                               ;   in Loop: Header=BB111_2 Depth=1
	s_or_b32 exec_lo, exec_lo, s10
.LBB111_26:                             ;   in Loop: Header=BB111_2 Depth=1
	s_wait_alu 0xfffe
	s_or_b32 exec_lo, exec_lo, s9
	v_add_nc_u32_e32 v53, v52, v6
	v_sub_nc_u32_e32 v52, v32, v52
	ds_load_u8 v54, v53
	ds_load_u8 v55, v52
	v_cmp_le_i32_e64 s8, v20, v53
	v_cmp_gt_i32_e64 s10, v21, v52
	s_wait_loadcnt_dscnt 0x0
	s_barrier_signal -1
	s_barrier_wait -1
	global_inv scope:SCOPE_SE
	ds_store_b8 v0, v51
	s_wait_loadcnt_dscnt 0x0
	s_barrier_signal -1
	s_barrier_wait -1
	global_inv scope:SCOPE_SE
	v_and_b32_e32 v56, 0xff, v54
	v_and_b32_e32 v57, 0xff, v55
	s_delay_alu instid0(VALU_DEP_1)
	v_cmp_lt_u16_e64 s9, v57, v56
	s_or_b32 s8, s8, s9
	s_wait_alu 0xfffe
	s_and_b32 s8, s10, s8
	s_wait_alu 0xfffe
	v_cndmask_b32_e64 v52, v53, v52, s8
	v_cndmask_b32_e64 v54, v54, v55, s8
	ds_load_u8 v51, v52
	v_mov_b32_e32 v52, v48
	s_wait_loadcnt_dscnt 0x0
	s_barrier_signal -1
	s_barrier_wait -1
	global_inv scope:SCOPE_SE
	ds_store_b8 v0, v54
	s_wait_loadcnt_dscnt 0x0
	s_barrier_signal -1
	s_barrier_wait -1
	global_inv scope:SCOPE_SE
	s_and_saveexec_b32 s9, s6
	s_cbranch_execz .LBB111_30
; %bb.27:                               ;   in Loop: Header=BB111_2 Depth=1
	v_dual_mov_b32 v52, v48 :: v_dual_mov_b32 v53, v41
	s_mov_b32 s10, 0
.LBB111_28:                             ;   Parent Loop BB111_2 Depth=1
                                        ; =>  This Inner Loop Header: Depth=2
	s_delay_alu instid0(VALU_DEP_1) | instskip(NEXT) | instid1(VALU_DEP_1)
	v_sub_nc_u32_e32 v54, v53, v52
	v_lshrrev_b32_e32 v54, 1, v54
	s_delay_alu instid0(VALU_DEP_1) | instskip(NEXT) | instid1(VALU_DEP_1)
	v_add_nc_u32_e32 v54, v54, v52
	v_add_nc_u32_e32 v55, v7, v54
	v_xad_u32 v56, v54, -1, v33
	v_add_nc_u32_e32 v57, 1, v54
	ds_load_u8 v55, v55
	ds_load_u8 v56, v56
	s_wait_dscnt 0x0
	v_cmp_lt_u16_e64 s8, v56, v55
	s_wait_alu 0xf1ff
	s_delay_alu instid0(VALU_DEP_1) | instskip(SKIP_1) | instid1(VALU_DEP_1)
	v_cndmask_b32_e64 v53, v53, v54, s8
	v_cndmask_b32_e64 v52, v57, v52, s8
	v_cmp_ge_i32_e64 s8, v52, v53
	s_or_b32 s10, s8, s10
	s_delay_alu instid0(SALU_CYCLE_1)
	s_and_not1_b32 exec_lo, exec_lo, s10
	s_cbranch_execnz .LBB111_28
; %bb.29:                               ;   in Loop: Header=BB111_2 Depth=1
	s_or_b32 exec_lo, exec_lo, s10
.LBB111_30:                             ;   in Loop: Header=BB111_2 Depth=1
	s_wait_alu 0xfffe
	s_or_b32 exec_lo, exec_lo, s9
	v_add_nc_u32_e32 v53, v52, v7
	v_sub_nc_u32_e32 v52, v33, v52
	ds_load_u8 v54, v53
	ds_load_u8 v55, v52
	v_cmp_le_i32_e64 s8, v22, v53
	v_cmp_gt_i32_e64 s10, v23, v52
	s_wait_loadcnt_dscnt 0x0
	s_barrier_signal -1
	s_barrier_wait -1
	global_inv scope:SCOPE_SE
	ds_store_b8 v0, v51
	s_wait_loadcnt_dscnt 0x0
	s_barrier_signal -1
	s_barrier_wait -1
	global_inv scope:SCOPE_SE
	v_and_b32_e32 v56, 0xff, v54
	v_and_b32_e32 v57, 0xff, v55
	s_delay_alu instid0(VALU_DEP_1)
	v_cmp_lt_u16_e64 s9, v57, v56
	s_or_b32 s8, s8, s9
	s_wait_alu 0xfffe
	s_and_b32 s8, s10, s8
	s_wait_alu 0xfffe
	v_cndmask_b32_e64 v52, v53, v52, s8
	v_cndmask_b32_e64 v54, v54, v55, s8
	ds_load_u8 v51, v52
	v_mov_b32_e32 v52, v49
	s_wait_loadcnt_dscnt 0x0
	s_barrier_signal -1
	s_barrier_wait -1
	global_inv scope:SCOPE_SE
	ds_store_b8 v0, v54
	s_wait_loadcnt_dscnt 0x0
	s_barrier_signal -1
	s_barrier_wait -1
	global_inv scope:SCOPE_SE
	s_and_saveexec_b32 s9, s7
	s_cbranch_execz .LBB111_34
; %bb.31:                               ;   in Loop: Header=BB111_2 Depth=1
	v_dual_mov_b32 v52, v49 :: v_dual_mov_b32 v53, v42
	s_mov_b32 s10, 0
.LBB111_32:                             ;   Parent Loop BB111_2 Depth=1
                                        ; =>  This Inner Loop Header: Depth=2
	s_delay_alu instid0(VALU_DEP_1) | instskip(NEXT) | instid1(VALU_DEP_1)
	v_sub_nc_u32_e32 v54, v53, v52
	v_lshrrev_b32_e32 v54, 1, v54
	s_delay_alu instid0(VALU_DEP_1) | instskip(NEXT) | instid1(VALU_DEP_1)
	v_add_nc_u32_e32 v54, v54, v52
	v_add_nc_u32_e32 v55, v8, v54
	v_xad_u32 v56, v54, -1, v34
	v_add_nc_u32_e32 v57, 1, v54
	ds_load_u8 v55, v55
	ds_load_u8 v56, v56
	s_wait_dscnt 0x0
	v_cmp_lt_u16_e64 s8, v56, v55
	s_wait_alu 0xf1ff
	s_delay_alu instid0(VALU_DEP_1) | instskip(SKIP_1) | instid1(VALU_DEP_1)
	v_cndmask_b32_e64 v53, v53, v54, s8
	v_cndmask_b32_e64 v52, v57, v52, s8
	v_cmp_ge_i32_e64 s8, v52, v53
	s_or_b32 s10, s8, s10
	s_delay_alu instid0(SALU_CYCLE_1)
	s_and_not1_b32 exec_lo, exec_lo, s10
	s_cbranch_execnz .LBB111_32
; %bb.33:                               ;   in Loop: Header=BB111_2 Depth=1
	s_or_b32 exec_lo, exec_lo, s10
.LBB111_34:                             ;   in Loop: Header=BB111_2 Depth=1
	s_wait_alu 0xfffe
	s_or_b32 exec_lo, exec_lo, s9
	v_add_nc_u32_e32 v53, v52, v8
	v_sub_nc_u32_e32 v52, v34, v52
	ds_load_u8 v54, v53
	ds_load_u8 v55, v52
	v_cmp_le_i32_e64 s8, v24, v53
	v_cmp_gt_i32_e64 s10, v25, v52
	s_wait_loadcnt_dscnt 0x0
	s_barrier_signal -1
	s_barrier_wait -1
	global_inv scope:SCOPE_SE
	ds_store_b8 v0, v51
	s_wait_loadcnt_dscnt 0x0
	s_barrier_signal -1
	s_barrier_wait -1
	global_inv scope:SCOPE_SE
	v_and_b32_e32 v56, 0xff, v54
	v_and_b32_e32 v57, 0xff, v55
	s_delay_alu instid0(VALU_DEP_1)
	v_cmp_lt_u16_e64 s9, v57, v56
	s_or_b32 s8, s8, s9
	s_wait_alu 0xfffe
	s_and_b32 s8, s10, s8
	s_wait_alu 0xfffe
	v_cndmask_b32_e64 v52, v53, v52, s8
	v_cndmask_b32_e64 v54, v54, v55, s8
	v_mov_b32_e32 v53, v9
	ds_load_u8 v52, v52
	s_wait_loadcnt_dscnt 0x0
	s_barrier_signal -1
	s_barrier_wait -1
	global_inv scope:SCOPE_SE
	ds_store_b8 v0, v54
	s_wait_loadcnt_dscnt 0x0
	s_barrier_signal -1
	s_barrier_wait -1
	global_inv scope:SCOPE_SE
	s_and_saveexec_b32 s9, vcc_lo
	s_cbranch_execz .LBB111_1
; %bb.35:                               ;   in Loop: Header=BB111_2 Depth=1
	v_mov_b32_e32 v53, v9
	v_mov_b32_e32 v51, v10
	s_mov_b32 s10, 0
.LBB111_36:                             ;   Parent Loop BB111_2 Depth=1
                                        ; =>  This Inner Loop Header: Depth=2
	s_delay_alu instid0(VALU_DEP_1) | instskip(NEXT) | instid1(VALU_DEP_1)
	v_sub_nc_u32_e32 v54, v51, v53
	v_lshrrev_b32_e32 v54, 1, v54
	s_delay_alu instid0(VALU_DEP_1) | instskip(NEXT) | instid1(VALU_DEP_1)
	v_add_nc_u32_e32 v54, v54, v53
	v_xad_u32 v55, v54, -1, v50
	v_add_nc_u32_e32 v57, 1, v54
	ds_load_u8 v56, v54
	ds_load_u8 v55, v55
	s_wait_dscnt 0x0
	v_cmp_lt_u16_e64 s8, v55, v56
	s_wait_alu 0xf1ff
	s_delay_alu instid0(VALU_DEP_1) | instskip(SKIP_1) | instid1(VALU_DEP_1)
	v_cndmask_b32_e64 v51, v51, v54, s8
	v_cndmask_b32_e64 v53, v57, v53, s8
	v_cmp_ge_i32_e64 s8, v53, v51
	s_or_b32 s10, s8, s10
	s_delay_alu instid0(SALU_CYCLE_1)
	s_and_not1_b32 exec_lo, exec_lo, s10
	s_cbranch_execnz .LBB111_36
; %bb.37:                               ;   in Loop: Header=BB111_2 Depth=1
	s_or_b32 exec_lo, exec_lo, s10
	s_branch .LBB111_1
.LBB111_38:
	s_add_nc_u64 s[0:1], s[14:15], s[16:17]
	s_wait_dscnt 0x0
	v_add_nc_u16 v2, v51, v52
	s_wait_alu 0xfffe
	v_add_co_u32 v0, s0, s0, v0
	s_wait_alu 0xf1ff
	v_add_co_ci_u32_e64 v1, null, s1, 0, s0
	global_store_b8 v[0:1], v2, off
	s_endpgm
	.section	.rodata,"a",@progbits
	.p2align	6, 0x0
	.amdhsa_kernel _Z17sort_pairs_kernelIhLj512ELj1EN10test_utils4lessELj10EEvPKT_PS2_T2_
		.amdhsa_group_segment_fixed_size 513
		.amdhsa_private_segment_fixed_size 0
		.amdhsa_kernarg_size 20
		.amdhsa_user_sgpr_count 2
		.amdhsa_user_sgpr_dispatch_ptr 0
		.amdhsa_user_sgpr_queue_ptr 0
		.amdhsa_user_sgpr_kernarg_segment_ptr 1
		.amdhsa_user_sgpr_dispatch_id 0
		.amdhsa_user_sgpr_private_segment_size 0
		.amdhsa_wavefront_size32 1
		.amdhsa_uses_dynamic_stack 0
		.amdhsa_enable_private_segment 0
		.amdhsa_system_sgpr_workgroup_id_x 1
		.amdhsa_system_sgpr_workgroup_id_y 0
		.amdhsa_system_sgpr_workgroup_id_z 0
		.amdhsa_system_sgpr_workgroup_info 0
		.amdhsa_system_vgpr_workitem_id 0
		.amdhsa_next_free_vgpr 66
		.amdhsa_next_free_sgpr 18
		.amdhsa_reserve_vcc 1
		.amdhsa_float_round_mode_32 0
		.amdhsa_float_round_mode_16_64 0
		.amdhsa_float_denorm_mode_32 3
		.amdhsa_float_denorm_mode_16_64 3
		.amdhsa_fp16_overflow 0
		.amdhsa_workgroup_processor_mode 1
		.amdhsa_memory_ordered 1
		.amdhsa_forward_progress 1
		.amdhsa_inst_pref_size 32
		.amdhsa_round_robin_scheduling 0
		.amdhsa_exception_fp_ieee_invalid_op 0
		.amdhsa_exception_fp_denorm_src 0
		.amdhsa_exception_fp_ieee_div_zero 0
		.amdhsa_exception_fp_ieee_overflow 0
		.amdhsa_exception_fp_ieee_underflow 0
		.amdhsa_exception_fp_ieee_inexact 0
		.amdhsa_exception_int_div_zero 0
	.end_amdhsa_kernel
	.section	.text._Z17sort_pairs_kernelIhLj512ELj1EN10test_utils4lessELj10EEvPKT_PS2_T2_,"axG",@progbits,_Z17sort_pairs_kernelIhLj512ELj1EN10test_utils4lessELj10EEvPKT_PS2_T2_,comdat
.Lfunc_end111:
	.size	_Z17sort_pairs_kernelIhLj512ELj1EN10test_utils4lessELj10EEvPKT_PS2_T2_, .Lfunc_end111-_Z17sort_pairs_kernelIhLj512ELj1EN10test_utils4lessELj10EEvPKT_PS2_T2_
                                        ; -- End function
	.set _Z17sort_pairs_kernelIhLj512ELj1EN10test_utils4lessELj10EEvPKT_PS2_T2_.num_vgpr, 66
	.set _Z17sort_pairs_kernelIhLj512ELj1EN10test_utils4lessELj10EEvPKT_PS2_T2_.num_agpr, 0
	.set _Z17sort_pairs_kernelIhLj512ELj1EN10test_utils4lessELj10EEvPKT_PS2_T2_.numbered_sgpr, 18
	.set _Z17sort_pairs_kernelIhLj512ELj1EN10test_utils4lessELj10EEvPKT_PS2_T2_.num_named_barrier, 0
	.set _Z17sort_pairs_kernelIhLj512ELj1EN10test_utils4lessELj10EEvPKT_PS2_T2_.private_seg_size, 0
	.set _Z17sort_pairs_kernelIhLj512ELj1EN10test_utils4lessELj10EEvPKT_PS2_T2_.uses_vcc, 1
	.set _Z17sort_pairs_kernelIhLj512ELj1EN10test_utils4lessELj10EEvPKT_PS2_T2_.uses_flat_scratch, 0
	.set _Z17sort_pairs_kernelIhLj512ELj1EN10test_utils4lessELj10EEvPKT_PS2_T2_.has_dyn_sized_stack, 0
	.set _Z17sort_pairs_kernelIhLj512ELj1EN10test_utils4lessELj10EEvPKT_PS2_T2_.has_recursion, 0
	.set _Z17sort_pairs_kernelIhLj512ELj1EN10test_utils4lessELj10EEvPKT_PS2_T2_.has_indirect_call, 0
	.section	.AMDGPU.csdata,"",@progbits
; Kernel info:
; codeLenInByte = 4016
; TotalNumSgprs: 20
; NumVgprs: 66
; ScratchSize: 0
; MemoryBound: 0
; FloatMode: 240
; IeeeMode: 1
; LDSByteSize: 513 bytes/workgroup (compile time only)
; SGPRBlocks: 0
; VGPRBlocks: 8
; NumSGPRsForWavesPerEU: 20
; NumVGPRsForWavesPerEU: 66
; Occupancy: 16
; WaveLimiterHint : 0
; COMPUTE_PGM_RSRC2:SCRATCH_EN: 0
; COMPUTE_PGM_RSRC2:USER_SGPR: 2
; COMPUTE_PGM_RSRC2:TRAP_HANDLER: 0
; COMPUTE_PGM_RSRC2:TGID_X_EN: 1
; COMPUTE_PGM_RSRC2:TGID_Y_EN: 0
; COMPUTE_PGM_RSRC2:TGID_Z_EN: 0
; COMPUTE_PGM_RSRC2:TIDIG_COMP_CNT: 0
	.section	.text._Z16sort_keys_kernelIhLj512ELj2EN10test_utils4lessELj10EEvPKT_PS2_T2_,"axG",@progbits,_Z16sort_keys_kernelIhLj512ELj2EN10test_utils4lessELj10EEvPKT_PS2_T2_,comdat
	.protected	_Z16sort_keys_kernelIhLj512ELj2EN10test_utils4lessELj10EEvPKT_PS2_T2_ ; -- Begin function _Z16sort_keys_kernelIhLj512ELj2EN10test_utils4lessELj10EEvPKT_PS2_T2_
	.globl	_Z16sort_keys_kernelIhLj512ELj2EN10test_utils4lessELj10EEvPKT_PS2_T2_
	.p2align	8
	.type	_Z16sort_keys_kernelIhLj512ELj2EN10test_utils4lessELj10EEvPKT_PS2_T2_,@function
_Z16sort_keys_kernelIhLj512ELj2EN10test_utils4lessELj10EEvPKT_PS2_T2_: ; @_Z16sort_keys_kernelIhLj512ELj2EN10test_utils4lessELj10EEvPKT_PS2_T2_
; %bb.0:
	s_load_b128 s[12:15], s[0:1], 0x0
	s_lshl_b32 s16, ttmp9, 10
	s_mov_b32 s17, 0
	v_lshlrev_b32_e32 v1, 1, v0
	s_delay_alu instid0(VALU_DEP_1) | instskip(SKIP_1) | instid1(VALU_DEP_2)
	v_and_b32_e32 v2, 0x3fc, v1
	v_and_b32_e32 v15, 2, v1
	v_or_b32_e32 v3, 2, v2
	v_add_nc_u32_e32 v4, 4, v2
	s_delay_alu instid0(VALU_DEP_2) | instskip(NEXT) | instid1(VALU_DEP_2)
	v_sub_nc_u32_e32 v10, v3, v2
	v_sub_nc_u32_e32 v8, v4, v3
	s_wait_kmcnt 0x0
	s_add_nc_u64 s[0:1], s[12:13], s[16:17]
	s_mov_b32 s12, s17
	s_clause 0x1
	global_load_u8 v54, v0, s[0:1] offset:512
	global_load_u8 v53, v0, s[0:1]
	v_min_i32_e32 v10, v15, v10
	v_sub_nc_u32_e32 v9, v15, v8
	v_cmp_ge_i32_e32 vcc_lo, v15, v8
	s_delay_alu instid0(VALU_DEP_2)
	v_dual_cndmask_b32 v8, 0, v9 :: v_dual_add_nc_u32 v15, v3, v15
	v_and_b32_e32 v5, 0x3f8, v1
	v_and_b32_e32 v9, 0x3f0, v1
	;; [unrolled: 1-line block ×5, first 2 shown]
	v_or_b32_e32 v6, 4, v5
	v_add_nc_u32_e32 v7, 8, v5
	v_or_b32_e32 v11, 8, v9
	v_add_nc_u32_e32 v12, 16, v9
	v_and_b32_e32 v33, 30, v1
	v_sub_nc_u32_e32 v16, v6, v5
	v_sub_nc_u32_e32 v13, v7, v6
	;; [unrolled: 1-line block ×4, first 2 shown]
	v_or_b32_e32 v23, 32, v21
	v_add_nc_u32_e32 v24, 64, v21
	v_sub_nc_u32_e32 v14, v22, v13
	v_cmp_ge_i32_e64 s0, v22, v13
	v_sub_nc_u32_e32 v18, v25, v17
	v_cmp_ge_i32_e64 s1, v25, v17
	v_and_b32_e32 v26, 0x380, v1
	v_and_b32_e32 v34, 62, v1
	v_cndmask_b32_e64 v13, 0, v14, s0
	v_min_i32_e32 v14, v22, v16
	v_and_b32_e32 v16, 0x3e0, v1
	v_cndmask_b32_e64 v17, 0, v18, s1
	v_min_i32_e32 v18, v25, v19
	v_sub_nc_u32_e32 v31, v24, v23
	v_add_nc_u32_e32 v30, 0x80, v26
	v_or_b32_e32 v19, 16, v16
	v_add_nc_u32_e32 v20, 32, v16
	v_sub_nc_u32_e32 v35, v23, v21
	v_sub_nc_u32_e32 v32, v34, v31
	v_and_b32_e32 v43, 0x7e, v1
	v_and_b32_e32 v36, 0x200, v1
	v_sub_nc_u32_e32 v27, v20, v19
	v_and_b32_e32 v50, 0xfe, v1
	v_and_b32_e32 v51, 0x1fe, v1
	v_sub_nc_u32_e32 v28, v19, v16
	v_or_b32_e32 v41, 0x100, v36
	v_sub_nc_u32_e32 v29, v33, v27
	v_cmp_ge_i32_e64 s2, v33, v27
	v_add_nc_u32_e32 v42, 0x200, v36
	v_min_i32_e32 v28, v33, v28
	v_sub_nc_u32_e32 v48, v41, v36
	v_cmp_lt_i32_e64 s0, v13, v14
	v_cndmask_b32_e64 v27, 0, v29, s2
	v_or_b32_e32 v29, 64, v26
	v_cmp_ge_i32_e64 s2, v34, v31
	v_sub_nc_u32_e32 v46, v42, v41
	v_add_nc_u32_e32 v22, v6, v22
	v_cmp_lt_i32_e64 s1, v17, v18
	v_sub_nc_u32_e32 v37, v30, v29
	s_wait_alu 0xf1ff
	v_cndmask_b32_e64 v31, 0, v32, s2
	v_min_i32_e32 v32, v34, v35
	v_and_b32_e32 v35, 0x300, v1
	v_sub_nc_u32_e32 v40, v29, v26
	v_sub_nc_u32_e32 v38, v43, v37
	v_cmp_ge_i32_e64 s4, v43, v37
	v_sub_nc_u32_e32 v49, v51, v46
	v_add_nc_u32_e32 v39, 0x100, v35
	v_min_i32_e32 v40, v43, v40
	v_add_nc_u32_e32 v25, v11, v25
	v_cndmask_b32_e64 v37, 0, v38, s4
	v_or_b32_e32 v38, 0x80, v35
	v_cmp_lt_i32_e64 s2, v27, v28
	v_add_nc_u32_e32 v33, v19, v33
	v_cmp_lt_i32_e64 s3, v31, v32
	v_add_nc_u32_e32 v34, v23, v34
	v_sub_nc_u32_e32 v44, v39, v38
	v_sub_nc_u32_e32 v47, v38, v35
	v_cmp_lt_i32_e64 s4, v37, v40
	v_add_nc_u32_e32 v43, v29, v43
	v_add_nc_u32_e32 v52, 0x200, v1
	v_sub_nc_u32_e32 v45, v50, v44
	v_cmp_ge_i32_e64 s5, v50, v44
	v_cmp_lt_i32_e32 vcc_lo, v8, v10
	s_wait_alu 0xf1ff
	s_delay_alu instid0(VALU_DEP_2)
	v_cndmask_b32_e64 v44, 0, v45, s5
	v_cmp_ge_i32_e64 s5, v51, v46
	v_min_i32_e32 v45, v50, v47
	v_min_i32_e32 v47, v51, v48
	v_subrev_nc_u32_e64 v48, 0x200, v1 clamp
	v_add_nc_u32_e32 v50, v38, v50
	s_wait_alu 0xf1ff
	v_cndmask_b32_e64 v46, 0, v49, s5
	v_min_i32_e32 v49, 0x200, v1
	v_cmp_lt_i32_e64 s5, v44, v45
	v_add_nc_u32_e32 v51, v41, v51
	s_delay_alu instid0(VALU_DEP_4) | instskip(NEXT) | instid1(VALU_DEP_4)
	v_cmp_lt_i32_e64 s6, v46, v47
	v_cmp_lt_i32_e64 s7, v48, v49
	s_branch .LBB112_2
.LBB112_1:                              ;   in Loop: Header=BB112_2 Depth=1
	s_or_b32 exec_lo, exec_lo, s9
	s_wait_dscnt 0x0
	v_and_b32_e32 v53, 0xff, v57
	v_and_b32_e32 v60, 0xff, v59
	v_cmp_le_i32_e64 s9, 0x200, v58
	v_cmp_gt_i32_e64 s11, 0x400, v56
	s_add_co_i32 s12, s12, 1
	v_cmp_lt_u16_e64 s10, v60, v53
	v_cndmask_b32_e64 v53, v54, v55, s8
	s_or_b32 s9, s9, s10
	s_wait_alu 0xfffe
	s_and_b32 s8, s11, s9
	s_cmp_eq_u32 s12, 10
	s_wait_alu 0xfffe
	v_cndmask_b32_e64 v54, v57, v59, s8
	s_cbranch_scc1 .LBB112_74
.LBB112_2:                              ; =>This Loop Header: Depth=1
                                        ;     Child Loop BB112_4 Depth 2
                                        ;     Child Loop BB112_12 Depth 2
	;; [unrolled: 1-line block ×9, first 2 shown]
	s_wait_loadcnt 0x0
	v_and_b32_e32 v55, 0xff, v53
	s_delay_alu instid0(VALU_DEP_2) | instskip(SKIP_3) | instid1(VALU_DEP_3)
	v_and_b32_e32 v56, 0xff, v54
	v_perm_b32 v57, v54, v53, 0xc0c0004
	v_perm_b32 v53, v53, v54, 0xc0c0004
	s_barrier_signal -1
	v_cmp_lt_u16_e64 s8, v56, v55
	s_barrier_wait -1
	global_inv scope:SCOPE_SE
	s_wait_alu 0xf1ff
	v_cndmask_b32_e64 v54, v53, v57, s8
	v_mov_b32_e32 v53, v8
	s_delay_alu instid0(VALU_DEP_2)
	v_lshrrev_b16 v55, 8, v54
	ds_store_b8 v1, v54
	ds_store_b8 v1, v55 offset:1
	s_wait_loadcnt_dscnt 0x0
	s_barrier_signal -1
	s_barrier_wait -1
	global_inv scope:SCOPE_SE
	s_and_saveexec_b32 s9, vcc_lo
	s_cbranch_execz .LBB112_6
; %bb.3:                                ;   in Loop: Header=BB112_2 Depth=1
	v_dual_mov_b32 v53, v8 :: v_dual_mov_b32 v54, v10
	s_mov_b32 s10, 0
.LBB112_4:                              ;   Parent Loop BB112_2 Depth=1
                                        ; =>  This Inner Loop Header: Depth=2
	s_delay_alu instid0(VALU_DEP_1) | instskip(NEXT) | instid1(VALU_DEP_1)
	v_sub_nc_u32_e32 v55, v54, v53
	v_lshrrev_b32_e32 v55, 1, v55
	s_delay_alu instid0(VALU_DEP_1) | instskip(NEXT) | instid1(VALU_DEP_1)
	v_add_nc_u32_e32 v55, v55, v53
	v_add_nc_u32_e32 v56, v2, v55
	v_xad_u32 v57, v55, -1, v15
	v_add_nc_u32_e32 v58, 1, v55
	ds_load_u8 v56, v56
	ds_load_u8 v57, v57
	s_wait_dscnt 0x0
	v_cmp_lt_u16_e64 s8, v57, v56
	s_wait_alu 0xf1ff
	s_delay_alu instid0(VALU_DEP_1) | instskip(SKIP_1) | instid1(VALU_DEP_1)
	v_cndmask_b32_e64 v54, v54, v55, s8
	v_cndmask_b32_e64 v53, v58, v53, s8
	v_cmp_ge_i32_e64 s8, v53, v54
	s_or_b32 s10, s8, s10
	s_delay_alu instid0(SALU_CYCLE_1)
	s_and_not1_b32 exec_lo, exec_lo, s10
	s_cbranch_execnz .LBB112_4
; %bb.5:                                ;   in Loop: Header=BB112_2 Depth=1
	s_or_b32 exec_lo, exec_lo, s10
.LBB112_6:                              ;   in Loop: Header=BB112_2 Depth=1
	s_wait_alu 0xfffe
	s_or_b32 exec_lo, exec_lo, s9
	v_add_nc_u32_e32 v55, v53, v2
	v_sub_nc_u32_e32 v56, v15, v53
	ds_load_u8 v53, v55
	ds_load_u8 v54, v56
	v_cmp_le_i32_e64 s8, v3, v55
	v_cmp_gt_i32_e64 s10, v4, v56
	s_wait_dscnt 0x1
	v_and_b32_e32 v57, 0xff, v53
	s_wait_dscnt 0x0
	v_and_b32_e32 v58, 0xff, v54
	s_delay_alu instid0(VALU_DEP_1)
	v_cmp_lt_u16_e64 s9, v58, v57
                                        ; implicit-def: $vgpr57
	s_or_b32 s8, s8, s9
	s_wait_alu 0xfffe
	s_and_b32 s8, s10, s8
	s_wait_alu 0xfffe
	s_xor_b32 s9, s8, -1
	s_wait_alu 0xfffe
	s_and_saveexec_b32 s10, s9
	s_delay_alu instid0(SALU_CYCLE_1)
	s_xor_b32 s9, exec_lo, s10
; %bb.7:                                ;   in Loop: Header=BB112_2 Depth=1
	ds_load_u8 v57, v55 offset:1
; %bb.8:                                ;   in Loop: Header=BB112_2 Depth=1
	s_wait_alu 0xfffe
	s_or_saveexec_b32 s9, s9
	v_mov_b32_e32 v58, v54
	s_wait_alu 0xfffe
	s_xor_b32 exec_lo, exec_lo, s9
	s_cbranch_execz .LBB112_10
; %bb.9:                                ;   in Loop: Header=BB112_2 Depth=1
	ds_load_u8 v58, v56 offset:1
	s_wait_dscnt 0x1
	v_mov_b32_e32 v57, v53
.LBB112_10:                             ;   in Loop: Header=BB112_2 Depth=1
	s_or_b32 exec_lo, exec_lo, s9
	v_add_nc_u32_e32 v59, 1, v55
	v_add_nc_u32_e32 v60, 1, v56
	s_wait_dscnt 0x0
	v_and_b32_e32 v61, 0xff, v57
	v_and_b32_e32 v62, 0xff, v58
	v_cndmask_b32_e64 v54, v53, v54, s8
	v_cndmask_b32_e64 v55, v59, v55, s8
	v_mov_b32_e32 v53, v13
	v_cndmask_b32_e64 v56, v56, v60, s8
	v_cmp_lt_u16_e64 s9, v62, v61
	s_wait_loadcnt 0x0
	v_cmp_ge_i32_e64 s10, v55, v3
	s_barrier_signal -1
	v_cmp_lt_i32_e64 s11, v56, v4
	s_barrier_wait -1
	global_inv scope:SCOPE_SE
	s_or_b32 s8, s10, s9
	s_wait_alu 0xfffe
	s_and_b32 s8, s11, s8
	s_wait_alu 0xfffe
	v_cndmask_b32_e64 v55, v57, v58, s8
	ds_store_b8 v1, v54
	ds_store_b8 v1, v55 offset:1
	s_wait_loadcnt_dscnt 0x0
	s_barrier_signal -1
	s_barrier_wait -1
	global_inv scope:SCOPE_SE
	s_and_saveexec_b32 s9, s0
	s_cbranch_execz .LBB112_14
; %bb.11:                               ;   in Loop: Header=BB112_2 Depth=1
	v_dual_mov_b32 v53, v13 :: v_dual_mov_b32 v54, v14
	s_mov_b32 s10, 0
.LBB112_12:                             ;   Parent Loop BB112_2 Depth=1
                                        ; =>  This Inner Loop Header: Depth=2
	s_delay_alu instid0(VALU_DEP_1) | instskip(NEXT) | instid1(VALU_DEP_1)
	v_sub_nc_u32_e32 v55, v54, v53
	v_lshrrev_b32_e32 v55, 1, v55
	s_delay_alu instid0(VALU_DEP_1) | instskip(NEXT) | instid1(VALU_DEP_1)
	v_add_nc_u32_e32 v55, v55, v53
	v_add_nc_u32_e32 v56, v5, v55
	v_xad_u32 v57, v55, -1, v22
	v_add_nc_u32_e32 v58, 1, v55
	ds_load_u8 v56, v56
	ds_load_u8 v57, v57
	s_wait_dscnt 0x0
	v_cmp_lt_u16_e64 s8, v57, v56
	s_wait_alu 0xf1ff
	s_delay_alu instid0(VALU_DEP_1) | instskip(SKIP_1) | instid1(VALU_DEP_1)
	v_cndmask_b32_e64 v54, v54, v55, s8
	v_cndmask_b32_e64 v53, v58, v53, s8
	v_cmp_ge_i32_e64 s8, v53, v54
	s_or_b32 s10, s8, s10
	s_delay_alu instid0(SALU_CYCLE_1)
	s_and_not1_b32 exec_lo, exec_lo, s10
	s_cbranch_execnz .LBB112_12
; %bb.13:                               ;   in Loop: Header=BB112_2 Depth=1
	s_or_b32 exec_lo, exec_lo, s10
.LBB112_14:                             ;   in Loop: Header=BB112_2 Depth=1
	s_wait_alu 0xfffe
	s_or_b32 exec_lo, exec_lo, s9
	v_add_nc_u32_e32 v55, v53, v5
	v_sub_nc_u32_e32 v56, v22, v53
	ds_load_u8 v53, v55
	ds_load_u8 v54, v56
	v_cmp_le_i32_e64 s8, v6, v55
	v_cmp_gt_i32_e64 s10, v7, v56
	s_wait_dscnt 0x1
	v_and_b32_e32 v57, 0xff, v53
	s_wait_dscnt 0x0
	v_and_b32_e32 v58, 0xff, v54
	s_delay_alu instid0(VALU_DEP_1)
	v_cmp_lt_u16_e64 s9, v58, v57
                                        ; implicit-def: $vgpr57
	s_or_b32 s8, s8, s9
	s_wait_alu 0xfffe
	s_and_b32 s8, s10, s8
	s_wait_alu 0xfffe
	s_xor_b32 s9, s8, -1
	s_wait_alu 0xfffe
	s_and_saveexec_b32 s10, s9
	s_delay_alu instid0(SALU_CYCLE_1)
	s_xor_b32 s9, exec_lo, s10
; %bb.15:                               ;   in Loop: Header=BB112_2 Depth=1
	ds_load_u8 v57, v55 offset:1
; %bb.16:                               ;   in Loop: Header=BB112_2 Depth=1
	s_wait_alu 0xfffe
	s_or_saveexec_b32 s9, s9
	v_mov_b32_e32 v58, v54
	s_wait_alu 0xfffe
	s_xor_b32 exec_lo, exec_lo, s9
	s_cbranch_execz .LBB112_18
; %bb.17:                               ;   in Loop: Header=BB112_2 Depth=1
	ds_load_u8 v58, v56 offset:1
	s_wait_dscnt 0x1
	v_mov_b32_e32 v57, v53
.LBB112_18:                             ;   in Loop: Header=BB112_2 Depth=1
	s_or_b32 exec_lo, exec_lo, s9
	v_add_nc_u32_e32 v59, 1, v55
	v_add_nc_u32_e32 v60, 1, v56
	s_wait_dscnt 0x0
	v_and_b32_e32 v61, 0xff, v57
	v_and_b32_e32 v62, 0xff, v58
	v_cndmask_b32_e64 v54, v53, v54, s8
	v_cndmask_b32_e64 v55, v59, v55, s8
	v_mov_b32_e32 v53, v17
	v_cndmask_b32_e64 v56, v56, v60, s8
	v_cmp_lt_u16_e64 s9, v62, v61
	s_wait_loadcnt 0x0
	v_cmp_ge_i32_e64 s10, v55, v6
	s_barrier_signal -1
	v_cmp_lt_i32_e64 s11, v56, v7
	s_barrier_wait -1
	global_inv scope:SCOPE_SE
	s_or_b32 s8, s10, s9
	s_wait_alu 0xfffe
	s_and_b32 s8, s11, s8
	s_wait_alu 0xfffe
	v_cndmask_b32_e64 v55, v57, v58, s8
	ds_store_b8 v1, v54
	ds_store_b8 v1, v55 offset:1
	s_wait_loadcnt_dscnt 0x0
	s_barrier_signal -1
	s_barrier_wait -1
	global_inv scope:SCOPE_SE
	s_and_saveexec_b32 s9, s1
	s_cbranch_execz .LBB112_22
; %bb.19:                               ;   in Loop: Header=BB112_2 Depth=1
	v_dual_mov_b32 v53, v17 :: v_dual_mov_b32 v54, v18
	s_mov_b32 s10, 0
.LBB112_20:                             ;   Parent Loop BB112_2 Depth=1
                                        ; =>  This Inner Loop Header: Depth=2
	s_delay_alu instid0(VALU_DEP_1) | instskip(NEXT) | instid1(VALU_DEP_1)
	v_sub_nc_u32_e32 v55, v54, v53
	v_lshrrev_b32_e32 v55, 1, v55
	s_delay_alu instid0(VALU_DEP_1) | instskip(NEXT) | instid1(VALU_DEP_1)
	v_add_nc_u32_e32 v55, v55, v53
	v_add_nc_u32_e32 v56, v9, v55
	v_xad_u32 v57, v55, -1, v25
	v_add_nc_u32_e32 v58, 1, v55
	ds_load_u8 v56, v56
	ds_load_u8 v57, v57
	s_wait_dscnt 0x0
	v_cmp_lt_u16_e64 s8, v57, v56
	s_wait_alu 0xf1ff
	s_delay_alu instid0(VALU_DEP_1) | instskip(SKIP_1) | instid1(VALU_DEP_1)
	v_cndmask_b32_e64 v54, v54, v55, s8
	v_cndmask_b32_e64 v53, v58, v53, s8
	v_cmp_ge_i32_e64 s8, v53, v54
	s_or_b32 s10, s8, s10
	s_delay_alu instid0(SALU_CYCLE_1)
	s_and_not1_b32 exec_lo, exec_lo, s10
	s_cbranch_execnz .LBB112_20
; %bb.21:                               ;   in Loop: Header=BB112_2 Depth=1
	s_or_b32 exec_lo, exec_lo, s10
.LBB112_22:                             ;   in Loop: Header=BB112_2 Depth=1
	s_wait_alu 0xfffe
	s_or_b32 exec_lo, exec_lo, s9
	v_add_nc_u32_e32 v55, v53, v9
	v_sub_nc_u32_e32 v56, v25, v53
	ds_load_u8 v53, v55
	ds_load_u8 v54, v56
	v_cmp_le_i32_e64 s8, v11, v55
	v_cmp_gt_i32_e64 s10, v12, v56
	s_wait_dscnt 0x1
	v_and_b32_e32 v57, 0xff, v53
	s_wait_dscnt 0x0
	v_and_b32_e32 v58, 0xff, v54
	s_delay_alu instid0(VALU_DEP_1)
	v_cmp_lt_u16_e64 s9, v58, v57
                                        ; implicit-def: $vgpr57
	s_or_b32 s8, s8, s9
	s_wait_alu 0xfffe
	s_and_b32 s8, s10, s8
	s_wait_alu 0xfffe
	s_xor_b32 s9, s8, -1
	s_wait_alu 0xfffe
	s_and_saveexec_b32 s10, s9
	s_delay_alu instid0(SALU_CYCLE_1)
	s_xor_b32 s9, exec_lo, s10
; %bb.23:                               ;   in Loop: Header=BB112_2 Depth=1
	ds_load_u8 v57, v55 offset:1
; %bb.24:                               ;   in Loop: Header=BB112_2 Depth=1
	s_wait_alu 0xfffe
	s_or_saveexec_b32 s9, s9
	v_mov_b32_e32 v58, v54
	s_wait_alu 0xfffe
	s_xor_b32 exec_lo, exec_lo, s9
	s_cbranch_execz .LBB112_26
; %bb.25:                               ;   in Loop: Header=BB112_2 Depth=1
	ds_load_u8 v58, v56 offset:1
	s_wait_dscnt 0x1
	v_mov_b32_e32 v57, v53
.LBB112_26:                             ;   in Loop: Header=BB112_2 Depth=1
	s_or_b32 exec_lo, exec_lo, s9
	v_add_nc_u32_e32 v59, 1, v55
	v_add_nc_u32_e32 v60, 1, v56
	s_wait_dscnt 0x0
	v_and_b32_e32 v61, 0xff, v57
	v_and_b32_e32 v62, 0xff, v58
	v_cndmask_b32_e64 v54, v53, v54, s8
	v_cndmask_b32_e64 v55, v59, v55, s8
	v_mov_b32_e32 v53, v27
	v_cndmask_b32_e64 v56, v56, v60, s8
	v_cmp_lt_u16_e64 s9, v62, v61
	s_wait_loadcnt 0x0
	v_cmp_ge_i32_e64 s10, v55, v11
	s_barrier_signal -1
	v_cmp_lt_i32_e64 s11, v56, v12
	s_barrier_wait -1
	global_inv scope:SCOPE_SE
	s_or_b32 s8, s10, s9
	s_wait_alu 0xfffe
	s_and_b32 s8, s11, s8
	s_wait_alu 0xfffe
	v_cndmask_b32_e64 v55, v57, v58, s8
	ds_store_b8 v1, v54
	ds_store_b8 v1, v55 offset:1
	s_wait_loadcnt_dscnt 0x0
	s_barrier_signal -1
	s_barrier_wait -1
	global_inv scope:SCOPE_SE
	s_and_saveexec_b32 s9, s2
	s_cbranch_execz .LBB112_30
; %bb.27:                               ;   in Loop: Header=BB112_2 Depth=1
	v_dual_mov_b32 v53, v27 :: v_dual_mov_b32 v54, v28
	s_mov_b32 s10, 0
.LBB112_28:                             ;   Parent Loop BB112_2 Depth=1
                                        ; =>  This Inner Loop Header: Depth=2
	s_delay_alu instid0(VALU_DEP_1) | instskip(NEXT) | instid1(VALU_DEP_1)
	v_sub_nc_u32_e32 v55, v54, v53
	v_lshrrev_b32_e32 v55, 1, v55
	s_delay_alu instid0(VALU_DEP_1) | instskip(NEXT) | instid1(VALU_DEP_1)
	v_add_nc_u32_e32 v55, v55, v53
	v_add_nc_u32_e32 v56, v16, v55
	v_xad_u32 v57, v55, -1, v33
	v_add_nc_u32_e32 v58, 1, v55
	ds_load_u8 v56, v56
	ds_load_u8 v57, v57
	s_wait_dscnt 0x0
	v_cmp_lt_u16_e64 s8, v57, v56
	s_wait_alu 0xf1ff
	s_delay_alu instid0(VALU_DEP_1) | instskip(SKIP_1) | instid1(VALU_DEP_1)
	v_cndmask_b32_e64 v54, v54, v55, s8
	v_cndmask_b32_e64 v53, v58, v53, s8
	v_cmp_ge_i32_e64 s8, v53, v54
	s_or_b32 s10, s8, s10
	s_delay_alu instid0(SALU_CYCLE_1)
	s_and_not1_b32 exec_lo, exec_lo, s10
	s_cbranch_execnz .LBB112_28
; %bb.29:                               ;   in Loop: Header=BB112_2 Depth=1
	s_or_b32 exec_lo, exec_lo, s10
.LBB112_30:                             ;   in Loop: Header=BB112_2 Depth=1
	s_wait_alu 0xfffe
	s_or_b32 exec_lo, exec_lo, s9
	v_add_nc_u32_e32 v55, v53, v16
	v_sub_nc_u32_e32 v56, v33, v53
	ds_load_u8 v53, v55
	ds_load_u8 v54, v56
	v_cmp_le_i32_e64 s8, v19, v55
	v_cmp_gt_i32_e64 s10, v20, v56
	s_wait_dscnt 0x1
	v_and_b32_e32 v57, 0xff, v53
	s_wait_dscnt 0x0
	v_and_b32_e32 v58, 0xff, v54
	s_delay_alu instid0(VALU_DEP_1)
	v_cmp_lt_u16_e64 s9, v58, v57
                                        ; implicit-def: $vgpr57
	s_or_b32 s8, s8, s9
	s_wait_alu 0xfffe
	s_and_b32 s8, s10, s8
	s_wait_alu 0xfffe
	s_xor_b32 s9, s8, -1
	s_wait_alu 0xfffe
	s_and_saveexec_b32 s10, s9
	s_delay_alu instid0(SALU_CYCLE_1)
	s_xor_b32 s9, exec_lo, s10
; %bb.31:                               ;   in Loop: Header=BB112_2 Depth=1
	ds_load_u8 v57, v55 offset:1
; %bb.32:                               ;   in Loop: Header=BB112_2 Depth=1
	s_wait_alu 0xfffe
	s_or_saveexec_b32 s9, s9
	v_mov_b32_e32 v58, v54
	s_wait_alu 0xfffe
	s_xor_b32 exec_lo, exec_lo, s9
	s_cbranch_execz .LBB112_34
; %bb.33:                               ;   in Loop: Header=BB112_2 Depth=1
	ds_load_u8 v58, v56 offset:1
	s_wait_dscnt 0x1
	v_mov_b32_e32 v57, v53
.LBB112_34:                             ;   in Loop: Header=BB112_2 Depth=1
	s_or_b32 exec_lo, exec_lo, s9
	v_add_nc_u32_e32 v59, 1, v55
	v_add_nc_u32_e32 v60, 1, v56
	s_wait_dscnt 0x0
	v_and_b32_e32 v61, 0xff, v57
	v_and_b32_e32 v62, 0xff, v58
	v_cndmask_b32_e64 v54, v53, v54, s8
	v_cndmask_b32_e64 v55, v59, v55, s8
	v_mov_b32_e32 v53, v31
	v_cndmask_b32_e64 v56, v56, v60, s8
	v_cmp_lt_u16_e64 s9, v62, v61
	s_wait_loadcnt 0x0
	v_cmp_ge_i32_e64 s10, v55, v19
	s_barrier_signal -1
	v_cmp_lt_i32_e64 s11, v56, v20
	s_barrier_wait -1
	global_inv scope:SCOPE_SE
	s_or_b32 s8, s10, s9
	s_wait_alu 0xfffe
	s_and_b32 s8, s11, s8
	s_wait_alu 0xfffe
	v_cndmask_b32_e64 v55, v57, v58, s8
	ds_store_b8 v1, v54
	ds_store_b8 v1, v55 offset:1
	s_wait_loadcnt_dscnt 0x0
	s_barrier_signal -1
	s_barrier_wait -1
	global_inv scope:SCOPE_SE
	s_and_saveexec_b32 s9, s3
	s_cbranch_execz .LBB112_38
; %bb.35:                               ;   in Loop: Header=BB112_2 Depth=1
	v_dual_mov_b32 v53, v31 :: v_dual_mov_b32 v54, v32
	s_mov_b32 s10, 0
.LBB112_36:                             ;   Parent Loop BB112_2 Depth=1
                                        ; =>  This Inner Loop Header: Depth=2
	s_delay_alu instid0(VALU_DEP_1) | instskip(NEXT) | instid1(VALU_DEP_1)
	v_sub_nc_u32_e32 v55, v54, v53
	v_lshrrev_b32_e32 v55, 1, v55
	s_delay_alu instid0(VALU_DEP_1) | instskip(NEXT) | instid1(VALU_DEP_1)
	v_add_nc_u32_e32 v55, v55, v53
	v_add_nc_u32_e32 v56, v21, v55
	v_xad_u32 v57, v55, -1, v34
	v_add_nc_u32_e32 v58, 1, v55
	ds_load_u8 v56, v56
	ds_load_u8 v57, v57
	s_wait_dscnt 0x0
	v_cmp_lt_u16_e64 s8, v57, v56
	s_wait_alu 0xf1ff
	s_delay_alu instid0(VALU_DEP_1) | instskip(SKIP_1) | instid1(VALU_DEP_1)
	v_cndmask_b32_e64 v54, v54, v55, s8
	v_cndmask_b32_e64 v53, v58, v53, s8
	v_cmp_ge_i32_e64 s8, v53, v54
	s_or_b32 s10, s8, s10
	s_delay_alu instid0(SALU_CYCLE_1)
	s_and_not1_b32 exec_lo, exec_lo, s10
	s_cbranch_execnz .LBB112_36
; %bb.37:                               ;   in Loop: Header=BB112_2 Depth=1
	s_or_b32 exec_lo, exec_lo, s10
.LBB112_38:                             ;   in Loop: Header=BB112_2 Depth=1
	s_wait_alu 0xfffe
	s_or_b32 exec_lo, exec_lo, s9
	v_add_nc_u32_e32 v55, v53, v21
	v_sub_nc_u32_e32 v56, v34, v53
	ds_load_u8 v53, v55
	ds_load_u8 v54, v56
	v_cmp_le_i32_e64 s8, v23, v55
	v_cmp_gt_i32_e64 s10, v24, v56
	s_wait_dscnt 0x1
	v_and_b32_e32 v57, 0xff, v53
	s_wait_dscnt 0x0
	v_and_b32_e32 v58, 0xff, v54
	s_delay_alu instid0(VALU_DEP_1)
	v_cmp_lt_u16_e64 s9, v58, v57
                                        ; implicit-def: $vgpr57
	s_or_b32 s8, s8, s9
	s_wait_alu 0xfffe
	s_and_b32 s8, s10, s8
	s_wait_alu 0xfffe
	s_xor_b32 s9, s8, -1
	s_wait_alu 0xfffe
	s_and_saveexec_b32 s10, s9
	s_delay_alu instid0(SALU_CYCLE_1)
	s_xor_b32 s9, exec_lo, s10
; %bb.39:                               ;   in Loop: Header=BB112_2 Depth=1
	ds_load_u8 v57, v55 offset:1
; %bb.40:                               ;   in Loop: Header=BB112_2 Depth=1
	s_wait_alu 0xfffe
	s_or_saveexec_b32 s9, s9
	v_mov_b32_e32 v58, v54
	s_wait_alu 0xfffe
	s_xor_b32 exec_lo, exec_lo, s9
	s_cbranch_execz .LBB112_42
; %bb.41:                               ;   in Loop: Header=BB112_2 Depth=1
	ds_load_u8 v58, v56 offset:1
	s_wait_dscnt 0x1
	v_mov_b32_e32 v57, v53
.LBB112_42:                             ;   in Loop: Header=BB112_2 Depth=1
	s_or_b32 exec_lo, exec_lo, s9
	v_add_nc_u32_e32 v59, 1, v55
	v_add_nc_u32_e32 v60, 1, v56
	s_wait_dscnt 0x0
	v_and_b32_e32 v61, 0xff, v57
	v_and_b32_e32 v62, 0xff, v58
	v_cndmask_b32_e64 v54, v53, v54, s8
	v_cndmask_b32_e64 v55, v59, v55, s8
	v_mov_b32_e32 v53, v37
	v_cndmask_b32_e64 v56, v56, v60, s8
	v_cmp_lt_u16_e64 s9, v62, v61
	s_wait_loadcnt 0x0
	v_cmp_ge_i32_e64 s10, v55, v23
	s_barrier_signal -1
	v_cmp_lt_i32_e64 s11, v56, v24
	s_barrier_wait -1
	global_inv scope:SCOPE_SE
	s_or_b32 s8, s10, s9
	s_wait_alu 0xfffe
	s_and_b32 s8, s11, s8
	s_wait_alu 0xfffe
	v_cndmask_b32_e64 v55, v57, v58, s8
	ds_store_b8 v1, v54
	ds_store_b8 v1, v55 offset:1
	s_wait_loadcnt_dscnt 0x0
	s_barrier_signal -1
	s_barrier_wait -1
	global_inv scope:SCOPE_SE
	s_and_saveexec_b32 s9, s4
	s_cbranch_execz .LBB112_46
; %bb.43:                               ;   in Loop: Header=BB112_2 Depth=1
	v_dual_mov_b32 v53, v37 :: v_dual_mov_b32 v54, v40
	s_mov_b32 s10, 0
.LBB112_44:                             ;   Parent Loop BB112_2 Depth=1
                                        ; =>  This Inner Loop Header: Depth=2
	s_delay_alu instid0(VALU_DEP_1) | instskip(NEXT) | instid1(VALU_DEP_1)
	v_sub_nc_u32_e32 v55, v54, v53
	v_lshrrev_b32_e32 v55, 1, v55
	s_delay_alu instid0(VALU_DEP_1) | instskip(NEXT) | instid1(VALU_DEP_1)
	v_add_nc_u32_e32 v55, v55, v53
	v_add_nc_u32_e32 v56, v26, v55
	v_xad_u32 v57, v55, -1, v43
	v_add_nc_u32_e32 v58, 1, v55
	ds_load_u8 v56, v56
	ds_load_u8 v57, v57
	s_wait_dscnt 0x0
	v_cmp_lt_u16_e64 s8, v57, v56
	s_wait_alu 0xf1ff
	s_delay_alu instid0(VALU_DEP_1) | instskip(SKIP_1) | instid1(VALU_DEP_1)
	v_cndmask_b32_e64 v54, v54, v55, s8
	v_cndmask_b32_e64 v53, v58, v53, s8
	v_cmp_ge_i32_e64 s8, v53, v54
	s_or_b32 s10, s8, s10
	s_delay_alu instid0(SALU_CYCLE_1)
	s_and_not1_b32 exec_lo, exec_lo, s10
	s_cbranch_execnz .LBB112_44
; %bb.45:                               ;   in Loop: Header=BB112_2 Depth=1
	s_or_b32 exec_lo, exec_lo, s10
.LBB112_46:                             ;   in Loop: Header=BB112_2 Depth=1
	s_wait_alu 0xfffe
	s_or_b32 exec_lo, exec_lo, s9
	v_add_nc_u32_e32 v55, v53, v26
	v_sub_nc_u32_e32 v56, v43, v53
	ds_load_u8 v53, v55
	ds_load_u8 v54, v56
	v_cmp_le_i32_e64 s8, v29, v55
	v_cmp_gt_i32_e64 s10, v30, v56
	s_wait_dscnt 0x1
	v_and_b32_e32 v57, 0xff, v53
	s_wait_dscnt 0x0
	v_and_b32_e32 v58, 0xff, v54
	s_delay_alu instid0(VALU_DEP_1)
	v_cmp_lt_u16_e64 s9, v58, v57
                                        ; implicit-def: $vgpr57
	s_or_b32 s8, s8, s9
	s_wait_alu 0xfffe
	s_and_b32 s8, s10, s8
	s_wait_alu 0xfffe
	s_xor_b32 s9, s8, -1
	s_wait_alu 0xfffe
	s_and_saveexec_b32 s10, s9
	s_delay_alu instid0(SALU_CYCLE_1)
	s_xor_b32 s9, exec_lo, s10
; %bb.47:                               ;   in Loop: Header=BB112_2 Depth=1
	ds_load_u8 v57, v55 offset:1
; %bb.48:                               ;   in Loop: Header=BB112_2 Depth=1
	s_wait_alu 0xfffe
	s_or_saveexec_b32 s9, s9
	v_mov_b32_e32 v58, v54
	s_wait_alu 0xfffe
	s_xor_b32 exec_lo, exec_lo, s9
	s_cbranch_execz .LBB112_50
; %bb.49:                               ;   in Loop: Header=BB112_2 Depth=1
	ds_load_u8 v58, v56 offset:1
	s_wait_dscnt 0x1
	v_mov_b32_e32 v57, v53
.LBB112_50:                             ;   in Loop: Header=BB112_2 Depth=1
	s_or_b32 exec_lo, exec_lo, s9
	v_add_nc_u32_e32 v59, 1, v55
	v_add_nc_u32_e32 v60, 1, v56
	s_wait_dscnt 0x0
	v_and_b32_e32 v61, 0xff, v57
	v_and_b32_e32 v62, 0xff, v58
	v_cndmask_b32_e64 v54, v53, v54, s8
	v_cndmask_b32_e64 v55, v59, v55, s8
	v_mov_b32_e32 v53, v44
	v_cndmask_b32_e64 v56, v56, v60, s8
	v_cmp_lt_u16_e64 s9, v62, v61
	s_wait_loadcnt 0x0
	v_cmp_ge_i32_e64 s10, v55, v29
	s_barrier_signal -1
	v_cmp_lt_i32_e64 s11, v56, v30
	s_barrier_wait -1
	global_inv scope:SCOPE_SE
	s_or_b32 s8, s10, s9
	s_wait_alu 0xfffe
	s_and_b32 s8, s11, s8
	s_wait_alu 0xfffe
	v_cndmask_b32_e64 v55, v57, v58, s8
	ds_store_b8 v1, v54
	ds_store_b8 v1, v55 offset:1
	s_wait_loadcnt_dscnt 0x0
	s_barrier_signal -1
	s_barrier_wait -1
	global_inv scope:SCOPE_SE
	s_and_saveexec_b32 s9, s5
	s_cbranch_execz .LBB112_54
; %bb.51:                               ;   in Loop: Header=BB112_2 Depth=1
	v_dual_mov_b32 v53, v44 :: v_dual_mov_b32 v54, v45
	s_mov_b32 s10, 0
.LBB112_52:                             ;   Parent Loop BB112_2 Depth=1
                                        ; =>  This Inner Loop Header: Depth=2
	s_delay_alu instid0(VALU_DEP_1) | instskip(NEXT) | instid1(VALU_DEP_1)
	v_sub_nc_u32_e32 v55, v54, v53
	v_lshrrev_b32_e32 v55, 1, v55
	s_delay_alu instid0(VALU_DEP_1) | instskip(NEXT) | instid1(VALU_DEP_1)
	v_add_nc_u32_e32 v55, v55, v53
	v_add_nc_u32_e32 v56, v35, v55
	v_xad_u32 v57, v55, -1, v50
	v_add_nc_u32_e32 v58, 1, v55
	ds_load_u8 v56, v56
	ds_load_u8 v57, v57
	s_wait_dscnt 0x0
	v_cmp_lt_u16_e64 s8, v57, v56
	s_wait_alu 0xf1ff
	s_delay_alu instid0(VALU_DEP_1) | instskip(SKIP_1) | instid1(VALU_DEP_1)
	v_cndmask_b32_e64 v54, v54, v55, s8
	v_cndmask_b32_e64 v53, v58, v53, s8
	v_cmp_ge_i32_e64 s8, v53, v54
	s_or_b32 s10, s8, s10
	s_delay_alu instid0(SALU_CYCLE_1)
	s_and_not1_b32 exec_lo, exec_lo, s10
	s_cbranch_execnz .LBB112_52
; %bb.53:                               ;   in Loop: Header=BB112_2 Depth=1
	s_or_b32 exec_lo, exec_lo, s10
.LBB112_54:                             ;   in Loop: Header=BB112_2 Depth=1
	s_wait_alu 0xfffe
	s_or_b32 exec_lo, exec_lo, s9
	v_add_nc_u32_e32 v55, v53, v35
	v_sub_nc_u32_e32 v56, v50, v53
	ds_load_u8 v53, v55
	ds_load_u8 v54, v56
	v_cmp_le_i32_e64 s8, v38, v55
	v_cmp_gt_i32_e64 s10, v39, v56
	s_wait_dscnt 0x1
	v_and_b32_e32 v57, 0xff, v53
	s_wait_dscnt 0x0
	v_and_b32_e32 v58, 0xff, v54
	s_delay_alu instid0(VALU_DEP_1)
	v_cmp_lt_u16_e64 s9, v58, v57
                                        ; implicit-def: $vgpr57
	s_or_b32 s8, s8, s9
	s_wait_alu 0xfffe
	s_and_b32 s8, s10, s8
	s_wait_alu 0xfffe
	s_xor_b32 s9, s8, -1
	s_wait_alu 0xfffe
	s_and_saveexec_b32 s10, s9
	s_delay_alu instid0(SALU_CYCLE_1)
	s_xor_b32 s9, exec_lo, s10
; %bb.55:                               ;   in Loop: Header=BB112_2 Depth=1
	ds_load_u8 v57, v55 offset:1
; %bb.56:                               ;   in Loop: Header=BB112_2 Depth=1
	s_wait_alu 0xfffe
	s_or_saveexec_b32 s9, s9
	v_mov_b32_e32 v58, v54
	s_wait_alu 0xfffe
	s_xor_b32 exec_lo, exec_lo, s9
	s_cbranch_execz .LBB112_58
; %bb.57:                               ;   in Loop: Header=BB112_2 Depth=1
	ds_load_u8 v58, v56 offset:1
	s_wait_dscnt 0x1
	v_mov_b32_e32 v57, v53
.LBB112_58:                             ;   in Loop: Header=BB112_2 Depth=1
	s_or_b32 exec_lo, exec_lo, s9
	v_add_nc_u32_e32 v59, 1, v55
	v_add_nc_u32_e32 v60, 1, v56
	s_wait_dscnt 0x0
	v_and_b32_e32 v61, 0xff, v57
	v_and_b32_e32 v62, 0xff, v58
	v_cndmask_b32_e64 v54, v53, v54, s8
	v_cndmask_b32_e64 v55, v59, v55, s8
	v_mov_b32_e32 v53, v46
	v_cndmask_b32_e64 v56, v56, v60, s8
	v_cmp_lt_u16_e64 s9, v62, v61
	s_wait_loadcnt 0x0
	v_cmp_ge_i32_e64 s10, v55, v38
	s_barrier_signal -1
	v_cmp_lt_i32_e64 s11, v56, v39
	s_barrier_wait -1
	global_inv scope:SCOPE_SE
	s_or_b32 s8, s10, s9
	s_wait_alu 0xfffe
	s_and_b32 s8, s11, s8
	s_wait_alu 0xfffe
	v_cndmask_b32_e64 v55, v57, v58, s8
	ds_store_b8 v1, v54
	ds_store_b8 v1, v55 offset:1
	s_wait_loadcnt_dscnt 0x0
	s_barrier_signal -1
	s_barrier_wait -1
	global_inv scope:SCOPE_SE
	s_and_saveexec_b32 s9, s6
	s_cbranch_execz .LBB112_62
; %bb.59:                               ;   in Loop: Header=BB112_2 Depth=1
	v_dual_mov_b32 v53, v46 :: v_dual_mov_b32 v54, v47
	s_mov_b32 s10, 0
.LBB112_60:                             ;   Parent Loop BB112_2 Depth=1
                                        ; =>  This Inner Loop Header: Depth=2
	s_delay_alu instid0(VALU_DEP_1) | instskip(NEXT) | instid1(VALU_DEP_1)
	v_sub_nc_u32_e32 v55, v54, v53
	v_lshrrev_b32_e32 v55, 1, v55
	s_delay_alu instid0(VALU_DEP_1) | instskip(NEXT) | instid1(VALU_DEP_1)
	v_add_nc_u32_e32 v55, v55, v53
	v_add_nc_u32_e32 v56, v36, v55
	v_xad_u32 v57, v55, -1, v51
	v_add_nc_u32_e32 v58, 1, v55
	ds_load_u8 v56, v56
	ds_load_u8 v57, v57
	s_wait_dscnt 0x0
	v_cmp_lt_u16_e64 s8, v57, v56
	s_wait_alu 0xf1ff
	s_delay_alu instid0(VALU_DEP_1) | instskip(SKIP_1) | instid1(VALU_DEP_1)
	v_cndmask_b32_e64 v54, v54, v55, s8
	v_cndmask_b32_e64 v53, v58, v53, s8
	v_cmp_ge_i32_e64 s8, v53, v54
	s_or_b32 s10, s8, s10
	s_delay_alu instid0(SALU_CYCLE_1)
	s_and_not1_b32 exec_lo, exec_lo, s10
	s_cbranch_execnz .LBB112_60
; %bb.61:                               ;   in Loop: Header=BB112_2 Depth=1
	s_or_b32 exec_lo, exec_lo, s10
.LBB112_62:                             ;   in Loop: Header=BB112_2 Depth=1
	s_wait_alu 0xfffe
	s_or_b32 exec_lo, exec_lo, s9
	v_add_nc_u32_e32 v55, v53, v36
	v_sub_nc_u32_e32 v56, v51, v53
	ds_load_u8 v53, v55
	ds_load_u8 v54, v56
	v_cmp_le_i32_e64 s8, v41, v55
	v_cmp_gt_i32_e64 s10, v42, v56
	s_wait_dscnt 0x1
	v_and_b32_e32 v57, 0xff, v53
	s_wait_dscnt 0x0
	v_and_b32_e32 v58, 0xff, v54
	s_delay_alu instid0(VALU_DEP_1)
	v_cmp_lt_u16_e64 s9, v58, v57
                                        ; implicit-def: $vgpr57
	s_or_b32 s8, s8, s9
	s_wait_alu 0xfffe
	s_and_b32 s8, s10, s8
	s_wait_alu 0xfffe
	s_xor_b32 s9, s8, -1
	s_wait_alu 0xfffe
	s_and_saveexec_b32 s10, s9
	s_delay_alu instid0(SALU_CYCLE_1)
	s_xor_b32 s9, exec_lo, s10
; %bb.63:                               ;   in Loop: Header=BB112_2 Depth=1
	ds_load_u8 v57, v55 offset:1
; %bb.64:                               ;   in Loop: Header=BB112_2 Depth=1
	s_wait_alu 0xfffe
	s_or_saveexec_b32 s9, s9
	v_mov_b32_e32 v58, v54
	s_wait_alu 0xfffe
	s_xor_b32 exec_lo, exec_lo, s9
	s_cbranch_execz .LBB112_66
; %bb.65:                               ;   in Loop: Header=BB112_2 Depth=1
	ds_load_u8 v58, v56 offset:1
	s_wait_dscnt 0x1
	v_mov_b32_e32 v57, v53
.LBB112_66:                             ;   in Loop: Header=BB112_2 Depth=1
	s_or_b32 exec_lo, exec_lo, s9
	v_add_nc_u32_e32 v59, 1, v55
	v_add_nc_u32_e32 v60, 1, v56
	s_wait_dscnt 0x0
	v_and_b32_e32 v61, 0xff, v57
	v_and_b32_e32 v62, 0xff, v58
	v_cndmask_b32_e64 v54, v53, v54, s8
	v_cndmask_b32_e64 v55, v59, v55, s8
	v_mov_b32_e32 v53, v48
	v_cndmask_b32_e64 v56, v56, v60, s8
	v_cmp_lt_u16_e64 s9, v62, v61
	s_wait_loadcnt 0x0
	v_cmp_ge_i32_e64 s10, v55, v41
	s_barrier_signal -1
	v_cmp_lt_i32_e64 s11, v56, v42
	s_barrier_wait -1
	global_inv scope:SCOPE_SE
	s_or_b32 s8, s10, s9
	s_wait_alu 0xfffe
	s_and_b32 s8, s11, s8
	s_wait_alu 0xfffe
	v_cndmask_b32_e64 v55, v57, v58, s8
	ds_store_b8 v1, v54
	ds_store_b8 v1, v55 offset:1
	s_wait_loadcnt_dscnt 0x0
	s_barrier_signal -1
	s_barrier_wait -1
	global_inv scope:SCOPE_SE
	s_and_saveexec_b32 s9, s7
	s_cbranch_execz .LBB112_70
; %bb.67:                               ;   in Loop: Header=BB112_2 Depth=1
	v_dual_mov_b32 v53, v48 :: v_dual_mov_b32 v54, v49
	s_mov_b32 s10, 0
.LBB112_68:                             ;   Parent Loop BB112_2 Depth=1
                                        ; =>  This Inner Loop Header: Depth=2
	s_delay_alu instid0(VALU_DEP_1) | instskip(NEXT) | instid1(VALU_DEP_1)
	v_sub_nc_u32_e32 v55, v54, v53
	v_lshrrev_b32_e32 v55, 1, v55
	s_delay_alu instid0(VALU_DEP_1) | instskip(NEXT) | instid1(VALU_DEP_1)
	v_add_nc_u32_e32 v55, v55, v53
	v_xad_u32 v56, v55, -1, v52
	v_add_nc_u32_e32 v58, 1, v55
	ds_load_u8 v57, v55
	ds_load_u8 v56, v56
	s_wait_dscnt 0x0
	v_cmp_lt_u16_e64 s8, v56, v57
	s_wait_alu 0xf1ff
	s_delay_alu instid0(VALU_DEP_1) | instskip(SKIP_1) | instid1(VALU_DEP_1)
	v_cndmask_b32_e64 v54, v54, v55, s8
	v_cndmask_b32_e64 v53, v58, v53, s8
	v_cmp_ge_i32_e64 s8, v53, v54
	s_or_b32 s10, s8, s10
	s_delay_alu instid0(SALU_CYCLE_1)
	s_and_not1_b32 exec_lo, exec_lo, s10
	s_cbranch_execnz .LBB112_68
; %bb.69:                               ;   in Loop: Header=BB112_2 Depth=1
	s_or_b32 exec_lo, exec_lo, s10
.LBB112_70:                             ;   in Loop: Header=BB112_2 Depth=1
	s_wait_alu 0xfffe
	s_or_b32 exec_lo, exec_lo, s9
	v_sub_nc_u32_e32 v56, v52, v53
	v_cmp_le_i32_e64 s8, 0x200, v53
	ds_load_u8 v54, v53
	ds_load_u8 v55, v56
	v_cmp_gt_i32_e64 s10, 0x400, v56
	s_wait_dscnt 0x1
	v_and_b32_e32 v57, 0xff, v54
	s_wait_dscnt 0x0
	v_and_b32_e32 v58, 0xff, v55
	s_delay_alu instid0(VALU_DEP_1)
	v_cmp_lt_u16_e64 s9, v58, v57
                                        ; implicit-def: $vgpr57
                                        ; implicit-def: $vgpr58
	s_or_b32 s8, s8, s9
	s_wait_alu 0xfffe
	s_and_b32 s8, s10, s8
	s_wait_alu 0xfffe
	s_xor_b32 s9, s8, -1
	s_wait_alu 0xfffe
	s_and_saveexec_b32 s10, s9
	s_delay_alu instid0(SALU_CYCLE_1)
	s_xor_b32 s9, exec_lo, s10
; %bb.71:                               ;   in Loop: Header=BB112_2 Depth=1
	ds_load_u8 v57, v53 offset:1
	v_add_nc_u32_e32 v58, 1, v53
                                        ; implicit-def: $vgpr53
; %bb.72:                               ;   in Loop: Header=BB112_2 Depth=1
	s_wait_alu 0xfffe
	s_or_saveexec_b32 s9, s9
	v_mov_b32_e32 v59, v55
	s_wait_alu 0xfffe
	s_xor_b32 exec_lo, exec_lo, s9
	s_cbranch_execz .LBB112_1
; %bb.73:                               ;   in Loop: Header=BB112_2 Depth=1
	ds_load_u8 v59, v56 offset:1
	s_wait_dscnt 0x1
	v_dual_mov_b32 v57, v54 :: v_dual_add_nc_u32 v56, 1, v56
	v_mov_b32_e32 v58, v53
	s_branch .LBB112_1
.LBB112_74:
	s_add_nc_u64 s[0:1], s[14:15], s[16:17]
	s_wait_alu 0xfffe
	v_add_co_u32 v0, s0, s0, v0
	s_wait_alu 0xf1ff
	v_add_co_ci_u32_e64 v1, null, s1, 0, s0
	s_clause 0x1
	global_store_b8 v[0:1], v53, off
	global_store_b8 v[0:1], v54, off offset:512
	s_endpgm
	.section	.rodata,"a",@progbits
	.p2align	6, 0x0
	.amdhsa_kernel _Z16sort_keys_kernelIhLj512ELj2EN10test_utils4lessELj10EEvPKT_PS2_T2_
		.amdhsa_group_segment_fixed_size 1025
		.amdhsa_private_segment_fixed_size 0
		.amdhsa_kernarg_size 20
		.amdhsa_user_sgpr_count 2
		.amdhsa_user_sgpr_dispatch_ptr 0
		.amdhsa_user_sgpr_queue_ptr 0
		.amdhsa_user_sgpr_kernarg_segment_ptr 1
		.amdhsa_user_sgpr_dispatch_id 0
		.amdhsa_user_sgpr_private_segment_size 0
		.amdhsa_wavefront_size32 1
		.amdhsa_uses_dynamic_stack 0
		.amdhsa_enable_private_segment 0
		.amdhsa_system_sgpr_workgroup_id_x 1
		.amdhsa_system_sgpr_workgroup_id_y 0
		.amdhsa_system_sgpr_workgroup_id_z 0
		.amdhsa_system_sgpr_workgroup_info 0
		.amdhsa_system_vgpr_workitem_id 0
		.amdhsa_next_free_vgpr 63
		.amdhsa_next_free_sgpr 18
		.amdhsa_reserve_vcc 1
		.amdhsa_float_round_mode_32 0
		.amdhsa_float_round_mode_16_64 0
		.amdhsa_float_denorm_mode_32 3
		.amdhsa_float_denorm_mode_16_64 3
		.amdhsa_fp16_overflow 0
		.amdhsa_workgroup_processor_mode 1
		.amdhsa_memory_ordered 1
		.amdhsa_forward_progress 1
		.amdhsa_inst_pref_size 40
		.amdhsa_round_robin_scheduling 0
		.amdhsa_exception_fp_ieee_invalid_op 0
		.amdhsa_exception_fp_denorm_src 0
		.amdhsa_exception_fp_ieee_div_zero 0
		.amdhsa_exception_fp_ieee_overflow 0
		.amdhsa_exception_fp_ieee_underflow 0
		.amdhsa_exception_fp_ieee_inexact 0
		.amdhsa_exception_int_div_zero 0
	.end_amdhsa_kernel
	.section	.text._Z16sort_keys_kernelIhLj512ELj2EN10test_utils4lessELj10EEvPKT_PS2_T2_,"axG",@progbits,_Z16sort_keys_kernelIhLj512ELj2EN10test_utils4lessELj10EEvPKT_PS2_T2_,comdat
.Lfunc_end112:
	.size	_Z16sort_keys_kernelIhLj512ELj2EN10test_utils4lessELj10EEvPKT_PS2_T2_, .Lfunc_end112-_Z16sort_keys_kernelIhLj512ELj2EN10test_utils4lessELj10EEvPKT_PS2_T2_
                                        ; -- End function
	.set _Z16sort_keys_kernelIhLj512ELj2EN10test_utils4lessELj10EEvPKT_PS2_T2_.num_vgpr, 63
	.set _Z16sort_keys_kernelIhLj512ELj2EN10test_utils4lessELj10EEvPKT_PS2_T2_.num_agpr, 0
	.set _Z16sort_keys_kernelIhLj512ELj2EN10test_utils4lessELj10EEvPKT_PS2_T2_.numbered_sgpr, 18
	.set _Z16sort_keys_kernelIhLj512ELj2EN10test_utils4lessELj10EEvPKT_PS2_T2_.num_named_barrier, 0
	.set _Z16sort_keys_kernelIhLj512ELj2EN10test_utils4lessELj10EEvPKT_PS2_T2_.private_seg_size, 0
	.set _Z16sort_keys_kernelIhLj512ELj2EN10test_utils4lessELj10EEvPKT_PS2_T2_.uses_vcc, 1
	.set _Z16sort_keys_kernelIhLj512ELj2EN10test_utils4lessELj10EEvPKT_PS2_T2_.uses_flat_scratch, 0
	.set _Z16sort_keys_kernelIhLj512ELj2EN10test_utils4lessELj10EEvPKT_PS2_T2_.has_dyn_sized_stack, 0
	.set _Z16sort_keys_kernelIhLj512ELj2EN10test_utils4lessELj10EEvPKT_PS2_T2_.has_recursion, 0
	.set _Z16sort_keys_kernelIhLj512ELj2EN10test_utils4lessELj10EEvPKT_PS2_T2_.has_indirect_call, 0
	.section	.AMDGPU.csdata,"",@progbits
; Kernel info:
; codeLenInByte = 5096
; TotalNumSgprs: 20
; NumVgprs: 63
; ScratchSize: 0
; MemoryBound: 0
; FloatMode: 240
; IeeeMode: 1
; LDSByteSize: 1025 bytes/workgroup (compile time only)
; SGPRBlocks: 0
; VGPRBlocks: 7
; NumSGPRsForWavesPerEU: 20
; NumVGPRsForWavesPerEU: 63
; Occupancy: 16
; WaveLimiterHint : 1
; COMPUTE_PGM_RSRC2:SCRATCH_EN: 0
; COMPUTE_PGM_RSRC2:USER_SGPR: 2
; COMPUTE_PGM_RSRC2:TRAP_HANDLER: 0
; COMPUTE_PGM_RSRC2:TGID_X_EN: 1
; COMPUTE_PGM_RSRC2:TGID_Y_EN: 0
; COMPUTE_PGM_RSRC2:TGID_Z_EN: 0
; COMPUTE_PGM_RSRC2:TIDIG_COMP_CNT: 0
	.section	.text._Z17sort_pairs_kernelIhLj512ELj2EN10test_utils4lessELj10EEvPKT_PS2_T2_,"axG",@progbits,_Z17sort_pairs_kernelIhLj512ELj2EN10test_utils4lessELj10EEvPKT_PS2_T2_,comdat
	.protected	_Z17sort_pairs_kernelIhLj512ELj2EN10test_utils4lessELj10EEvPKT_PS2_T2_ ; -- Begin function _Z17sort_pairs_kernelIhLj512ELj2EN10test_utils4lessELj10EEvPKT_PS2_T2_
	.globl	_Z17sort_pairs_kernelIhLj512ELj2EN10test_utils4lessELj10EEvPKT_PS2_T2_
	.p2align	8
	.type	_Z17sort_pairs_kernelIhLj512ELj2EN10test_utils4lessELj10EEvPKT_PS2_T2_,@function
_Z17sort_pairs_kernelIhLj512ELj2EN10test_utils4lessELj10EEvPKT_PS2_T2_: ; @_Z17sort_pairs_kernelIhLj512ELj2EN10test_utils4lessELj10EEvPKT_PS2_T2_
; %bb.0:
	s_load_b128 s[12:15], s[0:1], 0x0
	s_lshl_b32 s16, ttmp9, 10
	s_mov_b32 s17, 0
	v_lshlrev_b32_e32 v1, 1, v0
	s_delay_alu instid0(VALU_DEP_1)
	v_and_b32_e32 v2, 0x3fc, v1
	v_and_b32_e32 v3, 0x3f8, v1
	;; [unrolled: 1-line block ×5, first 2 shown]
	v_or_b32_e32 v12, 2, v2
	v_add_nc_u32_e32 v13, 4, v2
	v_or_b32_e32 v14, 4, v3
	v_add_nc_u32_e32 v15, 8, v3
	v_and_b32_e32 v5, 0x3e0, v1
	v_or_b32_e32 v16, 8, v4
	v_sub_nc_u32_e32 v52, v13, v12
	s_wait_kmcnt 0x0
	s_add_nc_u64 s[0:1], s[12:13], s[16:17]
	v_add_nc_u32_e32 v17, 16, v4
	s_clause 0x1
	global_load_u8 v54, v0, s[0:1]
	global_load_u8 v53, v0, s[0:1] offset:512
	v_sub_nc_u32_e32 v36, v12, v2
	v_sub_nc_u32_e32 v55, v15, v14
	;; [unrolled: 1-line block ×3, first 2 shown]
	v_cmp_ge_i32_e64 s0, v44, v52
	v_and_b32_e32 v46, 14, v1
	v_and_b32_e32 v6, 0x3c0, v1
	v_or_b32_e32 v18, 16, v5
	v_add_nc_u32_e32 v19, 32, v5
	v_add_nc_u32_e32 v28, v12, v44
	v_sub_nc_u32_e32 v37, v14, v3
	v_sub_nc_u32_e32 v56, v17, v16
	v_min_i32_e32 v36, v44, v36
	v_sub_nc_u32_e32 v63, v45, v55
	v_cndmask_b32_e64 v44, 0, v62, s0
	v_cmp_ge_i32_e64 s0, v45, v55
	v_and_b32_e32 v47, 30, v1
	v_and_b32_e32 v7, 0x380, v1
	v_or_b32_e32 v20, 32, v6
	v_add_nc_u32_e32 v21, 64, v6
	v_add_nc_u32_e32 v29, v14, v45
	v_sub_nc_u32_e32 v38, v16, v4
	v_sub_nc_u32_e32 v57, v19, v18
	v_min_i32_e32 v37, v45, v37
	v_sub_nc_u32_e32 v64, v46, v56
	s_wait_alu 0xf1ff
	v_cndmask_b32_e64 v45, 0, v63, s0
	v_cmp_ge_i32_e64 s0, v46, v56
	v_and_b32_e32 v48, 62, v1
	v_and_b32_e32 v8, 0x300, v1
	v_or_b32_e32 v22, 64, v7
	v_add_nc_u32_e32 v23, 0x80, v7
	v_add_nc_u32_e32 v30, v16, v46
	v_sub_nc_u32_e32 v39, v18, v5
	v_sub_nc_u32_e32 v58, v21, v20
	v_min_i32_e32 v38, v46, v38
	v_sub_nc_u32_e32 v65, v47, v57
	s_wait_alu 0xf1ff
	;; [unrolled: 12-line block ×3, first 2 shown]
	v_cndmask_b32_e64 v47, 0, v65, s0
	v_cmp_ge_i32_e64 s0, v48, v58
	v_and_b32_e32 v50, 0xfe, v1
	v_or_b32_e32 v26, 0x100, v9
	v_add_nc_u32_e32 v27, 0x200, v9
	v_add_nc_u32_e32 v32, v20, v48
	v_sub_nc_u32_e32 v41, v22, v7
	v_sub_nc_u32_e32 v60, v25, v24
	v_min_i32_e32 v40, v48, v40
	v_sub_nc_u32_e32 v67, v49, v59
	s_wait_alu 0xf1ff
	v_cndmask_b32_e64 v48, 0, v66, s0
	v_cmp_ge_i32_e64 s0, v49, v59
	v_and_b32_e32 v51, 0x1fe, v1
	v_add_nc_u32_e32 v33, v22, v49
	v_sub_nc_u32_e32 v42, v24, v8
	v_sub_nc_u32_e32 v61, v27, v26
	v_min_i32_e32 v41, v49, v41
	v_sub_nc_u32_e32 v68, v50, v60
	s_wait_alu 0xf1ff
	v_cndmask_b32_e64 v49, 0, v67, s0
	v_cmp_ge_i32_e64 s0, v50, v60
	v_add_nc_u32_e32 v34, v24, v50
	v_sub_nc_u32_e32 v43, v26, v9
	v_min_i32_e32 v42, v50, v42
	v_sub_nc_u32_e32 v69, v51, v61
	s_wait_alu 0xf1ff
	v_cndmask_b32_e64 v50, 0, v68, s0
	v_cmp_ge_i32_e64 s0, v51, v61
	v_add_nc_u32_e32 v35, v26, v51
	v_min_i32_e32 v43, v51, v43
	v_subrev_nc_u32_e64 v10, 0x200, v1 clamp
	v_min_i32_e32 v11, 0x200, v1
	s_wait_alu 0xf1ff
	v_cndmask_b32_e64 v51, 0, v69, s0
	v_cmp_lt_i32_e64 s0, v44, v36
	v_cmp_lt_i32_e64 s1, v45, v37
	;; [unrolled: 1-line block ×8, first 2 shown]
	v_add_nc_u32_e32 v52, 0x200, v1
	s_mov_b32 s12, s17
	v_cmp_lt_i32_e32 vcc_lo, v10, v11
	s_wait_loadcnt 0x1
	v_add_nc_u16 v56, v54, 1
	s_wait_loadcnt 0x0
	v_add_nc_u16 v55, v53, 1
	s_branch .LBB113_2
.LBB113_1:                              ;   in Loop: Header=BB113_2 Depth=1
	s_or_b32 exec_lo, exec_lo, s9
	s_wait_dscnt 0x0
	s_delay_alu instid0(VALU_DEP_1)
	v_and_b32_e32 v55, 0xff, v60
	v_and_b32_e32 v63, 0xff, v62
	v_cmp_le_i32_e64 s10, 0x200, v59
	v_cmp_gt_i32_e64 s9, 0x400, v56
	s_wait_loadcnt 0x0
	s_barrier_signal -1
	v_cmp_lt_u16_e64 s11, v63, v55
	s_barrier_wait -1
	global_inv scope:SCOPE_SE
	ds_store_b8 v1, v53
	ds_store_b8 v1, v54 offset:1
	s_wait_loadcnt_dscnt 0x0
	s_or_b32 s10, s10, s11
	s_barrier_signal -1
	s_and_b32 s9, s9, s10
	s_barrier_wait -1
	s_wait_alu 0xfffe
	v_cndmask_b32_e64 v54, v59, v56, s9
	global_inv scope:SCOPE_SE
	v_cndmask_b32_e64 v53, v60, v62, s9
	ds_load_u8 v56, v61
	ds_load_u8 v55, v54
	v_cndmask_b32_e64 v54, v57, v58, s8
	s_add_co_i32 s12, s12, 1
	s_delay_alu instid0(SALU_CYCLE_1)
	s_cmp_eq_u32 s12, 10
	s_cbranch_scc1 .LBB113_74
.LBB113_2:                              ; =>This Loop Header: Depth=1
                                        ;     Child Loop BB113_4 Depth 2
                                        ;     Child Loop BB113_12 Depth 2
	;; [unrolled: 1-line block ×9, first 2 shown]
	s_delay_alu instid0(VALU_DEP_1) | instskip(SKIP_4) | instid1(VALU_DEP_4)
	v_and_b32_e32 v57, 0xff, v54
	v_and_b32_e32 v58, 0xff, v53
	v_perm_b32 v59, v53, v54, 0xc0c0004
	v_perm_b32 v53, v54, v53, 0xc0c0004
	v_mov_b32_e32 v54, v44
	v_cmp_lt_u16_e64 s8, v58, v57
	s_barrier_signal -1
	s_barrier_wait -1
	global_inv scope:SCOPE_SE
	s_wait_alu 0xf1ff
	v_cndmask_b32_e64 v53, v53, v59, s8
	s_delay_alu instid0(VALU_DEP_1)
	v_lshrrev_b16 v57, 8, v53
	ds_store_b8 v1, v53
	ds_store_b8 v1, v57 offset:1
	s_wait_loadcnt_dscnt 0x0
	s_barrier_signal -1
	s_barrier_wait -1
	global_inv scope:SCOPE_SE
	s_and_saveexec_b32 s10, s0
	s_cbranch_execz .LBB113_6
; %bb.3:                                ;   in Loop: Header=BB113_2 Depth=1
	v_dual_mov_b32 v54, v44 :: v_dual_mov_b32 v53, v36
	s_mov_b32 s11, 0
.LBB113_4:                              ;   Parent Loop BB113_2 Depth=1
                                        ; =>  This Inner Loop Header: Depth=2
	s_delay_alu instid0(VALU_DEP_1) | instskip(NEXT) | instid1(VALU_DEP_1)
	v_sub_nc_u32_e32 v57, v53, v54
	v_lshrrev_b32_e32 v57, 1, v57
	s_delay_alu instid0(VALU_DEP_1) | instskip(NEXT) | instid1(VALU_DEP_1)
	v_add_nc_u32_e32 v57, v57, v54
	v_add_nc_u32_e32 v58, v2, v57
	v_xad_u32 v59, v57, -1, v28
	v_add_nc_u32_e32 v60, 1, v57
	ds_load_u8 v58, v58
	ds_load_u8 v59, v59
	s_wait_dscnt 0x0
	v_cmp_lt_u16_e64 s9, v59, v58
	s_wait_alu 0xf1ff
	s_delay_alu instid0(VALU_DEP_1) | instskip(SKIP_1) | instid1(VALU_DEP_1)
	v_cndmask_b32_e64 v53, v53, v57, s9
	v_cndmask_b32_e64 v54, v60, v54, s9
	v_cmp_ge_i32_e64 s9, v54, v53
	s_or_b32 s11, s9, s11
	s_delay_alu instid0(SALU_CYCLE_1)
	s_and_not1_b32 exec_lo, exec_lo, s11
	s_cbranch_execnz .LBB113_4
; %bb.5:                                ;   in Loop: Header=BB113_2 Depth=1
	s_or_b32 exec_lo, exec_lo, s11
.LBB113_6:                              ;   in Loop: Header=BB113_2 Depth=1
	s_delay_alu instid0(SALU_CYCLE_1)
	s_or_b32 exec_lo, exec_lo, s10
	v_add_nc_u32_e32 v53, v54, v2
	v_sub_nc_u32_e32 v54, v28, v54
	ds_load_u8 v57, v53
	ds_load_u8 v58, v54
	v_cmp_le_i32_e64 s9, v12, v53
	v_cmp_gt_i32_e64 s11, v13, v54
	s_wait_dscnt 0x1
	v_and_b32_e32 v59, 0xff, v57
	s_wait_dscnt 0x0
	v_and_b32_e32 v60, 0xff, v58
	s_delay_alu instid0(VALU_DEP_1)
	v_cmp_lt_u16_e64 s10, v60, v59
                                        ; implicit-def: $vgpr59
	s_or_b32 s9, s9, s10
	s_wait_alu 0xfffe
	s_and_b32 s9, s11, s9
	s_wait_alu 0xfffe
	s_xor_b32 s10, s9, -1
	s_delay_alu instid0(SALU_CYCLE_1) | instskip(NEXT) | instid1(SALU_CYCLE_1)
	s_and_saveexec_b32 s11, s10
	s_xor_b32 s10, exec_lo, s11
; %bb.7:                                ;   in Loop: Header=BB113_2 Depth=1
	ds_load_u8 v59, v53 offset:1
; %bb.8:                                ;   in Loop: Header=BB113_2 Depth=1
	s_or_saveexec_b32 s10, s10
	v_mov_b32_e32 v60, v58
	s_xor_b32 exec_lo, exec_lo, s10
	s_cbranch_execz .LBB113_10
; %bb.9:                                ;   in Loop: Header=BB113_2 Depth=1
	ds_load_u8 v60, v54 offset:1
	s_wait_dscnt 0x1
	v_mov_b32_e32 v59, v57
.LBB113_10:                             ;   in Loop: Header=BB113_2 Depth=1
	s_or_b32 exec_lo, exec_lo, s10
	v_add_nc_u32_e32 v61, 1, v53
	v_add_nc_u32_e32 v62, 1, v54
	s_wait_dscnt 0x0
	v_and_b32_e32 v64, 0xff, v59
	v_and_b32_e32 v65, 0xff, v60
	v_perm_b32 v63, v55, v56, 0xc0c0004
	v_cndmask_b32_e64 v61, v61, v53, s9
	v_perm_b32 v55, v56, v55, 0xc0c0004
	v_cndmask_b32_e64 v56, v54, v62, s9
	v_cmp_lt_u16_e64 s10, v65, v64
	v_cndmask_b32_e64 v53, v53, v54, s9
	v_cmp_ge_i32_e64 s11, v61, v12
	v_cndmask_b32_e64 v54, v55, v63, s8
	v_cmp_lt_i32_e64 s8, v56, v13
	s_wait_loadcnt 0x0
	s_barrier_signal -1
	s_or_b32 s10, s11, s10
	v_lshrrev_b16 v55, 8, v54
	s_and_b32 s8, s8, s10
	s_barrier_wait -1
	s_wait_alu 0xfffe
	v_cndmask_b32_e64 v56, v61, v56, s8
	global_inv scope:SCOPE_SE
	ds_store_b8 v1, v54
	ds_store_b8 v1, v55 offset:1
	s_wait_loadcnt_dscnt 0x0
	s_barrier_signal -1
	s_barrier_wait -1
	global_inv scope:SCOPE_SE
	ds_load_u8 v53, v53
	ds_load_u8 v54, v56
	v_cndmask_b32_e64 v55, v57, v58, s9
	v_cndmask_b32_e64 v59, v59, v60, s8
	s_wait_loadcnt_dscnt 0x0
	s_barrier_signal -1
	s_barrier_wait -1
	global_inv scope:SCOPE_SE
	ds_store_b8 v1, v55
	ds_store_b8 v1, v59 offset:1
	v_mov_b32_e32 v55, v45
	s_wait_loadcnt_dscnt 0x0
	s_barrier_signal -1
	s_barrier_wait -1
	global_inv scope:SCOPE_SE
	s_and_saveexec_b32 s9, s1
	s_cbranch_execz .LBB113_14
; %bb.11:                               ;   in Loop: Header=BB113_2 Depth=1
	v_dual_mov_b32 v55, v45 :: v_dual_mov_b32 v56, v37
	s_mov_b32 s10, 0
.LBB113_12:                             ;   Parent Loop BB113_2 Depth=1
                                        ; =>  This Inner Loop Header: Depth=2
	s_delay_alu instid0(VALU_DEP_1) | instskip(NEXT) | instid1(VALU_DEP_1)
	v_sub_nc_u32_e32 v57, v56, v55
	v_lshrrev_b32_e32 v57, 1, v57
	s_delay_alu instid0(VALU_DEP_1) | instskip(NEXT) | instid1(VALU_DEP_1)
	v_add_nc_u32_e32 v57, v57, v55
	v_add_nc_u32_e32 v58, v3, v57
	v_xad_u32 v59, v57, -1, v29
	v_add_nc_u32_e32 v60, 1, v57
	ds_load_u8 v58, v58
	ds_load_u8 v59, v59
	s_wait_dscnt 0x0
	v_cmp_lt_u16_e64 s8, v59, v58
	s_wait_alu 0xf1ff
	s_delay_alu instid0(VALU_DEP_1) | instskip(SKIP_1) | instid1(VALU_DEP_1)
	v_cndmask_b32_e64 v56, v56, v57, s8
	v_cndmask_b32_e64 v55, v60, v55, s8
	v_cmp_ge_i32_e64 s8, v55, v56
	s_or_b32 s10, s8, s10
	s_delay_alu instid0(SALU_CYCLE_1)
	s_and_not1_b32 exec_lo, exec_lo, s10
	s_cbranch_execnz .LBB113_12
; %bb.13:                               ;   in Loop: Header=BB113_2 Depth=1
	s_or_b32 exec_lo, exec_lo, s10
.LBB113_14:                             ;   in Loop: Header=BB113_2 Depth=1
	s_wait_alu 0xfffe
	s_or_b32 exec_lo, exec_lo, s9
	v_add_nc_u32_e32 v58, v55, v3
	v_sub_nc_u32_e32 v57, v29, v55
	ds_load_u8 v55, v58
	ds_load_u8 v56, v57
	v_cmp_le_i32_e64 s8, v14, v58
	v_cmp_gt_i32_e64 s10, v15, v57
	s_wait_dscnt 0x1
	v_and_b32_e32 v59, 0xff, v55
	s_wait_dscnt 0x0
	v_and_b32_e32 v60, 0xff, v56
	s_delay_alu instid0(VALU_DEP_1)
	v_cmp_lt_u16_e64 s9, v60, v59
                                        ; implicit-def: $vgpr59
	s_or_b32 s8, s8, s9
	s_wait_alu 0xfffe
	s_and_b32 s8, s10, s8
	s_wait_alu 0xfffe
	s_xor_b32 s9, s8, -1
	s_wait_alu 0xfffe
	s_and_saveexec_b32 s10, s9
	s_delay_alu instid0(SALU_CYCLE_1)
	s_xor_b32 s9, exec_lo, s10
; %bb.15:                               ;   in Loop: Header=BB113_2 Depth=1
	ds_load_u8 v59, v58 offset:1
; %bb.16:                               ;   in Loop: Header=BB113_2 Depth=1
	s_wait_alu 0xfffe
	s_or_saveexec_b32 s9, s9
	v_mov_b32_e32 v60, v56
	s_wait_alu 0xfffe
	s_xor_b32 exec_lo, exec_lo, s9
	s_cbranch_execz .LBB113_18
; %bb.17:                               ;   in Loop: Header=BB113_2 Depth=1
	ds_load_u8 v60, v57 offset:1
	s_wait_dscnt 0x1
	v_mov_b32_e32 v59, v55
.LBB113_18:                             ;   in Loop: Header=BB113_2 Depth=1
	s_or_b32 exec_lo, exec_lo, s9
	v_add_nc_u32_e32 v61, 1, v58
	v_add_nc_u32_e32 v62, 1, v57
	s_wait_dscnt 0x0
	v_and_b32_e32 v63, 0xff, v59
	v_and_b32_e32 v64, 0xff, v60
	s_wait_loadcnt 0x0
	v_cndmask_b32_e64 v61, v61, v58, s8
	v_cndmask_b32_e64 v58, v58, v57, s8
	;; [unrolled: 1-line block ×3, first 2 shown]
	v_cmp_lt_u16_e64 s9, v64, v63
	s_barrier_signal -1
	v_cmp_ge_i32_e64 s10, v61, v14
	s_barrier_wait -1
	v_cmp_lt_i32_e64 s11, v57, v15
	global_inv scope:SCOPE_SE
	ds_store_b8 v1, v53
	ds_store_b8 v1, v54 offset:1
	s_or_b32 s9, s10, s9
	s_wait_loadcnt_dscnt 0x0
	s_wait_alu 0xfffe
	s_and_b32 s9, s11, s9
	s_barrier_signal -1
	s_wait_alu 0xfffe
	v_cndmask_b32_e64 v54, v61, v57, s9
	s_barrier_wait -1
	global_inv scope:SCOPE_SE
	v_cndmask_b32_e64 v55, v55, v56, s8
	ds_load_u8 v53, v58
	ds_load_u8 v54, v54
	v_cndmask_b32_e64 v59, v59, v60, s9
	s_wait_loadcnt_dscnt 0x0
	s_barrier_signal -1
	s_barrier_wait -1
	global_inv scope:SCOPE_SE
	ds_store_b8 v1, v55
	ds_store_b8 v1, v59 offset:1
	v_mov_b32_e32 v55, v46
	s_wait_loadcnt_dscnt 0x0
	s_barrier_signal -1
	s_barrier_wait -1
	global_inv scope:SCOPE_SE
	s_and_saveexec_b32 s9, s2
	s_cbranch_execz .LBB113_22
; %bb.19:                               ;   in Loop: Header=BB113_2 Depth=1
	v_dual_mov_b32 v55, v46 :: v_dual_mov_b32 v56, v38
	s_mov_b32 s10, 0
.LBB113_20:                             ;   Parent Loop BB113_2 Depth=1
                                        ; =>  This Inner Loop Header: Depth=2
	s_delay_alu instid0(VALU_DEP_1) | instskip(NEXT) | instid1(VALU_DEP_1)
	v_sub_nc_u32_e32 v57, v56, v55
	v_lshrrev_b32_e32 v57, 1, v57
	s_delay_alu instid0(VALU_DEP_1) | instskip(NEXT) | instid1(VALU_DEP_1)
	v_add_nc_u32_e32 v57, v57, v55
	v_add_nc_u32_e32 v58, v4, v57
	v_xad_u32 v59, v57, -1, v30
	v_add_nc_u32_e32 v60, 1, v57
	ds_load_u8 v58, v58
	ds_load_u8 v59, v59
	s_wait_dscnt 0x0
	v_cmp_lt_u16_e64 s8, v59, v58
	s_wait_alu 0xf1ff
	s_delay_alu instid0(VALU_DEP_1) | instskip(SKIP_1) | instid1(VALU_DEP_1)
	v_cndmask_b32_e64 v56, v56, v57, s8
	v_cndmask_b32_e64 v55, v60, v55, s8
	v_cmp_ge_i32_e64 s8, v55, v56
	s_or_b32 s10, s8, s10
	s_delay_alu instid0(SALU_CYCLE_1)
	s_and_not1_b32 exec_lo, exec_lo, s10
	s_cbranch_execnz .LBB113_20
; %bb.21:                               ;   in Loop: Header=BB113_2 Depth=1
	s_or_b32 exec_lo, exec_lo, s10
.LBB113_22:                             ;   in Loop: Header=BB113_2 Depth=1
	s_wait_alu 0xfffe
	s_or_b32 exec_lo, exec_lo, s9
	v_add_nc_u32_e32 v58, v55, v4
	v_sub_nc_u32_e32 v57, v30, v55
	ds_load_u8 v55, v58
	ds_load_u8 v56, v57
	v_cmp_le_i32_e64 s8, v16, v58
	v_cmp_gt_i32_e64 s10, v17, v57
	s_wait_dscnt 0x1
	v_and_b32_e32 v59, 0xff, v55
	s_wait_dscnt 0x0
	v_and_b32_e32 v60, 0xff, v56
	s_delay_alu instid0(VALU_DEP_1)
	v_cmp_lt_u16_e64 s9, v60, v59
                                        ; implicit-def: $vgpr59
	s_or_b32 s8, s8, s9
	s_wait_alu 0xfffe
	s_and_b32 s8, s10, s8
	s_wait_alu 0xfffe
	s_xor_b32 s9, s8, -1
	s_wait_alu 0xfffe
	s_and_saveexec_b32 s10, s9
	s_delay_alu instid0(SALU_CYCLE_1)
	s_xor_b32 s9, exec_lo, s10
; %bb.23:                               ;   in Loop: Header=BB113_2 Depth=1
	ds_load_u8 v59, v58 offset:1
; %bb.24:                               ;   in Loop: Header=BB113_2 Depth=1
	s_wait_alu 0xfffe
	s_or_saveexec_b32 s9, s9
	v_mov_b32_e32 v60, v56
	s_wait_alu 0xfffe
	s_xor_b32 exec_lo, exec_lo, s9
	s_cbranch_execz .LBB113_26
; %bb.25:                               ;   in Loop: Header=BB113_2 Depth=1
	ds_load_u8 v60, v57 offset:1
	s_wait_dscnt 0x1
	v_mov_b32_e32 v59, v55
.LBB113_26:                             ;   in Loop: Header=BB113_2 Depth=1
	s_or_b32 exec_lo, exec_lo, s9
	v_add_nc_u32_e32 v61, 1, v58
	v_add_nc_u32_e32 v62, 1, v57
	s_wait_dscnt 0x0
	v_and_b32_e32 v63, 0xff, v59
	v_and_b32_e32 v64, 0xff, v60
	s_wait_loadcnt 0x0
	v_cndmask_b32_e64 v61, v61, v58, s8
	v_cndmask_b32_e64 v58, v58, v57, s8
	;; [unrolled: 1-line block ×3, first 2 shown]
	v_cmp_lt_u16_e64 s9, v64, v63
	s_barrier_signal -1
	v_cmp_ge_i32_e64 s10, v61, v16
	s_barrier_wait -1
	v_cmp_lt_i32_e64 s11, v57, v17
	global_inv scope:SCOPE_SE
	ds_store_b8 v1, v53
	ds_store_b8 v1, v54 offset:1
	s_or_b32 s9, s10, s9
	s_wait_loadcnt_dscnt 0x0
	s_wait_alu 0xfffe
	s_and_b32 s9, s11, s9
	s_barrier_signal -1
	s_wait_alu 0xfffe
	v_cndmask_b32_e64 v54, v61, v57, s9
	s_barrier_wait -1
	global_inv scope:SCOPE_SE
	v_cndmask_b32_e64 v55, v55, v56, s8
	ds_load_u8 v53, v58
	ds_load_u8 v54, v54
	v_cndmask_b32_e64 v59, v59, v60, s9
	s_wait_loadcnt_dscnt 0x0
	s_barrier_signal -1
	s_barrier_wait -1
	global_inv scope:SCOPE_SE
	ds_store_b8 v1, v55
	ds_store_b8 v1, v59 offset:1
	v_mov_b32_e32 v55, v47
	s_wait_loadcnt_dscnt 0x0
	s_barrier_signal -1
	s_barrier_wait -1
	global_inv scope:SCOPE_SE
	s_and_saveexec_b32 s9, s3
	s_cbranch_execz .LBB113_30
; %bb.27:                               ;   in Loop: Header=BB113_2 Depth=1
	v_dual_mov_b32 v55, v47 :: v_dual_mov_b32 v56, v39
	s_mov_b32 s10, 0
.LBB113_28:                             ;   Parent Loop BB113_2 Depth=1
                                        ; =>  This Inner Loop Header: Depth=2
	s_delay_alu instid0(VALU_DEP_1) | instskip(NEXT) | instid1(VALU_DEP_1)
	v_sub_nc_u32_e32 v57, v56, v55
	v_lshrrev_b32_e32 v57, 1, v57
	s_delay_alu instid0(VALU_DEP_1) | instskip(NEXT) | instid1(VALU_DEP_1)
	v_add_nc_u32_e32 v57, v57, v55
	v_add_nc_u32_e32 v58, v5, v57
	v_xad_u32 v59, v57, -1, v31
	v_add_nc_u32_e32 v60, 1, v57
	ds_load_u8 v58, v58
	ds_load_u8 v59, v59
	s_wait_dscnt 0x0
	v_cmp_lt_u16_e64 s8, v59, v58
	s_wait_alu 0xf1ff
	s_delay_alu instid0(VALU_DEP_1) | instskip(SKIP_1) | instid1(VALU_DEP_1)
	v_cndmask_b32_e64 v56, v56, v57, s8
	v_cndmask_b32_e64 v55, v60, v55, s8
	v_cmp_ge_i32_e64 s8, v55, v56
	s_or_b32 s10, s8, s10
	s_delay_alu instid0(SALU_CYCLE_1)
	s_and_not1_b32 exec_lo, exec_lo, s10
	s_cbranch_execnz .LBB113_28
; %bb.29:                               ;   in Loop: Header=BB113_2 Depth=1
	s_or_b32 exec_lo, exec_lo, s10
.LBB113_30:                             ;   in Loop: Header=BB113_2 Depth=1
	s_wait_alu 0xfffe
	s_or_b32 exec_lo, exec_lo, s9
	v_add_nc_u32_e32 v58, v55, v5
	v_sub_nc_u32_e32 v57, v31, v55
	ds_load_u8 v55, v58
	ds_load_u8 v56, v57
	v_cmp_le_i32_e64 s8, v18, v58
	v_cmp_gt_i32_e64 s10, v19, v57
	s_wait_dscnt 0x1
	v_and_b32_e32 v59, 0xff, v55
	s_wait_dscnt 0x0
	v_and_b32_e32 v60, 0xff, v56
	s_delay_alu instid0(VALU_DEP_1)
	v_cmp_lt_u16_e64 s9, v60, v59
                                        ; implicit-def: $vgpr59
	s_or_b32 s8, s8, s9
	s_wait_alu 0xfffe
	s_and_b32 s8, s10, s8
	s_wait_alu 0xfffe
	s_xor_b32 s9, s8, -1
	s_wait_alu 0xfffe
	s_and_saveexec_b32 s10, s9
	s_delay_alu instid0(SALU_CYCLE_1)
	s_xor_b32 s9, exec_lo, s10
; %bb.31:                               ;   in Loop: Header=BB113_2 Depth=1
	ds_load_u8 v59, v58 offset:1
; %bb.32:                               ;   in Loop: Header=BB113_2 Depth=1
	s_wait_alu 0xfffe
	s_or_saveexec_b32 s9, s9
	v_mov_b32_e32 v60, v56
	s_wait_alu 0xfffe
	s_xor_b32 exec_lo, exec_lo, s9
	s_cbranch_execz .LBB113_34
; %bb.33:                               ;   in Loop: Header=BB113_2 Depth=1
	ds_load_u8 v60, v57 offset:1
	s_wait_dscnt 0x1
	v_mov_b32_e32 v59, v55
.LBB113_34:                             ;   in Loop: Header=BB113_2 Depth=1
	s_or_b32 exec_lo, exec_lo, s9
	v_add_nc_u32_e32 v61, 1, v58
	v_add_nc_u32_e32 v62, 1, v57
	s_wait_dscnt 0x0
	v_and_b32_e32 v63, 0xff, v59
	v_and_b32_e32 v64, 0xff, v60
	s_wait_loadcnt 0x0
	v_cndmask_b32_e64 v61, v61, v58, s8
	v_cndmask_b32_e64 v58, v58, v57, s8
	;; [unrolled: 1-line block ×3, first 2 shown]
	v_cmp_lt_u16_e64 s9, v64, v63
	s_barrier_signal -1
	v_cmp_ge_i32_e64 s10, v61, v18
	s_barrier_wait -1
	v_cmp_lt_i32_e64 s11, v57, v19
	global_inv scope:SCOPE_SE
	ds_store_b8 v1, v53
	ds_store_b8 v1, v54 offset:1
	s_or_b32 s9, s10, s9
	s_wait_loadcnt_dscnt 0x0
	s_wait_alu 0xfffe
	s_and_b32 s9, s11, s9
	s_barrier_signal -1
	s_wait_alu 0xfffe
	v_cndmask_b32_e64 v54, v61, v57, s9
	s_barrier_wait -1
	global_inv scope:SCOPE_SE
	v_cndmask_b32_e64 v55, v55, v56, s8
	ds_load_u8 v53, v58
	ds_load_u8 v54, v54
	v_cndmask_b32_e64 v59, v59, v60, s9
	s_wait_loadcnt_dscnt 0x0
	s_barrier_signal -1
	s_barrier_wait -1
	global_inv scope:SCOPE_SE
	ds_store_b8 v1, v55
	ds_store_b8 v1, v59 offset:1
	v_mov_b32_e32 v55, v48
	s_wait_loadcnt_dscnt 0x0
	s_barrier_signal -1
	s_barrier_wait -1
	global_inv scope:SCOPE_SE
	s_and_saveexec_b32 s9, s4
	s_cbranch_execz .LBB113_38
; %bb.35:                               ;   in Loop: Header=BB113_2 Depth=1
	v_dual_mov_b32 v55, v48 :: v_dual_mov_b32 v56, v40
	s_mov_b32 s10, 0
.LBB113_36:                             ;   Parent Loop BB113_2 Depth=1
                                        ; =>  This Inner Loop Header: Depth=2
	s_delay_alu instid0(VALU_DEP_1) | instskip(NEXT) | instid1(VALU_DEP_1)
	v_sub_nc_u32_e32 v57, v56, v55
	v_lshrrev_b32_e32 v57, 1, v57
	s_delay_alu instid0(VALU_DEP_1) | instskip(NEXT) | instid1(VALU_DEP_1)
	v_add_nc_u32_e32 v57, v57, v55
	v_add_nc_u32_e32 v58, v6, v57
	v_xad_u32 v59, v57, -1, v32
	v_add_nc_u32_e32 v60, 1, v57
	ds_load_u8 v58, v58
	ds_load_u8 v59, v59
	s_wait_dscnt 0x0
	v_cmp_lt_u16_e64 s8, v59, v58
	s_wait_alu 0xf1ff
	s_delay_alu instid0(VALU_DEP_1) | instskip(SKIP_1) | instid1(VALU_DEP_1)
	v_cndmask_b32_e64 v56, v56, v57, s8
	v_cndmask_b32_e64 v55, v60, v55, s8
	v_cmp_ge_i32_e64 s8, v55, v56
	s_or_b32 s10, s8, s10
	s_delay_alu instid0(SALU_CYCLE_1)
	s_and_not1_b32 exec_lo, exec_lo, s10
	s_cbranch_execnz .LBB113_36
; %bb.37:                               ;   in Loop: Header=BB113_2 Depth=1
	s_or_b32 exec_lo, exec_lo, s10
.LBB113_38:                             ;   in Loop: Header=BB113_2 Depth=1
	s_wait_alu 0xfffe
	s_or_b32 exec_lo, exec_lo, s9
	v_add_nc_u32_e32 v58, v55, v6
	v_sub_nc_u32_e32 v57, v32, v55
	ds_load_u8 v55, v58
	ds_load_u8 v56, v57
	v_cmp_le_i32_e64 s8, v20, v58
	v_cmp_gt_i32_e64 s10, v21, v57
	s_wait_dscnt 0x1
	v_and_b32_e32 v59, 0xff, v55
	s_wait_dscnt 0x0
	v_and_b32_e32 v60, 0xff, v56
	s_delay_alu instid0(VALU_DEP_1)
	v_cmp_lt_u16_e64 s9, v60, v59
                                        ; implicit-def: $vgpr59
	s_or_b32 s8, s8, s9
	s_wait_alu 0xfffe
	s_and_b32 s8, s10, s8
	s_wait_alu 0xfffe
	s_xor_b32 s9, s8, -1
	s_wait_alu 0xfffe
	s_and_saveexec_b32 s10, s9
	s_delay_alu instid0(SALU_CYCLE_1)
	s_xor_b32 s9, exec_lo, s10
; %bb.39:                               ;   in Loop: Header=BB113_2 Depth=1
	ds_load_u8 v59, v58 offset:1
; %bb.40:                               ;   in Loop: Header=BB113_2 Depth=1
	s_wait_alu 0xfffe
	s_or_saveexec_b32 s9, s9
	v_mov_b32_e32 v60, v56
	s_wait_alu 0xfffe
	s_xor_b32 exec_lo, exec_lo, s9
	s_cbranch_execz .LBB113_42
; %bb.41:                               ;   in Loop: Header=BB113_2 Depth=1
	ds_load_u8 v60, v57 offset:1
	s_wait_dscnt 0x1
	v_mov_b32_e32 v59, v55
.LBB113_42:                             ;   in Loop: Header=BB113_2 Depth=1
	s_or_b32 exec_lo, exec_lo, s9
	v_add_nc_u32_e32 v61, 1, v58
	v_add_nc_u32_e32 v62, 1, v57
	s_wait_dscnt 0x0
	v_and_b32_e32 v63, 0xff, v59
	v_and_b32_e32 v64, 0xff, v60
	s_wait_loadcnt 0x0
	v_cndmask_b32_e64 v61, v61, v58, s8
	v_cndmask_b32_e64 v58, v58, v57, s8
	;; [unrolled: 1-line block ×3, first 2 shown]
	v_cmp_lt_u16_e64 s9, v64, v63
	s_barrier_signal -1
	v_cmp_ge_i32_e64 s10, v61, v20
	s_barrier_wait -1
	v_cmp_lt_i32_e64 s11, v57, v21
	global_inv scope:SCOPE_SE
	ds_store_b8 v1, v53
	ds_store_b8 v1, v54 offset:1
	s_or_b32 s9, s10, s9
	s_wait_loadcnt_dscnt 0x0
	s_wait_alu 0xfffe
	s_and_b32 s9, s11, s9
	s_barrier_signal -1
	s_wait_alu 0xfffe
	v_cndmask_b32_e64 v54, v61, v57, s9
	s_barrier_wait -1
	global_inv scope:SCOPE_SE
	v_cndmask_b32_e64 v55, v55, v56, s8
	ds_load_u8 v53, v58
	ds_load_u8 v54, v54
	v_cndmask_b32_e64 v59, v59, v60, s9
	s_wait_loadcnt_dscnt 0x0
	s_barrier_signal -1
	s_barrier_wait -1
	global_inv scope:SCOPE_SE
	ds_store_b8 v1, v55
	ds_store_b8 v1, v59 offset:1
	v_mov_b32_e32 v55, v49
	s_wait_loadcnt_dscnt 0x0
	s_barrier_signal -1
	s_barrier_wait -1
	global_inv scope:SCOPE_SE
	s_and_saveexec_b32 s9, s5
	s_cbranch_execz .LBB113_46
; %bb.43:                               ;   in Loop: Header=BB113_2 Depth=1
	v_dual_mov_b32 v55, v49 :: v_dual_mov_b32 v56, v41
	s_mov_b32 s10, 0
.LBB113_44:                             ;   Parent Loop BB113_2 Depth=1
                                        ; =>  This Inner Loop Header: Depth=2
	s_delay_alu instid0(VALU_DEP_1) | instskip(NEXT) | instid1(VALU_DEP_1)
	v_sub_nc_u32_e32 v57, v56, v55
	v_lshrrev_b32_e32 v57, 1, v57
	s_delay_alu instid0(VALU_DEP_1) | instskip(NEXT) | instid1(VALU_DEP_1)
	v_add_nc_u32_e32 v57, v57, v55
	v_add_nc_u32_e32 v58, v7, v57
	v_xad_u32 v59, v57, -1, v33
	v_add_nc_u32_e32 v60, 1, v57
	ds_load_u8 v58, v58
	ds_load_u8 v59, v59
	s_wait_dscnt 0x0
	v_cmp_lt_u16_e64 s8, v59, v58
	s_wait_alu 0xf1ff
	s_delay_alu instid0(VALU_DEP_1) | instskip(SKIP_1) | instid1(VALU_DEP_1)
	v_cndmask_b32_e64 v56, v56, v57, s8
	v_cndmask_b32_e64 v55, v60, v55, s8
	v_cmp_ge_i32_e64 s8, v55, v56
	s_or_b32 s10, s8, s10
	s_delay_alu instid0(SALU_CYCLE_1)
	s_and_not1_b32 exec_lo, exec_lo, s10
	s_cbranch_execnz .LBB113_44
; %bb.45:                               ;   in Loop: Header=BB113_2 Depth=1
	s_or_b32 exec_lo, exec_lo, s10
.LBB113_46:                             ;   in Loop: Header=BB113_2 Depth=1
	s_wait_alu 0xfffe
	s_or_b32 exec_lo, exec_lo, s9
	v_add_nc_u32_e32 v58, v55, v7
	v_sub_nc_u32_e32 v57, v33, v55
	ds_load_u8 v55, v58
	ds_load_u8 v56, v57
	v_cmp_le_i32_e64 s8, v22, v58
	v_cmp_gt_i32_e64 s10, v23, v57
	s_wait_dscnt 0x1
	v_and_b32_e32 v59, 0xff, v55
	s_wait_dscnt 0x0
	v_and_b32_e32 v60, 0xff, v56
	s_delay_alu instid0(VALU_DEP_1)
	v_cmp_lt_u16_e64 s9, v60, v59
                                        ; implicit-def: $vgpr59
	s_or_b32 s8, s8, s9
	s_wait_alu 0xfffe
	s_and_b32 s8, s10, s8
	s_wait_alu 0xfffe
	s_xor_b32 s9, s8, -1
	s_wait_alu 0xfffe
	s_and_saveexec_b32 s10, s9
	s_delay_alu instid0(SALU_CYCLE_1)
	s_xor_b32 s9, exec_lo, s10
; %bb.47:                               ;   in Loop: Header=BB113_2 Depth=1
	ds_load_u8 v59, v58 offset:1
; %bb.48:                               ;   in Loop: Header=BB113_2 Depth=1
	s_wait_alu 0xfffe
	s_or_saveexec_b32 s9, s9
	v_mov_b32_e32 v60, v56
	s_wait_alu 0xfffe
	s_xor_b32 exec_lo, exec_lo, s9
	s_cbranch_execz .LBB113_50
; %bb.49:                               ;   in Loop: Header=BB113_2 Depth=1
	ds_load_u8 v60, v57 offset:1
	s_wait_dscnt 0x1
	v_mov_b32_e32 v59, v55
.LBB113_50:                             ;   in Loop: Header=BB113_2 Depth=1
	s_or_b32 exec_lo, exec_lo, s9
	v_add_nc_u32_e32 v61, 1, v58
	v_add_nc_u32_e32 v62, 1, v57
	s_wait_dscnt 0x0
	v_and_b32_e32 v63, 0xff, v59
	v_and_b32_e32 v64, 0xff, v60
	s_wait_loadcnt 0x0
	v_cndmask_b32_e64 v61, v61, v58, s8
	v_cndmask_b32_e64 v58, v58, v57, s8
	;; [unrolled: 1-line block ×3, first 2 shown]
	v_cmp_lt_u16_e64 s9, v64, v63
	s_barrier_signal -1
	v_cmp_ge_i32_e64 s10, v61, v22
	s_barrier_wait -1
	v_cmp_lt_i32_e64 s11, v57, v23
	global_inv scope:SCOPE_SE
	ds_store_b8 v1, v53
	ds_store_b8 v1, v54 offset:1
	s_or_b32 s9, s10, s9
	s_wait_loadcnt_dscnt 0x0
	s_wait_alu 0xfffe
	s_and_b32 s9, s11, s9
	s_barrier_signal -1
	s_wait_alu 0xfffe
	v_cndmask_b32_e64 v54, v61, v57, s9
	s_barrier_wait -1
	global_inv scope:SCOPE_SE
	v_cndmask_b32_e64 v55, v55, v56, s8
	ds_load_u8 v53, v58
	ds_load_u8 v54, v54
	v_cndmask_b32_e64 v59, v59, v60, s9
	s_wait_loadcnt_dscnt 0x0
	s_barrier_signal -1
	s_barrier_wait -1
	global_inv scope:SCOPE_SE
	ds_store_b8 v1, v55
	ds_store_b8 v1, v59 offset:1
	v_mov_b32_e32 v55, v50
	s_wait_loadcnt_dscnt 0x0
	s_barrier_signal -1
	s_barrier_wait -1
	global_inv scope:SCOPE_SE
	s_and_saveexec_b32 s9, s6
	s_cbranch_execz .LBB113_54
; %bb.51:                               ;   in Loop: Header=BB113_2 Depth=1
	v_dual_mov_b32 v55, v50 :: v_dual_mov_b32 v56, v42
	s_mov_b32 s10, 0
.LBB113_52:                             ;   Parent Loop BB113_2 Depth=1
                                        ; =>  This Inner Loop Header: Depth=2
	s_delay_alu instid0(VALU_DEP_1) | instskip(NEXT) | instid1(VALU_DEP_1)
	v_sub_nc_u32_e32 v57, v56, v55
	v_lshrrev_b32_e32 v57, 1, v57
	s_delay_alu instid0(VALU_DEP_1) | instskip(NEXT) | instid1(VALU_DEP_1)
	v_add_nc_u32_e32 v57, v57, v55
	v_add_nc_u32_e32 v58, v8, v57
	v_xad_u32 v59, v57, -1, v34
	v_add_nc_u32_e32 v60, 1, v57
	ds_load_u8 v58, v58
	ds_load_u8 v59, v59
	s_wait_dscnt 0x0
	v_cmp_lt_u16_e64 s8, v59, v58
	s_wait_alu 0xf1ff
	s_delay_alu instid0(VALU_DEP_1) | instskip(SKIP_1) | instid1(VALU_DEP_1)
	v_cndmask_b32_e64 v56, v56, v57, s8
	v_cndmask_b32_e64 v55, v60, v55, s8
	v_cmp_ge_i32_e64 s8, v55, v56
	s_or_b32 s10, s8, s10
	s_delay_alu instid0(SALU_CYCLE_1)
	s_and_not1_b32 exec_lo, exec_lo, s10
	s_cbranch_execnz .LBB113_52
; %bb.53:                               ;   in Loop: Header=BB113_2 Depth=1
	s_or_b32 exec_lo, exec_lo, s10
.LBB113_54:                             ;   in Loop: Header=BB113_2 Depth=1
	s_wait_alu 0xfffe
	s_or_b32 exec_lo, exec_lo, s9
	v_add_nc_u32_e32 v58, v55, v8
	v_sub_nc_u32_e32 v57, v34, v55
	ds_load_u8 v55, v58
	ds_load_u8 v56, v57
	v_cmp_le_i32_e64 s8, v24, v58
	v_cmp_gt_i32_e64 s10, v25, v57
	s_wait_dscnt 0x1
	v_and_b32_e32 v59, 0xff, v55
	s_wait_dscnt 0x0
	v_and_b32_e32 v60, 0xff, v56
	s_delay_alu instid0(VALU_DEP_1)
	v_cmp_lt_u16_e64 s9, v60, v59
                                        ; implicit-def: $vgpr59
	s_or_b32 s8, s8, s9
	s_wait_alu 0xfffe
	s_and_b32 s8, s10, s8
	s_wait_alu 0xfffe
	s_xor_b32 s9, s8, -1
	s_wait_alu 0xfffe
	s_and_saveexec_b32 s10, s9
	s_delay_alu instid0(SALU_CYCLE_1)
	s_xor_b32 s9, exec_lo, s10
; %bb.55:                               ;   in Loop: Header=BB113_2 Depth=1
	ds_load_u8 v59, v58 offset:1
; %bb.56:                               ;   in Loop: Header=BB113_2 Depth=1
	s_wait_alu 0xfffe
	s_or_saveexec_b32 s9, s9
	v_mov_b32_e32 v60, v56
	s_wait_alu 0xfffe
	s_xor_b32 exec_lo, exec_lo, s9
	s_cbranch_execz .LBB113_58
; %bb.57:                               ;   in Loop: Header=BB113_2 Depth=1
	ds_load_u8 v60, v57 offset:1
	s_wait_dscnt 0x1
	v_mov_b32_e32 v59, v55
.LBB113_58:                             ;   in Loop: Header=BB113_2 Depth=1
	s_or_b32 exec_lo, exec_lo, s9
	v_add_nc_u32_e32 v61, 1, v58
	v_add_nc_u32_e32 v62, 1, v57
	s_wait_dscnt 0x0
	v_and_b32_e32 v63, 0xff, v59
	v_and_b32_e32 v64, 0xff, v60
	s_wait_loadcnt 0x0
	v_cndmask_b32_e64 v61, v61, v58, s8
	v_cndmask_b32_e64 v58, v58, v57, s8
	;; [unrolled: 1-line block ×3, first 2 shown]
	v_cmp_lt_u16_e64 s9, v64, v63
	s_barrier_signal -1
	v_cmp_ge_i32_e64 s10, v61, v24
	s_barrier_wait -1
	v_cmp_lt_i32_e64 s11, v57, v25
	global_inv scope:SCOPE_SE
	ds_store_b8 v1, v53
	ds_store_b8 v1, v54 offset:1
	s_or_b32 s9, s10, s9
	s_wait_loadcnt_dscnt 0x0
	s_wait_alu 0xfffe
	s_and_b32 s9, s11, s9
	s_barrier_signal -1
	s_wait_alu 0xfffe
	v_cndmask_b32_e64 v54, v61, v57, s9
	s_barrier_wait -1
	global_inv scope:SCOPE_SE
	v_cndmask_b32_e64 v55, v55, v56, s8
	ds_load_u8 v53, v58
	ds_load_u8 v54, v54
	v_cndmask_b32_e64 v59, v59, v60, s9
	s_wait_loadcnt_dscnt 0x0
	s_barrier_signal -1
	s_barrier_wait -1
	global_inv scope:SCOPE_SE
	ds_store_b8 v1, v55
	ds_store_b8 v1, v59 offset:1
	v_mov_b32_e32 v55, v51
	s_wait_loadcnt_dscnt 0x0
	s_barrier_signal -1
	s_barrier_wait -1
	global_inv scope:SCOPE_SE
	s_and_saveexec_b32 s9, s7
	s_cbranch_execz .LBB113_62
; %bb.59:                               ;   in Loop: Header=BB113_2 Depth=1
	v_dual_mov_b32 v55, v51 :: v_dual_mov_b32 v56, v43
	s_mov_b32 s10, 0
.LBB113_60:                             ;   Parent Loop BB113_2 Depth=1
                                        ; =>  This Inner Loop Header: Depth=2
	s_delay_alu instid0(VALU_DEP_1) | instskip(NEXT) | instid1(VALU_DEP_1)
	v_sub_nc_u32_e32 v57, v56, v55
	v_lshrrev_b32_e32 v57, 1, v57
	s_delay_alu instid0(VALU_DEP_1) | instskip(NEXT) | instid1(VALU_DEP_1)
	v_add_nc_u32_e32 v57, v57, v55
	v_add_nc_u32_e32 v58, v9, v57
	v_xad_u32 v59, v57, -1, v35
	v_add_nc_u32_e32 v60, 1, v57
	ds_load_u8 v58, v58
	ds_load_u8 v59, v59
	s_wait_dscnt 0x0
	v_cmp_lt_u16_e64 s8, v59, v58
	s_wait_alu 0xf1ff
	s_delay_alu instid0(VALU_DEP_1) | instskip(SKIP_1) | instid1(VALU_DEP_1)
	v_cndmask_b32_e64 v56, v56, v57, s8
	v_cndmask_b32_e64 v55, v60, v55, s8
	v_cmp_ge_i32_e64 s8, v55, v56
	s_or_b32 s10, s8, s10
	s_delay_alu instid0(SALU_CYCLE_1)
	s_and_not1_b32 exec_lo, exec_lo, s10
	s_cbranch_execnz .LBB113_60
; %bb.61:                               ;   in Loop: Header=BB113_2 Depth=1
	s_or_b32 exec_lo, exec_lo, s10
.LBB113_62:                             ;   in Loop: Header=BB113_2 Depth=1
	s_wait_alu 0xfffe
	s_or_b32 exec_lo, exec_lo, s9
	v_add_nc_u32_e32 v58, v55, v9
	v_sub_nc_u32_e32 v57, v35, v55
	ds_load_u8 v55, v58
	ds_load_u8 v56, v57
	v_cmp_le_i32_e64 s8, v26, v58
	v_cmp_gt_i32_e64 s10, v27, v57
	s_wait_dscnt 0x1
	v_and_b32_e32 v59, 0xff, v55
	s_wait_dscnt 0x0
	v_and_b32_e32 v60, 0xff, v56
	s_delay_alu instid0(VALU_DEP_1)
	v_cmp_lt_u16_e64 s9, v60, v59
                                        ; implicit-def: $vgpr59
	s_or_b32 s8, s8, s9
	s_wait_alu 0xfffe
	s_and_b32 s8, s10, s8
	s_wait_alu 0xfffe
	s_xor_b32 s9, s8, -1
	s_wait_alu 0xfffe
	s_and_saveexec_b32 s10, s9
	s_delay_alu instid0(SALU_CYCLE_1)
	s_xor_b32 s9, exec_lo, s10
; %bb.63:                               ;   in Loop: Header=BB113_2 Depth=1
	ds_load_u8 v59, v58 offset:1
; %bb.64:                               ;   in Loop: Header=BB113_2 Depth=1
	s_wait_alu 0xfffe
	s_or_saveexec_b32 s9, s9
	v_mov_b32_e32 v60, v56
	s_wait_alu 0xfffe
	s_xor_b32 exec_lo, exec_lo, s9
	s_cbranch_execz .LBB113_66
; %bb.65:                               ;   in Loop: Header=BB113_2 Depth=1
	ds_load_u8 v60, v57 offset:1
	s_wait_dscnt 0x1
	v_mov_b32_e32 v59, v55
.LBB113_66:                             ;   in Loop: Header=BB113_2 Depth=1
	s_or_b32 exec_lo, exec_lo, s9
	v_add_nc_u32_e32 v61, 1, v58
	v_add_nc_u32_e32 v62, 1, v57
	s_wait_dscnt 0x0
	v_and_b32_e32 v63, 0xff, v59
	v_and_b32_e32 v64, 0xff, v60
	s_wait_loadcnt 0x0
	v_cndmask_b32_e64 v61, v61, v58, s8
	v_cndmask_b32_e64 v58, v58, v57, s8
	;; [unrolled: 1-line block ×3, first 2 shown]
	v_cmp_lt_u16_e64 s9, v64, v63
	s_barrier_signal -1
	v_cmp_ge_i32_e64 s10, v61, v26
	s_barrier_wait -1
	v_cmp_lt_i32_e64 s11, v57, v27
	global_inv scope:SCOPE_SE
	ds_store_b8 v1, v53
	ds_store_b8 v1, v54 offset:1
	s_or_b32 s9, s10, s9
	s_wait_loadcnt_dscnt 0x0
	s_wait_alu 0xfffe
	s_and_b32 s9, s11, s9
	s_barrier_signal -1
	s_wait_alu 0xfffe
	v_cndmask_b32_e64 v54, v61, v57, s9
	s_barrier_wait -1
	global_inv scope:SCOPE_SE
	v_cndmask_b32_e64 v55, v55, v56, s8
	ds_load_u8 v53, v58
	ds_load_u8 v54, v54
	v_cndmask_b32_e64 v59, v59, v60, s9
	s_wait_loadcnt_dscnt 0x0
	s_barrier_signal -1
	s_barrier_wait -1
	global_inv scope:SCOPE_SE
	ds_store_b8 v1, v55
	ds_store_b8 v1, v59 offset:1
	v_mov_b32_e32 v55, v10
	s_wait_loadcnt_dscnt 0x0
	s_barrier_signal -1
	s_barrier_wait -1
	global_inv scope:SCOPE_SE
	s_and_saveexec_b32 s9, vcc_lo
	s_cbranch_execz .LBB113_70
; %bb.67:                               ;   in Loop: Header=BB113_2 Depth=1
	v_dual_mov_b32 v55, v10 :: v_dual_mov_b32 v56, v11
	s_mov_b32 s10, 0
.LBB113_68:                             ;   Parent Loop BB113_2 Depth=1
                                        ; =>  This Inner Loop Header: Depth=2
	s_delay_alu instid0(VALU_DEP_1) | instskip(NEXT) | instid1(VALU_DEP_1)
	v_sub_nc_u32_e32 v57, v56, v55
	v_lshrrev_b32_e32 v57, 1, v57
	s_delay_alu instid0(VALU_DEP_1) | instskip(NEXT) | instid1(VALU_DEP_1)
	v_add_nc_u32_e32 v57, v57, v55
	v_xad_u32 v58, v57, -1, v52
	v_add_nc_u32_e32 v60, 1, v57
	ds_load_u8 v59, v57
	ds_load_u8 v58, v58
	s_wait_dscnt 0x0
	v_cmp_lt_u16_e64 s8, v58, v59
	s_wait_alu 0xf1ff
	s_delay_alu instid0(VALU_DEP_1) | instskip(SKIP_1) | instid1(VALU_DEP_1)
	v_cndmask_b32_e64 v56, v56, v57, s8
	v_cndmask_b32_e64 v55, v60, v55, s8
	v_cmp_ge_i32_e64 s8, v55, v56
	s_or_b32 s10, s8, s10
	s_delay_alu instid0(SALU_CYCLE_1)
	s_and_not1_b32 exec_lo, exec_lo, s10
	s_cbranch_execnz .LBB113_68
; %bb.69:                               ;   in Loop: Header=BB113_2 Depth=1
	s_or_b32 exec_lo, exec_lo, s10
.LBB113_70:                             ;   in Loop: Header=BB113_2 Depth=1
	s_wait_alu 0xfffe
	s_or_b32 exec_lo, exec_lo, s9
	v_sub_nc_u32_e32 v56, v52, v55
	v_cmp_le_i32_e64 s8, 0x200, v55
	ds_load_u8 v57, v55
	ds_load_u8 v58, v56
	v_cmp_gt_i32_e64 s10, 0x400, v56
	s_wait_dscnt 0x1
	v_and_b32_e32 v59, 0xff, v57
	s_wait_dscnt 0x0
	v_and_b32_e32 v60, 0xff, v58
	s_delay_alu instid0(VALU_DEP_1)
	v_cmp_lt_u16_e64 s9, v60, v59
                                        ; implicit-def: $vgpr60
                                        ; implicit-def: $vgpr59
	s_or_b32 s8, s8, s9
	s_wait_alu 0xfffe
	s_and_b32 s8, s10, s8
	s_wait_alu 0xfffe
	s_xor_b32 s9, s8, -1
	s_wait_alu 0xfffe
	s_and_saveexec_b32 s10, s9
	s_delay_alu instid0(SALU_CYCLE_1)
	s_xor_b32 s9, exec_lo, s10
; %bb.71:                               ;   in Loop: Header=BB113_2 Depth=1
	ds_load_u8 v60, v55 offset:1
	v_add_nc_u32_e32 v59, 1, v55
; %bb.72:                               ;   in Loop: Header=BB113_2 Depth=1
	s_wait_alu 0xfffe
	s_or_saveexec_b32 s9, s9
	v_dual_mov_b32 v61, v55 :: v_dual_mov_b32 v62, v58
	s_wait_alu 0xfffe
	s_xor_b32 exec_lo, exec_lo, s9
	s_cbranch_execz .LBB113_1
; %bb.73:                               ;   in Loop: Header=BB113_2 Depth=1
	ds_load_u8 v62, v56 offset:1
	s_wait_dscnt 0x1
	v_dual_mov_b32 v61, v56 :: v_dual_add_nc_u32 v60, 1, v56
	s_delay_alu instid0(VALU_DEP_1)
	v_dual_mov_b32 v59, v55 :: v_dual_mov_b32 v56, v60
	v_mov_b32_e32 v60, v57
	s_branch .LBB113_1
.LBB113_74:
	s_add_nc_u64 s[0:1], s[14:15], s[16:17]
	s_wait_dscnt 0x1
	v_add_nc_u16 v2, v54, v56
	s_wait_alu 0xfffe
	v_add_co_u32 v0, s0, s0, v0
	s_wait_alu 0xf1ff
	v_add_co_ci_u32_e64 v1, null, s1, 0, s0
	s_wait_dscnt 0x0
	v_add_nc_u16 v3, v53, v55
	s_clause 0x1
	global_store_b8 v[0:1], v2, off
	global_store_b8 v[0:1], v3, off offset:512
	s_endpgm
	.section	.rodata,"a",@progbits
	.p2align	6, 0x0
	.amdhsa_kernel _Z17sort_pairs_kernelIhLj512ELj2EN10test_utils4lessELj10EEvPKT_PS2_T2_
		.amdhsa_group_segment_fixed_size 1025
		.amdhsa_private_segment_fixed_size 0
		.amdhsa_kernarg_size 20
		.amdhsa_user_sgpr_count 2
		.amdhsa_user_sgpr_dispatch_ptr 0
		.amdhsa_user_sgpr_queue_ptr 0
		.amdhsa_user_sgpr_kernarg_segment_ptr 1
		.amdhsa_user_sgpr_dispatch_id 0
		.amdhsa_user_sgpr_private_segment_size 0
		.amdhsa_wavefront_size32 1
		.amdhsa_uses_dynamic_stack 0
		.amdhsa_enable_private_segment 0
		.amdhsa_system_sgpr_workgroup_id_x 1
		.amdhsa_system_sgpr_workgroup_id_y 0
		.amdhsa_system_sgpr_workgroup_id_z 0
		.amdhsa_system_sgpr_workgroup_info 0
		.amdhsa_system_vgpr_workitem_id 0
		.amdhsa_next_free_vgpr 70
		.amdhsa_next_free_sgpr 18
		.amdhsa_reserve_vcc 1
		.amdhsa_float_round_mode_32 0
		.amdhsa_float_round_mode_16_64 0
		.amdhsa_float_denorm_mode_32 3
		.amdhsa_float_denorm_mode_16_64 3
		.amdhsa_fp16_overflow 0
		.amdhsa_workgroup_processor_mode 1
		.amdhsa_memory_ordered 1
		.amdhsa_forward_progress 1
		.amdhsa_inst_pref_size 48
		.amdhsa_round_robin_scheduling 0
		.amdhsa_exception_fp_ieee_invalid_op 0
		.amdhsa_exception_fp_denorm_src 0
		.amdhsa_exception_fp_ieee_div_zero 0
		.amdhsa_exception_fp_ieee_overflow 0
		.amdhsa_exception_fp_ieee_underflow 0
		.amdhsa_exception_fp_ieee_inexact 0
		.amdhsa_exception_int_div_zero 0
	.end_amdhsa_kernel
	.section	.text._Z17sort_pairs_kernelIhLj512ELj2EN10test_utils4lessELj10EEvPKT_PS2_T2_,"axG",@progbits,_Z17sort_pairs_kernelIhLj512ELj2EN10test_utils4lessELj10EEvPKT_PS2_T2_,comdat
.Lfunc_end113:
	.size	_Z17sort_pairs_kernelIhLj512ELj2EN10test_utils4lessELj10EEvPKT_PS2_T2_, .Lfunc_end113-_Z17sort_pairs_kernelIhLj512ELj2EN10test_utils4lessELj10EEvPKT_PS2_T2_
                                        ; -- End function
	.set _Z17sort_pairs_kernelIhLj512ELj2EN10test_utils4lessELj10EEvPKT_PS2_T2_.num_vgpr, 70
	.set _Z17sort_pairs_kernelIhLj512ELj2EN10test_utils4lessELj10EEvPKT_PS2_T2_.num_agpr, 0
	.set _Z17sort_pairs_kernelIhLj512ELj2EN10test_utils4lessELj10EEvPKT_PS2_T2_.numbered_sgpr, 18
	.set _Z17sort_pairs_kernelIhLj512ELj2EN10test_utils4lessELj10EEvPKT_PS2_T2_.num_named_barrier, 0
	.set _Z17sort_pairs_kernelIhLj512ELj2EN10test_utils4lessELj10EEvPKT_PS2_T2_.private_seg_size, 0
	.set _Z17sort_pairs_kernelIhLj512ELj2EN10test_utils4lessELj10EEvPKT_PS2_T2_.uses_vcc, 1
	.set _Z17sort_pairs_kernelIhLj512ELj2EN10test_utils4lessELj10EEvPKT_PS2_T2_.uses_flat_scratch, 0
	.set _Z17sort_pairs_kernelIhLj512ELj2EN10test_utils4lessELj10EEvPKT_PS2_T2_.has_dyn_sized_stack, 0
	.set _Z17sort_pairs_kernelIhLj512ELj2EN10test_utils4lessELj10EEvPKT_PS2_T2_.has_recursion, 0
	.set _Z17sort_pairs_kernelIhLj512ELj2EN10test_utils4lessELj10EEvPKT_PS2_T2_.has_indirect_call, 0
	.section	.AMDGPU.csdata,"",@progbits
; Kernel info:
; codeLenInByte = 6048
; TotalNumSgprs: 20
; NumVgprs: 70
; ScratchSize: 0
; MemoryBound: 0
; FloatMode: 240
; IeeeMode: 1
; LDSByteSize: 1025 bytes/workgroup (compile time only)
; SGPRBlocks: 0
; VGPRBlocks: 8
; NumSGPRsForWavesPerEU: 20
; NumVGPRsForWavesPerEU: 70
; Occupancy: 16
; WaveLimiterHint : 1
; COMPUTE_PGM_RSRC2:SCRATCH_EN: 0
; COMPUTE_PGM_RSRC2:USER_SGPR: 2
; COMPUTE_PGM_RSRC2:TRAP_HANDLER: 0
; COMPUTE_PGM_RSRC2:TGID_X_EN: 1
; COMPUTE_PGM_RSRC2:TGID_Y_EN: 0
; COMPUTE_PGM_RSRC2:TGID_Z_EN: 0
; COMPUTE_PGM_RSRC2:TIDIG_COMP_CNT: 0
	.section	.text._Z16sort_keys_kernelIhLj512ELj3EN10test_utils4lessELj10EEvPKT_PS2_T2_,"axG",@progbits,_Z16sort_keys_kernelIhLj512ELj3EN10test_utils4lessELj10EEvPKT_PS2_T2_,comdat
	.protected	_Z16sort_keys_kernelIhLj512ELj3EN10test_utils4lessELj10EEvPKT_PS2_T2_ ; -- Begin function _Z16sort_keys_kernelIhLj512ELj3EN10test_utils4lessELj10EEvPKT_PS2_T2_
	.globl	_Z16sort_keys_kernelIhLj512ELj3EN10test_utils4lessELj10EEvPKT_PS2_T2_
	.p2align	8
	.type	_Z16sort_keys_kernelIhLj512ELj3EN10test_utils4lessELj10EEvPKT_PS2_T2_,@function
_Z16sort_keys_kernelIhLj512ELj3EN10test_utils4lessELj10EEvPKT_PS2_T2_: ; @_Z16sort_keys_kernelIhLj512ELj3EN10test_utils4lessELj10EEvPKT_PS2_T2_
; %bb.0:
	s_load_b128 s[12:15], s[0:1], 0x0
	s_mul_i32 s16, ttmp9, 0x600
	s_mov_b32 s17, 0
	v_and_b32_e32 v3, 0x1fe, v0
	v_and_b32_e32 v5, 0x1fc, v0
	;; [unrolled: 1-line block ×5, first 2 shown]
	v_mul_u32_u24_e32 v12, 3, v3
	v_and_b32_e32 v8, 0x1e0, v0
	v_mul_u32_u24_e32 v13, 3, v5
	v_mul_u32_u24_e32 v14, 3, v6
	v_and_b32_e32 v9, 0x1c0, v0
	v_min_u32_e32 v29, 0x5fd, v12
	v_min_u32_e32 v20, 0x5fa, v12
	v_and_b32_e32 v10, 0x180, v0
	v_cmp_eq_u32_e32 vcc_lo, 1, v4
	v_mul_u32_u24_e32 v15, 3, v7
	v_mul_u32_u24_e32 v16, 3, v8
	v_min_u32_e32 v6, 0x600, v13
	s_wait_kmcnt 0x0
	s_add_nc_u64 s[0:1], s[12:13], s[16:17]
	v_min_u32_e32 v30, 0x5fa, v13
	s_clause 0x2
	global_load_u8 v60, v0, s[0:1] offset:512
	global_load_u8 v61, v0, s[0:1] offset:1024
	global_load_u8 v62, v0, s[0:1]
	v_min_u32_e32 v21, 0x5f4, v13
	v_min_u32_e32 v7, 0x600, v14
	;; [unrolled: 1-line block ×4, first 2 shown]
	v_add_nc_u32_e32 v13, 3, v29
	v_add_nc_u32_e32 v14, 6, v20
	v_and_b32_e32 v37, 3, v0
	v_and_b32_e32 v11, 0x100, v0
	v_cndmask_b32_e64 v52, 0, 3, vcc_lo
	v_mul_u32_u24_e32 v17, 3, v9
	v_mul_u32_u24_e32 v18, 3, v10
	v_min_u32_e32 v5, 0x600, v12
	v_min_u32_e32 v8, 0x600, v15
	;; [unrolled: 1-line block ×7, first 2 shown]
	v_add_nc_u32_e32 v15, 6, v30
	v_add_nc_u32_e32 v16, 12, v21
	v_sub_nc_u32_e32 v63, v14, v13
	v_and_b32_e32 v38, 7, v0
	v_mul_u32_u24_e32 v53, 3, v37
	v_mul_u32_u24_e32 v19, 3, v11
	v_min_u32_e32 v10, 0x600, v17
	v_min_u32_e32 v34, 0x5a0, v17
	;; [unrolled: 1-line block ×6, first 2 shown]
	v_add_nc_u32_e32 v17, 12, v31
	v_add_nc_u32_e32 v18, 24, v22
	v_sub_nc_u32_e32 v44, v13, v5
	v_sub_nc_u32_e32 v66, v16, v15
	;; [unrolled: 1-line block ×3, first 2 shown]
	v_cmp_ge_i32_e64 s0, v52, v63
	v_and_b32_e32 v39, 15, v0
	v_mul_u32_u24_e32 v54, 3, v38
	v_min_u32_e32 v12, 0x600, v19
	v_min_u32_e32 v65, 0x480, v19
	;; [unrolled: 1-line block ×3, first 2 shown]
	v_add_nc_u32_e32 v19, 24, v32
	v_add_nc_u32_e32 v20, 48, v23
	;; [unrolled: 1-line block ×4, first 2 shown]
	v_sub_nc_u32_e32 v45, v15, v6
	v_sub_nc_u32_e32 v67, v18, v17
	v_min_i32_e32 v44, v52, v44
	v_sub_nc_u32_e32 v74, v53, v66
	v_cndmask_b32_e64 v52, 0, v73, s0
	v_cmp_ge_i32_e64 s0, v53, v66
	v_and_b32_e32 v40, 31, v0
	v_mul_u32_u24_e32 v55, 3, v39
	v_add_nc_u32_e32 v21, 48, v33
	v_add_nc_u32_e32 v22, 0x60, v24
	v_sub_nc_u32_e32 v46, v17, v7
	v_sub_nc_u32_e32 v68, v20, v19
	v_min_i32_e32 v45, v53, v45
	v_sub_nc_u32_e32 v75, v54, v67
	s_wait_alu 0xf1ff
	v_cndmask_b32_e64 v53, 0, v74, s0
	v_cmp_ge_i32_e64 s0, v54, v67
	v_and_b32_e32 v41, 63, v0
	v_mul_u32_u24_e32 v56, 3, v40
	v_add_nc_u32_e32 v23, 0x60, v34
	v_add_nc_u32_e32 v24, 0xc0, v25
	v_sub_nc_u32_e32 v47, v19, v8
	v_sub_nc_u32_e32 v69, v22, v21
	v_min_i32_e32 v46, v54, v46
	v_sub_nc_u32_e32 v76, v55, v68
	s_wait_alu 0xf1ff
	;; [unrolled: 11-line block ×4, first 2 shown]
	v_cndmask_b32_e64 v56, 0, v77, s0
	v_cmp_ge_i32_e64 s0, v57, v70
	v_mul_u32_u24_e32 v59, 3, v64
	v_sub_nc_u32_e32 v50, v25, v11
	v_sub_nc_u32_e32 v72, v28, v27
	v_min_i32_e32 v49, v57, v49
	v_sub_nc_u32_e32 v79, v58, v71
	s_wait_alu 0xf1ff
	v_cndmask_b32_e64 v57, 0, v78, s0
	v_cmp_ge_i32_e64 s0, v58, v71
	v_sub_nc_u32_e32 v51, v27, v12
	v_min_i32_e32 v50, v58, v50
	v_sub_nc_u32_e32 v80, v59, v72
	v_mul_u32_u24_e32 v1, 3, v0
	s_wait_alu 0xf1ff
	v_cndmask_b32_e64 v58, 0, v79, s0
	v_cmp_ge_i32_e64 s0, v59, v72
	v_min_i32_e32 v51, v59, v51
	v_mad_u32_u24 v2, v0, 3, 0x300
	v_subrev_nc_u32_e64 v3, 0x300, v1 clamp
	v_min_i32_e32 v4, 0x300, v1
	s_wait_alu 0xf1ff
	v_cndmask_b32_e64 v59, 0, v80, s0
	v_mad_u32_u24 v30, v37, 3, v30
	v_mad_u32_u24 v31, v38, 3, v31
	;; [unrolled: 1-line block ×13, first 2 shown]
	v_cmp_lt_i32_e64 s0, v52, v44
	v_cmp_lt_i32_e64 s1, v53, v45
	;; [unrolled: 1-line block ×8, first 2 shown]
	s_mov_b32 s12, s17
	v_cmp_lt_i32_e32 vcc_lo, v3, v4
	s_wait_loadcnt 0x0
	v_perm_b32 v60, v62, v60, 0xc0c0004
	s_delay_alu instid0(VALU_DEP_1)
	v_lshl_or_b32 v63, v61, 16, v60
	v_mad_u32_u24 v60, v64, 3, v65
	s_branch .LBB114_2
.LBB114_1:                              ;   in Loop: Header=BB114_2 Depth=1
	s_or_b32 exec_lo, exec_lo, s10
	s_wait_dscnt 0x0
	v_and_b32_e32 v68, 0xff, v66
	v_and_b32_e32 v70, 0xff, v69
	v_cndmask_b32_e64 v64, v64, v65, s9
	v_cmp_le_i32_e64 s9, 0x300, v67
	v_cndmask_b32_e64 v61, v61, v62, s8
	v_cmp_gt_i32_e64 s8, 0x600, v63
	v_cmp_lt_u16_e64 s10, v70, v68
	v_lshlrev_b16 v63, 8, v64
	s_add_co_i32 s12, s12, 1
	v_and_b32_e32 v65, 0xff, v61
	s_or_b32 s9, s9, s10
	s_wait_alu 0xfffe
	s_and_b32 s8, s8, s9
	s_delay_alu instid0(VALU_DEP_1) | instskip(SKIP_3) | instid1(VALU_DEP_2)
	v_or_b32_e32 v63, v65, v63
	s_wait_alu 0xfffe
	v_cndmask_b32_e64 v62, v66, v69, s8
	s_cmp_eq_u32 s12, 10
	v_and_b32_e32 v63, 0xffff, v63
	s_delay_alu instid0(VALU_DEP_2) | instskip(NEXT) | instid1(VALU_DEP_1)
	v_and_b32_e32 v65, 0xff, v62
	v_lshlrev_b32_e32 v65, 16, v65
	s_delay_alu instid0(VALU_DEP_1)
	v_or_b32_e32 v63, v63, v65
	s_cbranch_scc1 .LBB114_110
.LBB114_2:                              ; =>This Loop Header: Depth=1
                                        ;     Child Loop BB114_4 Depth 2
                                        ;     Child Loop BB114_16 Depth 2
	;; [unrolled: 1-line block ×9, first 2 shown]
	s_delay_alu instid0(VALU_DEP_1) | instskip(SKIP_3) | instid1(VALU_DEP_3)
	v_lshrrev_b32_e32 v61, 8, v63
	v_and_b32_e32 v62, 0xff, v63
	v_perm_b32 v64, v63, v63, 0x7060405
	s_barrier_signal -1
	v_and_b32_e32 v61, 0xff, v61
	s_barrier_wait -1
	global_inv scope:SCOPE_SE
	v_cmp_lt_u16_e64 s8, v61, v62
	v_max_u16 v65, v61, v62
	v_min_u16 v61, v61, v62
	s_wait_alu 0xf1ff
	s_delay_alu instid0(VALU_DEP_3) | instskip(NEXT) | instid1(VALU_DEP_1)
	v_cndmask_b32_e64 v63, v63, v64, s8
	v_lshrrev_b32_e32 v64, 16, v63
	v_and_b32_e32 v66, 0xff, v63
	s_delay_alu instid0(VALU_DEP_2) | instskip(SKIP_2) | instid1(VALU_DEP_3)
	v_lshlrev_b16 v67, 8, v64
	v_and_b32_e32 v68, 0xffffff00, v64
	v_and_b32_e32 v62, 0xff, v64
	v_or_b32_e32 v64, v66, v67
	s_delay_alu instid0(VALU_DEP_3) | instskip(SKIP_1) | instid1(VALU_DEP_4)
	v_or_b32_e32 v66, v65, v68
	v_lshlrev_b16 v67, 8, v61
	v_min_u16 v68, v62, v65
	v_cmp_lt_u16_e64 s8, v62, v65
	v_and_b32_e32 v64, 0xffff, v64
	v_lshlrev_b32_e32 v66, 16, v66
	s_delay_alu instid0(VALU_DEP_4) | instskip(NEXT) | instid1(VALU_DEP_2)
	v_or_b32_e32 v67, v68, v67
	v_or_b32_e32 v64, v64, v66
	s_delay_alu instid0(VALU_DEP_2) | instskip(SKIP_1) | instid1(VALU_DEP_2)
	v_and_b32_e32 v66, 0xffff, v67
	s_wait_alu 0xf1ff
	v_cndmask_b32_e64 v63, v63, v64, s8
	v_cmp_lt_u16_e64 s8, v62, v61
	s_delay_alu instid0(VALU_DEP_2) | instskip(SKIP_1) | instid1(VALU_DEP_1)
	v_and_or_b32 v64, 0xffff0000, v63, v66
	s_wait_alu 0xf1ff
	v_cndmask_b32_e64 v61, v63, v64, s8
	v_mov_b32_e32 v63, v52
	s_delay_alu instid0(VALU_DEP_2)
	v_lshrrev_b32_e32 v62, 8, v61
	ds_store_b8 v1, v61
	ds_store_b8 v1, v62 offset:1
	ds_store_b8_d16_hi v1, v61 offset:2
	s_wait_loadcnt_dscnt 0x0
	s_barrier_signal -1
	s_barrier_wait -1
	global_inv scope:SCOPE_SE
	s_and_saveexec_b32 s9, s0
	s_cbranch_execz .LBB114_6
; %bb.3:                                ;   in Loop: Header=BB114_2 Depth=1
	v_mov_b32_e32 v63, v52
	v_mov_b32_e32 v61, v44
	s_mov_b32 s10, 0
.LBB114_4:                              ;   Parent Loop BB114_2 Depth=1
                                        ; =>  This Inner Loop Header: Depth=2
	s_delay_alu instid0(VALU_DEP_1) | instskip(NEXT) | instid1(VALU_DEP_1)
	v_sub_nc_u32_e32 v62, v61, v63
	v_lshrrev_b32_e32 v62, 1, v62
	s_delay_alu instid0(VALU_DEP_1) | instskip(NEXT) | instid1(VALU_DEP_1)
	v_add_nc_u32_e32 v62, v62, v63
	v_add_nc_u32_e32 v64, v5, v62
	v_xad_u32 v65, v62, -1, v29
	v_add_nc_u32_e32 v66, 1, v62
	ds_load_u8 v64, v64
	ds_load_u8 v65, v65 offset:3
	s_wait_dscnt 0x0
	v_cmp_lt_u16_e64 s8, v65, v64
	s_wait_alu 0xf1ff
	s_delay_alu instid0(VALU_DEP_1) | instskip(SKIP_1) | instid1(VALU_DEP_1)
	v_cndmask_b32_e64 v61, v61, v62, s8
	v_cndmask_b32_e64 v63, v66, v63, s8
	v_cmp_ge_i32_e64 s8, v63, v61
	s_or_b32 s10, s8, s10
	s_delay_alu instid0(SALU_CYCLE_1)
	s_and_not1_b32 exec_lo, exec_lo, s10
	s_cbranch_execnz .LBB114_4
; %bb.5:                                ;   in Loop: Header=BB114_2 Depth=1
	s_or_b32 exec_lo, exec_lo, s10
.LBB114_6:                              ;   in Loop: Header=BB114_2 Depth=1
	s_wait_alu 0xfffe
	s_or_b32 exec_lo, exec_lo, s9
	v_add_nc_u32_e32 v65, v63, v5
	v_sub_nc_u32_e32 v67, v29, v63
	v_sub_nc_u32_e32 v66, v36, v63
                                        ; implicit-def: $vgpr63
	ds_load_u8 v61, v65
	ds_load_u8 v62, v67 offset:3
	v_cmp_le_i32_e64 s8, v13, v65
	v_cmp_gt_i32_e64 s10, v14, v66
	s_wait_dscnt 0x1
	v_and_b32_e32 v64, 0xff, v61
	s_wait_dscnt 0x0
	v_and_b32_e32 v68, 0xff, v62
	s_delay_alu instid0(VALU_DEP_1)
	v_cmp_lt_u16_e64 s9, v68, v64
	s_or_b32 s8, s8, s9
	s_wait_alu 0xfffe
	s_and_b32 s8, s10, s8
	s_wait_alu 0xfffe
	s_xor_b32 s9, s8, -1
	s_wait_alu 0xfffe
	s_and_saveexec_b32 s10, s9
	s_delay_alu instid0(SALU_CYCLE_1)
	s_xor_b32 s9, exec_lo, s10
; %bb.7:                                ;   in Loop: Header=BB114_2 Depth=1
	ds_load_u8 v63, v65 offset:1
                                        ; implicit-def: $vgpr67
; %bb.8:                                ;   in Loop: Header=BB114_2 Depth=1
	s_wait_alu 0xfffe
	s_or_saveexec_b32 s9, s9
	v_mov_b32_e32 v64, v62
	s_wait_alu 0xfffe
	s_xor_b32 exec_lo, exec_lo, s9
	s_cbranch_execz .LBB114_10
; %bb.9:                                ;   in Loop: Header=BB114_2 Depth=1
	ds_load_u8 v64, v67 offset:4
	s_wait_dscnt 0x1
	v_mov_b32_e32 v63, v61
.LBB114_10:                             ;   in Loop: Header=BB114_2 Depth=1
	s_or_b32 exec_lo, exec_lo, s9
	v_add_nc_u32_e32 v67, 1, v65
	v_add_nc_u32_e32 v68, 1, v66
	s_wait_dscnt 0x0
	v_and_b32_e32 v69, 0xff, v63
	s_delay_alu instid0(VALU_DEP_3) | instskip(SKIP_2) | instid1(VALU_DEP_3)
	v_cndmask_b32_e64 v67, v67, v65, s8
	v_and_b32_e32 v65, 0xff, v64
	v_cndmask_b32_e64 v66, v66, v68, s8
	v_cmp_ge_i32_e64 s9, v67, v13
	s_delay_alu instid0(VALU_DEP_3) | instskip(NEXT) | instid1(VALU_DEP_3)
	v_cmp_lt_u16_e64 s10, v65, v69
	v_cmp_lt_i32_e64 s11, v66, v14
                                        ; implicit-def: $vgpr65
	s_or_b32 s9, s9, s10
	s_wait_alu 0xfffe
	s_and_b32 s9, s11, s9
	s_wait_alu 0xfffe
	s_xor_b32 s10, s9, -1
	s_delay_alu instid0(SALU_CYCLE_1) | instskip(NEXT) | instid1(SALU_CYCLE_1)
	s_and_saveexec_b32 s11, s10
	s_xor_b32 s10, exec_lo, s11
; %bb.11:                               ;   in Loop: Header=BB114_2 Depth=1
	ds_load_u8 v65, v67 offset:1
; %bb.12:                               ;   in Loop: Header=BB114_2 Depth=1
	s_or_saveexec_b32 s10, s10
	v_mov_b32_e32 v68, v64
	s_xor_b32 exec_lo, exec_lo, s10
	s_cbranch_execz .LBB114_14
; %bb.13:                               ;   in Loop: Header=BB114_2 Depth=1
	ds_load_u8 v68, v66 offset:1
	s_wait_dscnt 0x1
	v_mov_b32_e32 v65, v63
.LBB114_14:                             ;   in Loop: Header=BB114_2 Depth=1
	s_or_b32 exec_lo, exec_lo, s10
	v_add_nc_u32_e32 v69, 1, v67
	v_add_nc_u32_e32 v70, 1, v66
	s_wait_dscnt 0x0
	v_and_b32_e32 v71, 0xff, v65
	v_and_b32_e32 v72, 0xff, v68
	v_cndmask_b32_e64 v64, v63, v64, s9
	v_cndmask_b32_e64 v67, v69, v67, s9
	v_mov_b32_e32 v63, v53
	v_cndmask_b32_e64 v66, v66, v70, s9
	v_cmp_lt_u16_e64 s9, v72, v71
	v_cndmask_b32_e64 v61, v61, v62, s8
	v_cmp_ge_i32_e64 s10, v67, v13
	s_wait_loadcnt 0x0
	v_cmp_lt_i32_e64 s8, v66, v14
	s_barrier_signal -1
	s_barrier_wait -1
	s_or_b32 s9, s10, s9
	global_inv scope:SCOPE_SE
	s_wait_alu 0xfffe
	s_and_b32 s8, s8, s9
	s_wait_alu 0xfffe
	v_cndmask_b32_e64 v62, v65, v68, s8
	ds_store_b8 v1, v61
	ds_store_b8 v1, v64 offset:1
	ds_store_b8 v1, v62 offset:2
	s_wait_loadcnt_dscnt 0x0
	s_barrier_signal -1
	s_barrier_wait -1
	global_inv scope:SCOPE_SE
	s_and_saveexec_b32 s9, s1
	s_cbranch_execz .LBB114_18
; %bb.15:                               ;   in Loop: Header=BB114_2 Depth=1
	v_mov_b32_e32 v63, v53
	v_mov_b32_e32 v61, v45
	s_mov_b32 s10, 0
.LBB114_16:                             ;   Parent Loop BB114_2 Depth=1
                                        ; =>  This Inner Loop Header: Depth=2
	s_delay_alu instid0(VALU_DEP_1) | instskip(NEXT) | instid1(VALU_DEP_1)
	v_sub_nc_u32_e32 v62, v61, v63
	v_lshrrev_b32_e32 v62, 1, v62
	s_delay_alu instid0(VALU_DEP_1) | instskip(NEXT) | instid1(VALU_DEP_1)
	v_add_nc_u32_e32 v62, v62, v63
	v_add_nc_u32_e32 v64, v6, v62
	v_xad_u32 v65, v62, -1, v30
	v_add_nc_u32_e32 v66, 1, v62
	ds_load_u8 v64, v64
	ds_load_u8 v65, v65 offset:6
	s_wait_dscnt 0x0
	v_cmp_lt_u16_e64 s8, v65, v64
	s_wait_alu 0xf1ff
	s_delay_alu instid0(VALU_DEP_1) | instskip(SKIP_1) | instid1(VALU_DEP_1)
	v_cndmask_b32_e64 v61, v61, v62, s8
	v_cndmask_b32_e64 v63, v66, v63, s8
	v_cmp_ge_i32_e64 s8, v63, v61
	s_or_b32 s10, s8, s10
	s_delay_alu instid0(SALU_CYCLE_1)
	s_and_not1_b32 exec_lo, exec_lo, s10
	s_cbranch_execnz .LBB114_16
; %bb.17:                               ;   in Loop: Header=BB114_2 Depth=1
	s_or_b32 exec_lo, exec_lo, s10
.LBB114_18:                             ;   in Loop: Header=BB114_2 Depth=1
	s_wait_alu 0xfffe
	s_or_b32 exec_lo, exec_lo, s9
	v_add_nc_u32_e32 v65, v63, v6
	v_sub_nc_u32_e32 v67, v30, v63
	v_sub_nc_u32_e32 v66, v37, v63
                                        ; implicit-def: $vgpr63
	ds_load_u8 v61, v65
	ds_load_u8 v62, v67 offset:6
	v_cmp_le_i32_e64 s8, v15, v65
	v_cmp_gt_i32_e64 s10, v16, v66
	s_wait_dscnt 0x1
	v_and_b32_e32 v64, 0xff, v61
	s_wait_dscnt 0x0
	v_and_b32_e32 v68, 0xff, v62
	s_delay_alu instid0(VALU_DEP_1)
	v_cmp_lt_u16_e64 s9, v68, v64
	s_or_b32 s8, s8, s9
	s_wait_alu 0xfffe
	s_and_b32 s8, s10, s8
	s_wait_alu 0xfffe
	s_xor_b32 s9, s8, -1
	s_wait_alu 0xfffe
	s_and_saveexec_b32 s10, s9
	s_delay_alu instid0(SALU_CYCLE_1)
	s_xor_b32 s9, exec_lo, s10
; %bb.19:                               ;   in Loop: Header=BB114_2 Depth=1
	ds_load_u8 v63, v65 offset:1
                                        ; implicit-def: $vgpr67
; %bb.20:                               ;   in Loop: Header=BB114_2 Depth=1
	s_wait_alu 0xfffe
	s_or_saveexec_b32 s9, s9
	v_mov_b32_e32 v64, v62
	s_wait_alu 0xfffe
	s_xor_b32 exec_lo, exec_lo, s9
	s_cbranch_execz .LBB114_22
; %bb.21:                               ;   in Loop: Header=BB114_2 Depth=1
	ds_load_u8 v64, v67 offset:7
	s_wait_dscnt 0x1
	v_mov_b32_e32 v63, v61
.LBB114_22:                             ;   in Loop: Header=BB114_2 Depth=1
	s_or_b32 exec_lo, exec_lo, s9
	v_add_nc_u32_e32 v67, 1, v65
	v_add_nc_u32_e32 v68, 1, v66
	s_wait_dscnt 0x0
	v_and_b32_e32 v69, 0xff, v63
	s_delay_alu instid0(VALU_DEP_3) | instskip(SKIP_2) | instid1(VALU_DEP_3)
	v_cndmask_b32_e64 v67, v67, v65, s8
	v_and_b32_e32 v65, 0xff, v64
	v_cndmask_b32_e64 v66, v66, v68, s8
	v_cmp_ge_i32_e64 s9, v67, v15
	s_delay_alu instid0(VALU_DEP_3) | instskip(NEXT) | instid1(VALU_DEP_3)
	v_cmp_lt_u16_e64 s10, v65, v69
	v_cmp_lt_i32_e64 s11, v66, v16
                                        ; implicit-def: $vgpr65
	s_or_b32 s9, s9, s10
	s_wait_alu 0xfffe
	s_and_b32 s9, s11, s9
	s_wait_alu 0xfffe
	s_xor_b32 s10, s9, -1
	s_delay_alu instid0(SALU_CYCLE_1) | instskip(NEXT) | instid1(SALU_CYCLE_1)
	s_and_saveexec_b32 s11, s10
	s_xor_b32 s10, exec_lo, s11
; %bb.23:                               ;   in Loop: Header=BB114_2 Depth=1
	ds_load_u8 v65, v67 offset:1
; %bb.24:                               ;   in Loop: Header=BB114_2 Depth=1
	s_or_saveexec_b32 s10, s10
	v_mov_b32_e32 v68, v64
	s_xor_b32 exec_lo, exec_lo, s10
	s_cbranch_execz .LBB114_26
; %bb.25:                               ;   in Loop: Header=BB114_2 Depth=1
	ds_load_u8 v68, v66 offset:1
	s_wait_dscnt 0x1
	v_mov_b32_e32 v65, v63
.LBB114_26:                             ;   in Loop: Header=BB114_2 Depth=1
	s_or_b32 exec_lo, exec_lo, s10
	v_add_nc_u32_e32 v69, 1, v67
	v_add_nc_u32_e32 v70, 1, v66
	s_wait_dscnt 0x0
	v_and_b32_e32 v71, 0xff, v65
	v_and_b32_e32 v72, 0xff, v68
	v_cndmask_b32_e64 v64, v63, v64, s9
	v_cndmask_b32_e64 v67, v69, v67, s9
	v_mov_b32_e32 v63, v54
	v_cndmask_b32_e64 v66, v66, v70, s9
	v_cmp_lt_u16_e64 s9, v72, v71
	v_cndmask_b32_e64 v61, v61, v62, s8
	v_cmp_ge_i32_e64 s10, v67, v15
	s_wait_loadcnt 0x0
	v_cmp_lt_i32_e64 s8, v66, v16
	s_barrier_signal -1
	s_barrier_wait -1
	s_or_b32 s9, s10, s9
	global_inv scope:SCOPE_SE
	s_wait_alu 0xfffe
	s_and_b32 s8, s8, s9
	s_wait_alu 0xfffe
	v_cndmask_b32_e64 v62, v65, v68, s8
	ds_store_b8 v1, v61
	ds_store_b8 v1, v64 offset:1
	ds_store_b8 v1, v62 offset:2
	s_wait_loadcnt_dscnt 0x0
	s_barrier_signal -1
	s_barrier_wait -1
	global_inv scope:SCOPE_SE
	s_and_saveexec_b32 s9, s2
	s_cbranch_execz .LBB114_30
; %bb.27:                               ;   in Loop: Header=BB114_2 Depth=1
	v_mov_b32_e32 v63, v54
	v_mov_b32_e32 v61, v46
	s_mov_b32 s10, 0
.LBB114_28:                             ;   Parent Loop BB114_2 Depth=1
                                        ; =>  This Inner Loop Header: Depth=2
	s_delay_alu instid0(VALU_DEP_1) | instskip(NEXT) | instid1(VALU_DEP_1)
	v_sub_nc_u32_e32 v62, v61, v63
	v_lshrrev_b32_e32 v62, 1, v62
	s_delay_alu instid0(VALU_DEP_1) | instskip(NEXT) | instid1(VALU_DEP_1)
	v_add_nc_u32_e32 v62, v62, v63
	v_add_nc_u32_e32 v64, v7, v62
	v_xad_u32 v65, v62, -1, v31
	v_add_nc_u32_e32 v66, 1, v62
	ds_load_u8 v64, v64
	ds_load_u8 v65, v65 offset:12
	s_wait_dscnt 0x0
	v_cmp_lt_u16_e64 s8, v65, v64
	s_wait_alu 0xf1ff
	s_delay_alu instid0(VALU_DEP_1) | instskip(SKIP_1) | instid1(VALU_DEP_1)
	v_cndmask_b32_e64 v61, v61, v62, s8
	v_cndmask_b32_e64 v63, v66, v63, s8
	v_cmp_ge_i32_e64 s8, v63, v61
	s_or_b32 s10, s8, s10
	s_delay_alu instid0(SALU_CYCLE_1)
	s_and_not1_b32 exec_lo, exec_lo, s10
	s_cbranch_execnz .LBB114_28
; %bb.29:                               ;   in Loop: Header=BB114_2 Depth=1
	s_or_b32 exec_lo, exec_lo, s10
.LBB114_30:                             ;   in Loop: Header=BB114_2 Depth=1
	s_wait_alu 0xfffe
	s_or_b32 exec_lo, exec_lo, s9
	v_add_nc_u32_e32 v65, v63, v7
	v_sub_nc_u32_e32 v67, v31, v63
	v_sub_nc_u32_e32 v66, v38, v63
                                        ; implicit-def: $vgpr63
	ds_load_u8 v61, v65
	ds_load_u8 v62, v67 offset:12
	v_cmp_le_i32_e64 s8, v17, v65
	v_cmp_gt_i32_e64 s10, v18, v66
	s_wait_dscnt 0x1
	v_and_b32_e32 v64, 0xff, v61
	s_wait_dscnt 0x0
	v_and_b32_e32 v68, 0xff, v62
	s_delay_alu instid0(VALU_DEP_1)
	v_cmp_lt_u16_e64 s9, v68, v64
	s_or_b32 s8, s8, s9
	s_wait_alu 0xfffe
	s_and_b32 s8, s10, s8
	s_wait_alu 0xfffe
	s_xor_b32 s9, s8, -1
	s_wait_alu 0xfffe
	s_and_saveexec_b32 s10, s9
	s_delay_alu instid0(SALU_CYCLE_1)
	s_xor_b32 s9, exec_lo, s10
; %bb.31:                               ;   in Loop: Header=BB114_2 Depth=1
	ds_load_u8 v63, v65 offset:1
                                        ; implicit-def: $vgpr67
; %bb.32:                               ;   in Loop: Header=BB114_2 Depth=1
	s_wait_alu 0xfffe
	s_or_saveexec_b32 s9, s9
	v_mov_b32_e32 v64, v62
	s_wait_alu 0xfffe
	s_xor_b32 exec_lo, exec_lo, s9
	s_cbranch_execz .LBB114_34
; %bb.33:                               ;   in Loop: Header=BB114_2 Depth=1
	ds_load_u8 v64, v67 offset:13
	s_wait_dscnt 0x1
	v_mov_b32_e32 v63, v61
.LBB114_34:                             ;   in Loop: Header=BB114_2 Depth=1
	s_or_b32 exec_lo, exec_lo, s9
	v_add_nc_u32_e32 v67, 1, v65
	v_add_nc_u32_e32 v68, 1, v66
	s_wait_dscnt 0x0
	v_and_b32_e32 v69, 0xff, v63
	s_delay_alu instid0(VALU_DEP_3) | instskip(SKIP_2) | instid1(VALU_DEP_3)
	v_cndmask_b32_e64 v67, v67, v65, s8
	v_and_b32_e32 v65, 0xff, v64
	v_cndmask_b32_e64 v66, v66, v68, s8
	v_cmp_ge_i32_e64 s9, v67, v17
	s_delay_alu instid0(VALU_DEP_3) | instskip(NEXT) | instid1(VALU_DEP_3)
	v_cmp_lt_u16_e64 s10, v65, v69
	v_cmp_lt_i32_e64 s11, v66, v18
                                        ; implicit-def: $vgpr65
	s_or_b32 s9, s9, s10
	s_wait_alu 0xfffe
	s_and_b32 s9, s11, s9
	s_wait_alu 0xfffe
	s_xor_b32 s10, s9, -1
	s_delay_alu instid0(SALU_CYCLE_1) | instskip(NEXT) | instid1(SALU_CYCLE_1)
	s_and_saveexec_b32 s11, s10
	s_xor_b32 s10, exec_lo, s11
; %bb.35:                               ;   in Loop: Header=BB114_2 Depth=1
	ds_load_u8 v65, v67 offset:1
; %bb.36:                               ;   in Loop: Header=BB114_2 Depth=1
	s_or_saveexec_b32 s10, s10
	v_mov_b32_e32 v68, v64
	s_xor_b32 exec_lo, exec_lo, s10
	s_cbranch_execz .LBB114_38
; %bb.37:                               ;   in Loop: Header=BB114_2 Depth=1
	ds_load_u8 v68, v66 offset:1
	s_wait_dscnt 0x1
	v_mov_b32_e32 v65, v63
.LBB114_38:                             ;   in Loop: Header=BB114_2 Depth=1
	s_or_b32 exec_lo, exec_lo, s10
	v_add_nc_u32_e32 v69, 1, v67
	v_add_nc_u32_e32 v70, 1, v66
	s_wait_dscnt 0x0
	v_and_b32_e32 v71, 0xff, v65
	v_and_b32_e32 v72, 0xff, v68
	v_cndmask_b32_e64 v64, v63, v64, s9
	v_cndmask_b32_e64 v67, v69, v67, s9
	v_mov_b32_e32 v63, v55
	v_cndmask_b32_e64 v66, v66, v70, s9
	v_cmp_lt_u16_e64 s9, v72, v71
	v_cndmask_b32_e64 v61, v61, v62, s8
	v_cmp_ge_i32_e64 s10, v67, v17
	s_wait_loadcnt 0x0
	v_cmp_lt_i32_e64 s8, v66, v18
	s_barrier_signal -1
	s_barrier_wait -1
	s_or_b32 s9, s10, s9
	global_inv scope:SCOPE_SE
	s_wait_alu 0xfffe
	s_and_b32 s8, s8, s9
	s_wait_alu 0xfffe
	v_cndmask_b32_e64 v62, v65, v68, s8
	ds_store_b8 v1, v61
	ds_store_b8 v1, v64 offset:1
	ds_store_b8 v1, v62 offset:2
	s_wait_loadcnt_dscnt 0x0
	s_barrier_signal -1
	s_barrier_wait -1
	global_inv scope:SCOPE_SE
	s_and_saveexec_b32 s9, s3
	s_cbranch_execz .LBB114_42
; %bb.39:                               ;   in Loop: Header=BB114_2 Depth=1
	v_mov_b32_e32 v63, v55
	v_mov_b32_e32 v61, v47
	s_mov_b32 s10, 0
.LBB114_40:                             ;   Parent Loop BB114_2 Depth=1
                                        ; =>  This Inner Loop Header: Depth=2
	s_delay_alu instid0(VALU_DEP_1) | instskip(NEXT) | instid1(VALU_DEP_1)
	v_sub_nc_u32_e32 v62, v61, v63
	v_lshrrev_b32_e32 v62, 1, v62
	s_delay_alu instid0(VALU_DEP_1) | instskip(NEXT) | instid1(VALU_DEP_1)
	v_add_nc_u32_e32 v62, v62, v63
	v_add_nc_u32_e32 v64, v8, v62
	v_xad_u32 v65, v62, -1, v32
	v_add_nc_u32_e32 v66, 1, v62
	ds_load_u8 v64, v64
	ds_load_u8 v65, v65 offset:24
	s_wait_dscnt 0x0
	v_cmp_lt_u16_e64 s8, v65, v64
	s_wait_alu 0xf1ff
	s_delay_alu instid0(VALU_DEP_1) | instskip(SKIP_1) | instid1(VALU_DEP_1)
	v_cndmask_b32_e64 v61, v61, v62, s8
	v_cndmask_b32_e64 v63, v66, v63, s8
	v_cmp_ge_i32_e64 s8, v63, v61
	s_or_b32 s10, s8, s10
	s_delay_alu instid0(SALU_CYCLE_1)
	s_and_not1_b32 exec_lo, exec_lo, s10
	s_cbranch_execnz .LBB114_40
; %bb.41:                               ;   in Loop: Header=BB114_2 Depth=1
	s_or_b32 exec_lo, exec_lo, s10
.LBB114_42:                             ;   in Loop: Header=BB114_2 Depth=1
	s_wait_alu 0xfffe
	s_or_b32 exec_lo, exec_lo, s9
	v_add_nc_u32_e32 v65, v63, v8
	v_sub_nc_u32_e32 v67, v32, v63
	v_sub_nc_u32_e32 v66, v39, v63
                                        ; implicit-def: $vgpr63
	ds_load_u8 v61, v65
	ds_load_u8 v62, v67 offset:24
	v_cmp_le_i32_e64 s8, v19, v65
	v_cmp_gt_i32_e64 s10, v20, v66
	s_wait_dscnt 0x1
	v_and_b32_e32 v64, 0xff, v61
	s_wait_dscnt 0x0
	v_and_b32_e32 v68, 0xff, v62
	s_delay_alu instid0(VALU_DEP_1)
	v_cmp_lt_u16_e64 s9, v68, v64
	s_or_b32 s8, s8, s9
	s_wait_alu 0xfffe
	s_and_b32 s8, s10, s8
	s_wait_alu 0xfffe
	s_xor_b32 s9, s8, -1
	s_wait_alu 0xfffe
	s_and_saveexec_b32 s10, s9
	s_delay_alu instid0(SALU_CYCLE_1)
	s_xor_b32 s9, exec_lo, s10
; %bb.43:                               ;   in Loop: Header=BB114_2 Depth=1
	ds_load_u8 v63, v65 offset:1
                                        ; implicit-def: $vgpr67
; %bb.44:                               ;   in Loop: Header=BB114_2 Depth=1
	s_wait_alu 0xfffe
	s_or_saveexec_b32 s9, s9
	v_mov_b32_e32 v64, v62
	s_wait_alu 0xfffe
	s_xor_b32 exec_lo, exec_lo, s9
	s_cbranch_execz .LBB114_46
; %bb.45:                               ;   in Loop: Header=BB114_2 Depth=1
	ds_load_u8 v64, v67 offset:25
	s_wait_dscnt 0x1
	v_mov_b32_e32 v63, v61
.LBB114_46:                             ;   in Loop: Header=BB114_2 Depth=1
	s_or_b32 exec_lo, exec_lo, s9
	v_add_nc_u32_e32 v67, 1, v65
	v_add_nc_u32_e32 v68, 1, v66
	s_wait_dscnt 0x0
	v_and_b32_e32 v69, 0xff, v63
	s_delay_alu instid0(VALU_DEP_3) | instskip(SKIP_2) | instid1(VALU_DEP_3)
	v_cndmask_b32_e64 v67, v67, v65, s8
	v_and_b32_e32 v65, 0xff, v64
	v_cndmask_b32_e64 v66, v66, v68, s8
	v_cmp_ge_i32_e64 s9, v67, v19
	s_delay_alu instid0(VALU_DEP_3) | instskip(NEXT) | instid1(VALU_DEP_3)
	v_cmp_lt_u16_e64 s10, v65, v69
	v_cmp_lt_i32_e64 s11, v66, v20
                                        ; implicit-def: $vgpr65
	s_or_b32 s9, s9, s10
	s_wait_alu 0xfffe
	s_and_b32 s9, s11, s9
	s_wait_alu 0xfffe
	s_xor_b32 s10, s9, -1
	s_delay_alu instid0(SALU_CYCLE_1) | instskip(NEXT) | instid1(SALU_CYCLE_1)
	s_and_saveexec_b32 s11, s10
	s_xor_b32 s10, exec_lo, s11
; %bb.47:                               ;   in Loop: Header=BB114_2 Depth=1
	ds_load_u8 v65, v67 offset:1
; %bb.48:                               ;   in Loop: Header=BB114_2 Depth=1
	s_or_saveexec_b32 s10, s10
	v_mov_b32_e32 v68, v64
	s_xor_b32 exec_lo, exec_lo, s10
	s_cbranch_execz .LBB114_50
; %bb.49:                               ;   in Loop: Header=BB114_2 Depth=1
	ds_load_u8 v68, v66 offset:1
	s_wait_dscnt 0x1
	v_mov_b32_e32 v65, v63
.LBB114_50:                             ;   in Loop: Header=BB114_2 Depth=1
	s_or_b32 exec_lo, exec_lo, s10
	v_add_nc_u32_e32 v69, 1, v67
	v_add_nc_u32_e32 v70, 1, v66
	s_wait_dscnt 0x0
	v_and_b32_e32 v71, 0xff, v65
	v_and_b32_e32 v72, 0xff, v68
	v_cndmask_b32_e64 v64, v63, v64, s9
	v_cndmask_b32_e64 v67, v69, v67, s9
	v_mov_b32_e32 v63, v56
	v_cndmask_b32_e64 v66, v66, v70, s9
	v_cmp_lt_u16_e64 s9, v72, v71
	v_cndmask_b32_e64 v61, v61, v62, s8
	v_cmp_ge_i32_e64 s10, v67, v19
	s_wait_loadcnt 0x0
	v_cmp_lt_i32_e64 s8, v66, v20
	s_barrier_signal -1
	s_barrier_wait -1
	s_or_b32 s9, s10, s9
	global_inv scope:SCOPE_SE
	s_wait_alu 0xfffe
	s_and_b32 s8, s8, s9
	s_wait_alu 0xfffe
	v_cndmask_b32_e64 v62, v65, v68, s8
	ds_store_b8 v1, v61
	ds_store_b8 v1, v64 offset:1
	ds_store_b8 v1, v62 offset:2
	s_wait_loadcnt_dscnt 0x0
	s_barrier_signal -1
	s_barrier_wait -1
	global_inv scope:SCOPE_SE
	s_and_saveexec_b32 s9, s4
	s_cbranch_execz .LBB114_54
; %bb.51:                               ;   in Loop: Header=BB114_2 Depth=1
	v_mov_b32_e32 v63, v56
	v_mov_b32_e32 v61, v48
	s_mov_b32 s10, 0
.LBB114_52:                             ;   Parent Loop BB114_2 Depth=1
                                        ; =>  This Inner Loop Header: Depth=2
	s_delay_alu instid0(VALU_DEP_1) | instskip(NEXT) | instid1(VALU_DEP_1)
	v_sub_nc_u32_e32 v62, v61, v63
	v_lshrrev_b32_e32 v62, 1, v62
	s_delay_alu instid0(VALU_DEP_1) | instskip(NEXT) | instid1(VALU_DEP_1)
	v_add_nc_u32_e32 v62, v62, v63
	v_add_nc_u32_e32 v64, v9, v62
	v_xad_u32 v65, v62, -1, v33
	v_add_nc_u32_e32 v66, 1, v62
	ds_load_u8 v64, v64
	ds_load_u8 v65, v65 offset:48
	s_wait_dscnt 0x0
	v_cmp_lt_u16_e64 s8, v65, v64
	s_wait_alu 0xf1ff
	s_delay_alu instid0(VALU_DEP_1) | instskip(SKIP_1) | instid1(VALU_DEP_1)
	v_cndmask_b32_e64 v61, v61, v62, s8
	v_cndmask_b32_e64 v63, v66, v63, s8
	v_cmp_ge_i32_e64 s8, v63, v61
	s_or_b32 s10, s8, s10
	s_delay_alu instid0(SALU_CYCLE_1)
	s_and_not1_b32 exec_lo, exec_lo, s10
	s_cbranch_execnz .LBB114_52
; %bb.53:                               ;   in Loop: Header=BB114_2 Depth=1
	s_or_b32 exec_lo, exec_lo, s10
.LBB114_54:                             ;   in Loop: Header=BB114_2 Depth=1
	s_wait_alu 0xfffe
	s_or_b32 exec_lo, exec_lo, s9
	v_add_nc_u32_e32 v65, v63, v9
	v_sub_nc_u32_e32 v67, v33, v63
	v_sub_nc_u32_e32 v66, v40, v63
                                        ; implicit-def: $vgpr63
	ds_load_u8 v61, v65
	ds_load_u8 v62, v67 offset:48
	v_cmp_le_i32_e64 s8, v21, v65
	v_cmp_gt_i32_e64 s10, v22, v66
	s_wait_dscnt 0x1
	v_and_b32_e32 v64, 0xff, v61
	s_wait_dscnt 0x0
	v_and_b32_e32 v68, 0xff, v62
	s_delay_alu instid0(VALU_DEP_1)
	v_cmp_lt_u16_e64 s9, v68, v64
	s_or_b32 s8, s8, s9
	s_wait_alu 0xfffe
	s_and_b32 s8, s10, s8
	s_wait_alu 0xfffe
	s_xor_b32 s9, s8, -1
	s_wait_alu 0xfffe
	s_and_saveexec_b32 s10, s9
	s_delay_alu instid0(SALU_CYCLE_1)
	s_xor_b32 s9, exec_lo, s10
; %bb.55:                               ;   in Loop: Header=BB114_2 Depth=1
	ds_load_u8 v63, v65 offset:1
                                        ; implicit-def: $vgpr67
; %bb.56:                               ;   in Loop: Header=BB114_2 Depth=1
	s_wait_alu 0xfffe
	s_or_saveexec_b32 s9, s9
	v_mov_b32_e32 v64, v62
	s_wait_alu 0xfffe
	s_xor_b32 exec_lo, exec_lo, s9
	s_cbranch_execz .LBB114_58
; %bb.57:                               ;   in Loop: Header=BB114_2 Depth=1
	ds_load_u8 v64, v67 offset:49
	s_wait_dscnt 0x1
	v_mov_b32_e32 v63, v61
.LBB114_58:                             ;   in Loop: Header=BB114_2 Depth=1
	s_or_b32 exec_lo, exec_lo, s9
	v_add_nc_u32_e32 v67, 1, v65
	v_add_nc_u32_e32 v68, 1, v66
	s_wait_dscnt 0x0
	v_and_b32_e32 v69, 0xff, v63
	s_delay_alu instid0(VALU_DEP_3) | instskip(SKIP_2) | instid1(VALU_DEP_3)
	v_cndmask_b32_e64 v67, v67, v65, s8
	v_and_b32_e32 v65, 0xff, v64
	v_cndmask_b32_e64 v66, v66, v68, s8
	v_cmp_ge_i32_e64 s9, v67, v21
	s_delay_alu instid0(VALU_DEP_3) | instskip(NEXT) | instid1(VALU_DEP_3)
	v_cmp_lt_u16_e64 s10, v65, v69
	v_cmp_lt_i32_e64 s11, v66, v22
                                        ; implicit-def: $vgpr65
	s_or_b32 s9, s9, s10
	s_wait_alu 0xfffe
	s_and_b32 s9, s11, s9
	s_wait_alu 0xfffe
	s_xor_b32 s10, s9, -1
	s_delay_alu instid0(SALU_CYCLE_1) | instskip(NEXT) | instid1(SALU_CYCLE_1)
	s_and_saveexec_b32 s11, s10
	s_xor_b32 s10, exec_lo, s11
; %bb.59:                               ;   in Loop: Header=BB114_2 Depth=1
	ds_load_u8 v65, v67 offset:1
; %bb.60:                               ;   in Loop: Header=BB114_2 Depth=1
	s_or_saveexec_b32 s10, s10
	v_mov_b32_e32 v68, v64
	s_xor_b32 exec_lo, exec_lo, s10
	s_cbranch_execz .LBB114_62
; %bb.61:                               ;   in Loop: Header=BB114_2 Depth=1
	ds_load_u8 v68, v66 offset:1
	s_wait_dscnt 0x1
	v_mov_b32_e32 v65, v63
.LBB114_62:                             ;   in Loop: Header=BB114_2 Depth=1
	s_or_b32 exec_lo, exec_lo, s10
	v_add_nc_u32_e32 v69, 1, v67
	v_add_nc_u32_e32 v70, 1, v66
	s_wait_dscnt 0x0
	v_and_b32_e32 v71, 0xff, v65
	v_and_b32_e32 v72, 0xff, v68
	v_cndmask_b32_e64 v64, v63, v64, s9
	v_cndmask_b32_e64 v67, v69, v67, s9
	v_mov_b32_e32 v63, v57
	v_cndmask_b32_e64 v66, v66, v70, s9
	v_cmp_lt_u16_e64 s9, v72, v71
	v_cndmask_b32_e64 v61, v61, v62, s8
	v_cmp_ge_i32_e64 s10, v67, v21
	s_wait_loadcnt 0x0
	v_cmp_lt_i32_e64 s8, v66, v22
	s_barrier_signal -1
	s_barrier_wait -1
	s_or_b32 s9, s10, s9
	global_inv scope:SCOPE_SE
	s_wait_alu 0xfffe
	s_and_b32 s8, s8, s9
	s_wait_alu 0xfffe
	v_cndmask_b32_e64 v62, v65, v68, s8
	ds_store_b8 v1, v61
	ds_store_b8 v1, v64 offset:1
	ds_store_b8 v1, v62 offset:2
	s_wait_loadcnt_dscnt 0x0
	s_barrier_signal -1
	s_barrier_wait -1
	global_inv scope:SCOPE_SE
	s_and_saveexec_b32 s9, s5
	s_cbranch_execz .LBB114_66
; %bb.63:                               ;   in Loop: Header=BB114_2 Depth=1
	v_mov_b32_e32 v63, v57
	v_mov_b32_e32 v61, v49
	s_mov_b32 s10, 0
.LBB114_64:                             ;   Parent Loop BB114_2 Depth=1
                                        ; =>  This Inner Loop Header: Depth=2
	s_delay_alu instid0(VALU_DEP_1) | instskip(NEXT) | instid1(VALU_DEP_1)
	v_sub_nc_u32_e32 v62, v61, v63
	v_lshrrev_b32_e32 v62, 1, v62
	s_delay_alu instid0(VALU_DEP_1) | instskip(NEXT) | instid1(VALU_DEP_1)
	v_add_nc_u32_e32 v62, v62, v63
	v_add_nc_u32_e32 v64, v10, v62
	v_xad_u32 v65, v62, -1, v34
	v_add_nc_u32_e32 v66, 1, v62
	ds_load_u8 v64, v64
	ds_load_u8 v65, v65 offset:96
	s_wait_dscnt 0x0
	v_cmp_lt_u16_e64 s8, v65, v64
	s_wait_alu 0xf1ff
	s_delay_alu instid0(VALU_DEP_1) | instskip(SKIP_1) | instid1(VALU_DEP_1)
	v_cndmask_b32_e64 v61, v61, v62, s8
	v_cndmask_b32_e64 v63, v66, v63, s8
	v_cmp_ge_i32_e64 s8, v63, v61
	s_or_b32 s10, s8, s10
	s_delay_alu instid0(SALU_CYCLE_1)
	s_and_not1_b32 exec_lo, exec_lo, s10
	s_cbranch_execnz .LBB114_64
; %bb.65:                               ;   in Loop: Header=BB114_2 Depth=1
	s_or_b32 exec_lo, exec_lo, s10
.LBB114_66:                             ;   in Loop: Header=BB114_2 Depth=1
	s_wait_alu 0xfffe
	s_or_b32 exec_lo, exec_lo, s9
	v_add_nc_u32_e32 v65, v63, v10
	v_sub_nc_u32_e32 v67, v34, v63
	v_sub_nc_u32_e32 v66, v41, v63
                                        ; implicit-def: $vgpr63
	ds_load_u8 v61, v65
	ds_load_u8 v62, v67 offset:96
	v_cmp_le_i32_e64 s8, v23, v65
	v_cmp_gt_i32_e64 s10, v24, v66
	s_wait_dscnt 0x1
	v_and_b32_e32 v64, 0xff, v61
	s_wait_dscnt 0x0
	v_and_b32_e32 v68, 0xff, v62
	s_delay_alu instid0(VALU_DEP_1)
	v_cmp_lt_u16_e64 s9, v68, v64
	s_or_b32 s8, s8, s9
	s_wait_alu 0xfffe
	s_and_b32 s8, s10, s8
	s_wait_alu 0xfffe
	s_xor_b32 s9, s8, -1
	s_wait_alu 0xfffe
	s_and_saveexec_b32 s10, s9
	s_delay_alu instid0(SALU_CYCLE_1)
	s_xor_b32 s9, exec_lo, s10
; %bb.67:                               ;   in Loop: Header=BB114_2 Depth=1
	ds_load_u8 v63, v65 offset:1
                                        ; implicit-def: $vgpr67
; %bb.68:                               ;   in Loop: Header=BB114_2 Depth=1
	s_wait_alu 0xfffe
	s_or_saveexec_b32 s9, s9
	v_mov_b32_e32 v64, v62
	s_wait_alu 0xfffe
	s_xor_b32 exec_lo, exec_lo, s9
	s_cbranch_execz .LBB114_70
; %bb.69:                               ;   in Loop: Header=BB114_2 Depth=1
	ds_load_u8 v64, v67 offset:97
	s_wait_dscnt 0x1
	v_mov_b32_e32 v63, v61
.LBB114_70:                             ;   in Loop: Header=BB114_2 Depth=1
	s_or_b32 exec_lo, exec_lo, s9
	v_add_nc_u32_e32 v67, 1, v65
	v_add_nc_u32_e32 v68, 1, v66
	s_wait_dscnt 0x0
	v_and_b32_e32 v69, 0xff, v63
	s_delay_alu instid0(VALU_DEP_3) | instskip(SKIP_2) | instid1(VALU_DEP_3)
	v_cndmask_b32_e64 v67, v67, v65, s8
	v_and_b32_e32 v65, 0xff, v64
	v_cndmask_b32_e64 v66, v66, v68, s8
	v_cmp_ge_i32_e64 s9, v67, v23
	s_delay_alu instid0(VALU_DEP_3) | instskip(NEXT) | instid1(VALU_DEP_3)
	v_cmp_lt_u16_e64 s10, v65, v69
	v_cmp_lt_i32_e64 s11, v66, v24
                                        ; implicit-def: $vgpr65
	s_or_b32 s9, s9, s10
	s_wait_alu 0xfffe
	s_and_b32 s9, s11, s9
	s_wait_alu 0xfffe
	s_xor_b32 s10, s9, -1
	s_delay_alu instid0(SALU_CYCLE_1) | instskip(NEXT) | instid1(SALU_CYCLE_1)
	s_and_saveexec_b32 s11, s10
	s_xor_b32 s10, exec_lo, s11
; %bb.71:                               ;   in Loop: Header=BB114_2 Depth=1
	ds_load_u8 v65, v67 offset:1
; %bb.72:                               ;   in Loop: Header=BB114_2 Depth=1
	s_or_saveexec_b32 s10, s10
	v_mov_b32_e32 v68, v64
	s_xor_b32 exec_lo, exec_lo, s10
	s_cbranch_execz .LBB114_74
; %bb.73:                               ;   in Loop: Header=BB114_2 Depth=1
	ds_load_u8 v68, v66 offset:1
	s_wait_dscnt 0x1
	v_mov_b32_e32 v65, v63
.LBB114_74:                             ;   in Loop: Header=BB114_2 Depth=1
	s_or_b32 exec_lo, exec_lo, s10
	v_add_nc_u32_e32 v69, 1, v67
	v_add_nc_u32_e32 v70, 1, v66
	s_wait_dscnt 0x0
	v_and_b32_e32 v71, 0xff, v65
	v_and_b32_e32 v72, 0xff, v68
	v_cndmask_b32_e64 v64, v63, v64, s9
	v_cndmask_b32_e64 v67, v69, v67, s9
	v_mov_b32_e32 v63, v58
	v_cndmask_b32_e64 v66, v66, v70, s9
	v_cmp_lt_u16_e64 s9, v72, v71
	v_cndmask_b32_e64 v61, v61, v62, s8
	v_cmp_ge_i32_e64 s10, v67, v23
	s_wait_loadcnt 0x0
	v_cmp_lt_i32_e64 s8, v66, v24
	s_barrier_signal -1
	s_barrier_wait -1
	s_or_b32 s9, s10, s9
	global_inv scope:SCOPE_SE
	s_wait_alu 0xfffe
	s_and_b32 s8, s8, s9
	s_wait_alu 0xfffe
	v_cndmask_b32_e64 v62, v65, v68, s8
	ds_store_b8 v1, v61
	ds_store_b8 v1, v64 offset:1
	ds_store_b8 v1, v62 offset:2
	s_wait_loadcnt_dscnt 0x0
	s_barrier_signal -1
	s_barrier_wait -1
	global_inv scope:SCOPE_SE
	s_and_saveexec_b32 s9, s6
	s_cbranch_execz .LBB114_78
; %bb.75:                               ;   in Loop: Header=BB114_2 Depth=1
	v_mov_b32_e32 v63, v58
	v_mov_b32_e32 v61, v50
	s_mov_b32 s10, 0
.LBB114_76:                             ;   Parent Loop BB114_2 Depth=1
                                        ; =>  This Inner Loop Header: Depth=2
	s_delay_alu instid0(VALU_DEP_1) | instskip(NEXT) | instid1(VALU_DEP_1)
	v_sub_nc_u32_e32 v62, v61, v63
	v_lshrrev_b32_e32 v62, 1, v62
	s_delay_alu instid0(VALU_DEP_1) | instskip(NEXT) | instid1(VALU_DEP_1)
	v_add_nc_u32_e32 v62, v62, v63
	v_add_nc_u32_e32 v64, v11, v62
	v_xad_u32 v65, v62, -1, v35
	v_add_nc_u32_e32 v66, 1, v62
	ds_load_u8 v64, v64
	ds_load_u8 v65, v65 offset:192
	s_wait_dscnt 0x0
	v_cmp_lt_u16_e64 s8, v65, v64
	s_wait_alu 0xf1ff
	s_delay_alu instid0(VALU_DEP_1) | instskip(SKIP_1) | instid1(VALU_DEP_1)
	v_cndmask_b32_e64 v61, v61, v62, s8
	v_cndmask_b32_e64 v63, v66, v63, s8
	v_cmp_ge_i32_e64 s8, v63, v61
	s_or_b32 s10, s8, s10
	s_delay_alu instid0(SALU_CYCLE_1)
	s_and_not1_b32 exec_lo, exec_lo, s10
	s_cbranch_execnz .LBB114_76
; %bb.77:                               ;   in Loop: Header=BB114_2 Depth=1
	s_or_b32 exec_lo, exec_lo, s10
.LBB114_78:                             ;   in Loop: Header=BB114_2 Depth=1
	s_wait_alu 0xfffe
	s_or_b32 exec_lo, exec_lo, s9
	v_add_nc_u32_e32 v65, v63, v11
	v_sub_nc_u32_e32 v67, v35, v63
	v_sub_nc_u32_e32 v66, v42, v63
                                        ; implicit-def: $vgpr63
	ds_load_u8 v61, v65
	ds_load_u8 v62, v67 offset:192
	v_cmp_le_i32_e64 s8, v25, v65
	v_cmp_gt_i32_e64 s10, v26, v66
	s_wait_dscnt 0x1
	v_and_b32_e32 v64, 0xff, v61
	s_wait_dscnt 0x0
	v_and_b32_e32 v68, 0xff, v62
	s_delay_alu instid0(VALU_DEP_1)
	v_cmp_lt_u16_e64 s9, v68, v64
	s_or_b32 s8, s8, s9
	s_wait_alu 0xfffe
	s_and_b32 s8, s10, s8
	s_wait_alu 0xfffe
	s_xor_b32 s9, s8, -1
	s_wait_alu 0xfffe
	s_and_saveexec_b32 s10, s9
	s_delay_alu instid0(SALU_CYCLE_1)
	s_xor_b32 s9, exec_lo, s10
; %bb.79:                               ;   in Loop: Header=BB114_2 Depth=1
	ds_load_u8 v63, v65 offset:1
                                        ; implicit-def: $vgpr67
; %bb.80:                               ;   in Loop: Header=BB114_2 Depth=1
	s_wait_alu 0xfffe
	s_or_saveexec_b32 s9, s9
	v_mov_b32_e32 v64, v62
	s_wait_alu 0xfffe
	s_xor_b32 exec_lo, exec_lo, s9
	s_cbranch_execz .LBB114_82
; %bb.81:                               ;   in Loop: Header=BB114_2 Depth=1
	ds_load_u8 v64, v67 offset:193
	s_wait_dscnt 0x1
	v_mov_b32_e32 v63, v61
.LBB114_82:                             ;   in Loop: Header=BB114_2 Depth=1
	s_or_b32 exec_lo, exec_lo, s9
	v_add_nc_u32_e32 v67, 1, v65
	v_add_nc_u32_e32 v68, 1, v66
	s_wait_dscnt 0x0
	v_and_b32_e32 v69, 0xff, v63
	s_delay_alu instid0(VALU_DEP_3) | instskip(SKIP_2) | instid1(VALU_DEP_3)
	v_cndmask_b32_e64 v67, v67, v65, s8
	v_and_b32_e32 v65, 0xff, v64
	v_cndmask_b32_e64 v66, v66, v68, s8
	v_cmp_ge_i32_e64 s9, v67, v25
	s_delay_alu instid0(VALU_DEP_3) | instskip(NEXT) | instid1(VALU_DEP_3)
	v_cmp_lt_u16_e64 s10, v65, v69
	v_cmp_lt_i32_e64 s11, v66, v26
                                        ; implicit-def: $vgpr65
	s_or_b32 s9, s9, s10
	s_wait_alu 0xfffe
	s_and_b32 s9, s11, s9
	s_wait_alu 0xfffe
	s_xor_b32 s10, s9, -1
	s_delay_alu instid0(SALU_CYCLE_1) | instskip(NEXT) | instid1(SALU_CYCLE_1)
	s_and_saveexec_b32 s11, s10
	s_xor_b32 s10, exec_lo, s11
; %bb.83:                               ;   in Loop: Header=BB114_2 Depth=1
	ds_load_u8 v65, v67 offset:1
; %bb.84:                               ;   in Loop: Header=BB114_2 Depth=1
	s_or_saveexec_b32 s10, s10
	v_mov_b32_e32 v68, v64
	s_xor_b32 exec_lo, exec_lo, s10
	s_cbranch_execz .LBB114_86
; %bb.85:                               ;   in Loop: Header=BB114_2 Depth=1
	ds_load_u8 v68, v66 offset:1
	s_wait_dscnt 0x1
	v_mov_b32_e32 v65, v63
.LBB114_86:                             ;   in Loop: Header=BB114_2 Depth=1
	s_or_b32 exec_lo, exec_lo, s10
	v_add_nc_u32_e32 v69, 1, v67
	v_add_nc_u32_e32 v70, 1, v66
	s_wait_dscnt 0x0
	v_and_b32_e32 v71, 0xff, v65
	v_and_b32_e32 v72, 0xff, v68
	v_cndmask_b32_e64 v64, v63, v64, s9
	v_cndmask_b32_e64 v67, v69, v67, s9
	v_mov_b32_e32 v63, v59
	v_cndmask_b32_e64 v66, v66, v70, s9
	v_cmp_lt_u16_e64 s9, v72, v71
	v_cndmask_b32_e64 v61, v61, v62, s8
	v_cmp_ge_i32_e64 s10, v67, v25
	s_wait_loadcnt 0x0
	v_cmp_lt_i32_e64 s8, v66, v26
	s_barrier_signal -1
	s_barrier_wait -1
	s_or_b32 s9, s10, s9
	global_inv scope:SCOPE_SE
	s_wait_alu 0xfffe
	s_and_b32 s8, s8, s9
	s_wait_alu 0xfffe
	v_cndmask_b32_e64 v62, v65, v68, s8
	ds_store_b8 v1, v61
	ds_store_b8 v1, v64 offset:1
	ds_store_b8 v1, v62 offset:2
	s_wait_loadcnt_dscnt 0x0
	s_barrier_signal -1
	s_barrier_wait -1
	global_inv scope:SCOPE_SE
	s_and_saveexec_b32 s9, s7
	s_cbranch_execz .LBB114_90
; %bb.87:                               ;   in Loop: Header=BB114_2 Depth=1
	v_mov_b32_e32 v63, v59
	v_mov_b32_e32 v61, v51
	s_mov_b32 s10, 0
.LBB114_88:                             ;   Parent Loop BB114_2 Depth=1
                                        ; =>  This Inner Loop Header: Depth=2
	s_delay_alu instid0(VALU_DEP_1) | instskip(NEXT) | instid1(VALU_DEP_1)
	v_sub_nc_u32_e32 v62, v61, v63
	v_lshrrev_b32_e32 v62, 1, v62
	s_delay_alu instid0(VALU_DEP_1) | instskip(NEXT) | instid1(VALU_DEP_1)
	v_add_nc_u32_e32 v62, v62, v63
	v_add_nc_u32_e32 v64, v12, v62
	v_xad_u32 v65, v62, -1, v60
	v_add_nc_u32_e32 v66, 1, v62
	ds_load_u8 v64, v64
	ds_load_u8 v65, v65 offset:384
	s_wait_dscnt 0x0
	v_cmp_lt_u16_e64 s8, v65, v64
	s_wait_alu 0xf1ff
	s_delay_alu instid0(VALU_DEP_1) | instskip(SKIP_1) | instid1(VALU_DEP_1)
	v_cndmask_b32_e64 v61, v61, v62, s8
	v_cndmask_b32_e64 v63, v66, v63, s8
	v_cmp_ge_i32_e64 s8, v63, v61
	s_or_b32 s10, s8, s10
	s_delay_alu instid0(SALU_CYCLE_1)
	s_and_not1_b32 exec_lo, exec_lo, s10
	s_cbranch_execnz .LBB114_88
; %bb.89:                               ;   in Loop: Header=BB114_2 Depth=1
	s_or_b32 exec_lo, exec_lo, s10
.LBB114_90:                             ;   in Loop: Header=BB114_2 Depth=1
	s_wait_alu 0xfffe
	s_or_b32 exec_lo, exec_lo, s9
	v_add_nc_u32_e32 v65, v63, v12
	v_sub_nc_u32_e32 v67, v60, v63
	v_sub_nc_u32_e32 v66, v43, v63
                                        ; implicit-def: $vgpr63
	ds_load_u8 v61, v65
	ds_load_u8 v62, v67 offset:384
	v_cmp_le_i32_e64 s8, v27, v65
	v_cmp_gt_i32_e64 s10, v28, v66
	s_wait_dscnt 0x1
	v_and_b32_e32 v64, 0xff, v61
	s_wait_dscnt 0x0
	v_and_b32_e32 v68, 0xff, v62
	s_delay_alu instid0(VALU_DEP_1)
	v_cmp_lt_u16_e64 s9, v68, v64
	s_or_b32 s8, s8, s9
	s_wait_alu 0xfffe
	s_and_b32 s8, s10, s8
	s_wait_alu 0xfffe
	s_xor_b32 s9, s8, -1
	s_wait_alu 0xfffe
	s_and_saveexec_b32 s10, s9
	s_delay_alu instid0(SALU_CYCLE_1)
	s_xor_b32 s9, exec_lo, s10
; %bb.91:                               ;   in Loop: Header=BB114_2 Depth=1
	ds_load_u8 v63, v65 offset:1
                                        ; implicit-def: $vgpr67
; %bb.92:                               ;   in Loop: Header=BB114_2 Depth=1
	s_wait_alu 0xfffe
	s_or_saveexec_b32 s9, s9
	v_mov_b32_e32 v64, v62
	s_wait_alu 0xfffe
	s_xor_b32 exec_lo, exec_lo, s9
	s_cbranch_execz .LBB114_94
; %bb.93:                               ;   in Loop: Header=BB114_2 Depth=1
	ds_load_u8 v64, v67 offset:385
	s_wait_dscnt 0x1
	v_mov_b32_e32 v63, v61
.LBB114_94:                             ;   in Loop: Header=BB114_2 Depth=1
	s_or_b32 exec_lo, exec_lo, s9
	v_add_nc_u32_e32 v67, 1, v65
	v_add_nc_u32_e32 v68, 1, v66
	s_wait_dscnt 0x0
	v_and_b32_e32 v69, 0xff, v63
	s_delay_alu instid0(VALU_DEP_3) | instskip(SKIP_2) | instid1(VALU_DEP_3)
	v_cndmask_b32_e64 v67, v67, v65, s8
	v_and_b32_e32 v65, 0xff, v64
	v_cndmask_b32_e64 v66, v66, v68, s8
	v_cmp_ge_i32_e64 s9, v67, v27
	s_delay_alu instid0(VALU_DEP_3) | instskip(NEXT) | instid1(VALU_DEP_3)
	v_cmp_lt_u16_e64 s10, v65, v69
	v_cmp_lt_i32_e64 s11, v66, v28
                                        ; implicit-def: $vgpr65
	s_or_b32 s9, s9, s10
	s_wait_alu 0xfffe
	s_and_b32 s9, s11, s9
	s_wait_alu 0xfffe
	s_xor_b32 s10, s9, -1
	s_delay_alu instid0(SALU_CYCLE_1) | instskip(NEXT) | instid1(SALU_CYCLE_1)
	s_and_saveexec_b32 s11, s10
	s_xor_b32 s10, exec_lo, s11
; %bb.95:                               ;   in Loop: Header=BB114_2 Depth=1
	ds_load_u8 v65, v67 offset:1
; %bb.96:                               ;   in Loop: Header=BB114_2 Depth=1
	s_or_saveexec_b32 s10, s10
	v_mov_b32_e32 v68, v64
	s_xor_b32 exec_lo, exec_lo, s10
	s_cbranch_execz .LBB114_98
; %bb.97:                               ;   in Loop: Header=BB114_2 Depth=1
	ds_load_u8 v68, v66 offset:1
	s_wait_dscnt 0x1
	v_mov_b32_e32 v65, v63
.LBB114_98:                             ;   in Loop: Header=BB114_2 Depth=1
	s_or_b32 exec_lo, exec_lo, s10
	v_add_nc_u32_e32 v69, 1, v67
	v_add_nc_u32_e32 v70, 1, v66
	s_wait_dscnt 0x0
	v_and_b32_e32 v71, 0xff, v65
	v_and_b32_e32 v72, 0xff, v68
	v_cndmask_b32_e64 v64, v63, v64, s9
	v_cndmask_b32_e64 v67, v69, v67, s9
	v_mov_b32_e32 v63, v3
	v_cndmask_b32_e64 v66, v66, v70, s9
	v_cmp_lt_u16_e64 s9, v72, v71
	v_cndmask_b32_e64 v61, v61, v62, s8
	v_cmp_ge_i32_e64 s10, v67, v27
	s_wait_loadcnt 0x0
	v_cmp_lt_i32_e64 s8, v66, v28
	s_barrier_signal -1
	s_barrier_wait -1
	s_or_b32 s9, s10, s9
	global_inv scope:SCOPE_SE
	s_wait_alu 0xfffe
	s_and_b32 s8, s8, s9
	s_wait_alu 0xfffe
	v_cndmask_b32_e64 v62, v65, v68, s8
	ds_store_b8 v1, v61
	ds_store_b8 v1, v64 offset:1
	ds_store_b8 v1, v62 offset:2
	s_wait_loadcnt_dscnt 0x0
	s_barrier_signal -1
	s_barrier_wait -1
	global_inv scope:SCOPE_SE
	s_and_saveexec_b32 s9, vcc_lo
	s_cbranch_execz .LBB114_102
; %bb.99:                               ;   in Loop: Header=BB114_2 Depth=1
	v_mov_b32_e32 v63, v3
	v_mov_b32_e32 v61, v4
	s_mov_b32 s10, 0
.LBB114_100:                            ;   Parent Loop BB114_2 Depth=1
                                        ; =>  This Inner Loop Header: Depth=2
	s_delay_alu instid0(VALU_DEP_1) | instskip(NEXT) | instid1(VALU_DEP_1)
	v_sub_nc_u32_e32 v62, v61, v63
	v_lshrrev_b32_e32 v62, 1, v62
	s_delay_alu instid0(VALU_DEP_1) | instskip(NEXT) | instid1(VALU_DEP_1)
	v_add_nc_u32_e32 v62, v62, v63
	v_xad_u32 v64, v62, -1, v1
	v_add_nc_u32_e32 v66, 1, v62
	ds_load_u8 v65, v62
	ds_load_u8 v64, v64 offset:768
	s_wait_dscnt 0x0
	v_cmp_lt_u16_e64 s8, v64, v65
	s_wait_alu 0xf1ff
	s_delay_alu instid0(VALU_DEP_1) | instskip(SKIP_1) | instid1(VALU_DEP_1)
	v_cndmask_b32_e64 v61, v61, v62, s8
	v_cndmask_b32_e64 v63, v66, v63, s8
	v_cmp_ge_i32_e64 s8, v63, v61
	s_or_b32 s10, s8, s10
	s_delay_alu instid0(SALU_CYCLE_1)
	s_and_not1_b32 exec_lo, exec_lo, s10
	s_cbranch_execnz .LBB114_100
; %bb.101:                              ;   in Loop: Header=BB114_2 Depth=1
	s_or_b32 exec_lo, exec_lo, s10
.LBB114_102:                            ;   in Loop: Header=BB114_2 Depth=1
	s_wait_alu 0xfffe
	s_or_b32 exec_lo, exec_lo, s9
	v_sub_nc_u32_e32 v67, v1, v63
	v_sub_nc_u32_e32 v66, v2, v63
	v_cmp_le_i32_e64 s8, 0x300, v63
	ds_load_u8 v61, v63
	ds_load_u8 v62, v67 offset:768
	v_cmp_gt_i32_e64 s10, 0x600, v66
	s_wait_dscnt 0x1
	v_and_b32_e32 v64, 0xff, v61
	s_wait_dscnt 0x0
	v_and_b32_e32 v65, 0xff, v62
	s_delay_alu instid0(VALU_DEP_1)
	v_cmp_lt_u16_e64 s9, v65, v64
                                        ; implicit-def: $vgpr64
	s_or_b32 s8, s8, s9
	s_wait_alu 0xfffe
	s_and_b32 s8, s10, s8
	s_wait_alu 0xfffe
	s_xor_b32 s9, s8, -1
	s_wait_alu 0xfffe
	s_and_saveexec_b32 s10, s9
	s_delay_alu instid0(SALU_CYCLE_1)
	s_xor_b32 s9, exec_lo, s10
; %bb.103:                              ;   in Loop: Header=BB114_2 Depth=1
	ds_load_u8 v64, v63 offset:1
                                        ; implicit-def: $vgpr67
; %bb.104:                              ;   in Loop: Header=BB114_2 Depth=1
	s_wait_alu 0xfffe
	s_or_saveexec_b32 s9, s9
	v_mov_b32_e32 v65, v62
	s_wait_alu 0xfffe
	s_xor_b32 exec_lo, exec_lo, s9
	s_cbranch_execz .LBB114_106
; %bb.105:                              ;   in Loop: Header=BB114_2 Depth=1
	ds_load_u8 v65, v67 offset:769
	s_wait_dscnt 0x1
	v_mov_b32_e32 v64, v61
.LBB114_106:                            ;   in Loop: Header=BB114_2 Depth=1
	s_or_b32 exec_lo, exec_lo, s9
	v_add_nc_u32_e32 v67, 1, v63
	v_add_nc_u32_e32 v69, 1, v66
	s_wait_dscnt 0x0
	v_and_b32_e32 v70, 0xff, v64
	s_delay_alu instid0(VALU_DEP_3) | instskip(SKIP_2) | instid1(VALU_DEP_3)
	v_cndmask_b32_e64 v68, v67, v63, s8
	v_and_b32_e32 v67, 0xff, v65
	v_cndmask_b32_e64 v63, v66, v69, s8
                                        ; implicit-def: $vgpr66
	v_cmp_le_i32_e64 s9, 0x300, v68
	s_delay_alu instid0(VALU_DEP_3) | instskip(NEXT) | instid1(VALU_DEP_3)
	v_cmp_lt_u16_e64 s10, v67, v70
	v_cmp_gt_i32_e64 s11, 0x600, v63
                                        ; implicit-def: $vgpr67
	s_or_b32 s9, s9, s10
	s_wait_alu 0xfffe
	s_and_b32 s9, s11, s9
	s_wait_alu 0xfffe
	s_xor_b32 s10, s9, -1
	s_delay_alu instid0(SALU_CYCLE_1) | instskip(NEXT) | instid1(SALU_CYCLE_1)
	s_and_saveexec_b32 s11, s10
	s_xor_b32 s10, exec_lo, s11
; %bb.107:                              ;   in Loop: Header=BB114_2 Depth=1
	ds_load_u8 v66, v68 offset:1
	v_add_nc_u32_e32 v67, 1, v68
                                        ; implicit-def: $vgpr68
; %bb.108:                              ;   in Loop: Header=BB114_2 Depth=1
	s_or_saveexec_b32 s10, s10
	v_mov_b32_e32 v69, v65
	s_xor_b32 exec_lo, exec_lo, s10
	s_cbranch_execz .LBB114_1
; %bb.109:                              ;   in Loop: Header=BB114_2 Depth=1
	ds_load_u8 v69, v63 offset:1
	s_wait_dscnt 0x1
	v_dual_mov_b32 v66, v64 :: v_dual_add_nc_u32 v63, 1, v63
	v_mov_b32_e32 v67, v68
	s_branch .LBB114_1
.LBB114_110:
	s_add_nc_u64 s[0:1], s[14:15], s[16:17]
	s_wait_alu 0xfffe
	v_add_co_u32 v0, s0, s0, v0
	s_wait_alu 0xf1ff
	v_add_co_ci_u32_e64 v1, null, s1, 0, s0
	s_clause 0x2
	global_store_b8 v[0:1], v61, off
	global_store_b8 v[0:1], v64, off offset:512
	global_store_b8 v[0:1], v62, off offset:1024
	s_endpgm
	.section	.rodata,"a",@progbits
	.p2align	6, 0x0
	.amdhsa_kernel _Z16sort_keys_kernelIhLj512ELj3EN10test_utils4lessELj10EEvPKT_PS2_T2_
		.amdhsa_group_segment_fixed_size 1537
		.amdhsa_private_segment_fixed_size 0
		.amdhsa_kernarg_size 20
		.amdhsa_user_sgpr_count 2
		.amdhsa_user_sgpr_dispatch_ptr 0
		.amdhsa_user_sgpr_queue_ptr 0
		.amdhsa_user_sgpr_kernarg_segment_ptr 1
		.amdhsa_user_sgpr_dispatch_id 0
		.amdhsa_user_sgpr_private_segment_size 0
		.amdhsa_wavefront_size32 1
		.amdhsa_uses_dynamic_stack 0
		.amdhsa_enable_private_segment 0
		.amdhsa_system_sgpr_workgroup_id_x 1
		.amdhsa_system_sgpr_workgroup_id_y 0
		.amdhsa_system_sgpr_workgroup_id_z 0
		.amdhsa_system_sgpr_workgroup_info 0
		.amdhsa_system_vgpr_workitem_id 0
		.amdhsa_next_free_vgpr 81
		.amdhsa_next_free_sgpr 18
		.amdhsa_reserve_vcc 1
		.amdhsa_float_round_mode_32 0
		.amdhsa_float_round_mode_16_64 0
		.amdhsa_float_denorm_mode_32 3
		.amdhsa_float_denorm_mode_16_64 3
		.amdhsa_fp16_overflow 0
		.amdhsa_workgroup_processor_mode 1
		.amdhsa_memory_ordered 1
		.amdhsa_forward_progress 1
		.amdhsa_inst_pref_size 57
		.amdhsa_round_robin_scheduling 0
		.amdhsa_exception_fp_ieee_invalid_op 0
		.amdhsa_exception_fp_denorm_src 0
		.amdhsa_exception_fp_ieee_div_zero 0
		.amdhsa_exception_fp_ieee_overflow 0
		.amdhsa_exception_fp_ieee_underflow 0
		.amdhsa_exception_fp_ieee_inexact 0
		.amdhsa_exception_int_div_zero 0
	.end_amdhsa_kernel
	.section	.text._Z16sort_keys_kernelIhLj512ELj3EN10test_utils4lessELj10EEvPKT_PS2_T2_,"axG",@progbits,_Z16sort_keys_kernelIhLj512ELj3EN10test_utils4lessELj10EEvPKT_PS2_T2_,comdat
.Lfunc_end114:
	.size	_Z16sort_keys_kernelIhLj512ELj3EN10test_utils4lessELj10EEvPKT_PS2_T2_, .Lfunc_end114-_Z16sort_keys_kernelIhLj512ELj3EN10test_utils4lessELj10EEvPKT_PS2_T2_
                                        ; -- End function
	.set _Z16sort_keys_kernelIhLj512ELj3EN10test_utils4lessELj10EEvPKT_PS2_T2_.num_vgpr, 81
	.set _Z16sort_keys_kernelIhLj512ELj3EN10test_utils4lessELj10EEvPKT_PS2_T2_.num_agpr, 0
	.set _Z16sort_keys_kernelIhLj512ELj3EN10test_utils4lessELj10EEvPKT_PS2_T2_.numbered_sgpr, 18
	.set _Z16sort_keys_kernelIhLj512ELj3EN10test_utils4lessELj10EEvPKT_PS2_T2_.num_named_barrier, 0
	.set _Z16sort_keys_kernelIhLj512ELj3EN10test_utils4lessELj10EEvPKT_PS2_T2_.private_seg_size, 0
	.set _Z16sort_keys_kernelIhLj512ELj3EN10test_utils4lessELj10EEvPKT_PS2_T2_.uses_vcc, 1
	.set _Z16sort_keys_kernelIhLj512ELj3EN10test_utils4lessELj10EEvPKT_PS2_T2_.uses_flat_scratch, 0
	.set _Z16sort_keys_kernelIhLj512ELj3EN10test_utils4lessELj10EEvPKT_PS2_T2_.has_dyn_sized_stack, 0
	.set _Z16sort_keys_kernelIhLj512ELj3EN10test_utils4lessELj10EEvPKT_PS2_T2_.has_recursion, 0
	.set _Z16sort_keys_kernelIhLj512ELj3EN10test_utils4lessELj10EEvPKT_PS2_T2_.has_indirect_call, 0
	.section	.AMDGPU.csdata,"",@progbits
; Kernel info:
; codeLenInByte = 7292
; TotalNumSgprs: 20
; NumVgprs: 81
; ScratchSize: 0
; MemoryBound: 0
; FloatMode: 240
; IeeeMode: 1
; LDSByteSize: 1537 bytes/workgroup (compile time only)
; SGPRBlocks: 0
; VGPRBlocks: 10
; NumSGPRsForWavesPerEU: 20
; NumVGPRsForWavesPerEU: 81
; Occupancy: 16
; WaveLimiterHint : 1
; COMPUTE_PGM_RSRC2:SCRATCH_EN: 0
; COMPUTE_PGM_RSRC2:USER_SGPR: 2
; COMPUTE_PGM_RSRC2:TRAP_HANDLER: 0
; COMPUTE_PGM_RSRC2:TGID_X_EN: 1
; COMPUTE_PGM_RSRC2:TGID_Y_EN: 0
; COMPUTE_PGM_RSRC2:TGID_Z_EN: 0
; COMPUTE_PGM_RSRC2:TIDIG_COMP_CNT: 0
	.section	.text._Z17sort_pairs_kernelIhLj512ELj3EN10test_utils4lessELj10EEvPKT_PS2_T2_,"axG",@progbits,_Z17sort_pairs_kernelIhLj512ELj3EN10test_utils4lessELj10EEvPKT_PS2_T2_,comdat
	.protected	_Z17sort_pairs_kernelIhLj512ELj3EN10test_utils4lessELj10EEvPKT_PS2_T2_ ; -- Begin function _Z17sort_pairs_kernelIhLj512ELj3EN10test_utils4lessELj10EEvPKT_PS2_T2_
	.globl	_Z17sort_pairs_kernelIhLj512ELj3EN10test_utils4lessELj10EEvPKT_PS2_T2_
	.p2align	8
	.type	_Z17sort_pairs_kernelIhLj512ELj3EN10test_utils4lessELj10EEvPKT_PS2_T2_,@function
_Z17sort_pairs_kernelIhLj512ELj3EN10test_utils4lessELj10EEvPKT_PS2_T2_: ; @_Z17sort_pairs_kernelIhLj512ELj3EN10test_utils4lessELj10EEvPKT_PS2_T2_
; %bb.0:
	s_load_b128 s[16:19], s[0:1], 0x0
	s_mul_i32 s20, ttmp9, 0x600
	s_mov_b32 s21, 0
	v_and_b32_e32 v3, 0x1fe, v0
	v_and_b32_e32 v5, 0x1fc, v0
	;; [unrolled: 1-line block ×5, first 2 shown]
	v_mul_u32_u24_e32 v12, 3, v3
	v_and_b32_e32 v8, 0x1e0, v0
	v_mul_u32_u24_e32 v13, 3, v5
	v_mul_u32_u24_e32 v14, 3, v6
	v_and_b32_e32 v9, 0x1c0, v0
	v_min_u32_e32 v29, 0x5fd, v12
	v_min_u32_e32 v20, 0x5fa, v12
	v_and_b32_e32 v10, 0x180, v0
	v_cmp_eq_u32_e32 vcc_lo, 1, v4
	v_mul_u32_u24_e32 v15, 3, v7
	v_mul_u32_u24_e32 v16, 3, v8
	v_min_u32_e32 v6, 0x600, v13
	s_wait_kmcnt 0x0
	s_add_nc_u64 s[0:1], s[16:17], s[20:21]
	v_min_u32_e32 v30, 0x5fa, v13
	s_clause 0x2
	global_load_u8 v60, v0, s[0:1]
	global_load_u8 v61, v0, s[0:1] offset:512
	global_load_u8 v64, v0, s[0:1] offset:1024
	v_min_u32_e32 v21, 0x5f4, v13
	v_min_u32_e32 v7, 0x600, v14
	;; [unrolled: 1-line block ×4, first 2 shown]
	v_add_nc_u32_e32 v13, 3, v29
	v_add_nc_u32_e32 v14, 6, v20
	v_and_b32_e32 v37, 3, v0
	v_and_b32_e32 v11, 0x100, v0
	v_cndmask_b32_e64 v52, 0, 3, vcc_lo
	v_mul_u32_u24_e32 v17, 3, v9
	v_mul_u32_u24_e32 v18, 3, v10
	v_min_u32_e32 v5, 0x600, v12
	v_min_u32_e32 v8, 0x600, v15
	;; [unrolled: 1-line block ×7, first 2 shown]
	v_add_nc_u32_e32 v15, 6, v30
	v_add_nc_u32_e32 v16, 12, v21
	v_sub_nc_u32_e32 v62, v14, v13
	v_and_b32_e32 v38, 7, v0
	v_mul_u32_u24_e32 v53, 3, v37
	v_mul_u32_u24_e32 v19, 3, v11
	v_min_u32_e32 v10, 0x600, v17
	v_min_u32_e32 v34, 0x5a0, v17
	;; [unrolled: 1-line block ×6, first 2 shown]
	v_add_nc_u32_e32 v17, 12, v31
	v_add_nc_u32_e32 v18, 24, v22
	v_sub_nc_u32_e32 v44, v13, v5
	v_sub_nc_u32_e32 v63, v16, v15
	;; [unrolled: 1-line block ×3, first 2 shown]
	v_cmp_ge_i32_e64 s0, v52, v62
	v_and_b32_e32 v39, 15, v0
	v_mul_u32_u24_e32 v54, 3, v38
	v_min_u32_e32 v12, 0x600, v19
	v_min_u32_e32 v67, 0x480, v19
	;; [unrolled: 1-line block ×3, first 2 shown]
	v_add_nc_u32_e32 v19, 24, v32
	v_add_nc_u32_e32 v20, 48, v23
	;; [unrolled: 1-line block ×4, first 2 shown]
	v_sub_nc_u32_e32 v45, v15, v6
	v_sub_nc_u32_e32 v65, v18, v17
	v_min_i32_e32 v44, v52, v44
	v_sub_nc_u32_e32 v74, v53, v63
	v_cndmask_b32_e64 v52, 0, v73, s0
	v_cmp_ge_i32_e64 s0, v53, v63
	v_and_b32_e32 v40, 31, v0
	v_mul_u32_u24_e32 v55, 3, v39
	v_add_nc_u32_e32 v21, 48, v33
	v_add_nc_u32_e32 v22, 0x60, v24
	v_sub_nc_u32_e32 v46, v17, v7
	v_sub_nc_u32_e32 v68, v20, v19
	v_min_i32_e32 v45, v53, v45
	v_sub_nc_u32_e32 v75, v54, v65
	s_wait_alu 0xf1ff
	v_cndmask_b32_e64 v53, 0, v74, s0
	v_cmp_ge_i32_e64 s0, v54, v65
	v_and_b32_e32 v41, 63, v0
	v_mul_u32_u24_e32 v56, 3, v40
	v_add_nc_u32_e32 v23, 0x60, v34
	v_add_nc_u32_e32 v24, 0xc0, v25
	v_sub_nc_u32_e32 v47, v19, v8
	v_sub_nc_u32_e32 v69, v22, v21
	v_min_i32_e32 v46, v54, v46
	v_sub_nc_u32_e32 v76, v55, v68
	s_wait_alu 0xf1ff
	;; [unrolled: 11-line block ×4, first 2 shown]
	v_cndmask_b32_e64 v56, 0, v77, s0
	v_cmp_ge_i32_e64 s0, v57, v70
	v_mul_u32_u24_e32 v59, 3, v66
	v_sub_nc_u32_e32 v50, v25, v11
	v_sub_nc_u32_e32 v72, v28, v27
	v_min_i32_e32 v49, v57, v49
	v_sub_nc_u32_e32 v79, v58, v71
	s_wait_alu 0xf1ff
	v_cndmask_b32_e64 v57, 0, v78, s0
	v_cmp_ge_i32_e64 s0, v58, v71
	v_sub_nc_u32_e32 v51, v27, v12
	v_min_i32_e32 v50, v58, v50
	v_sub_nc_u32_e32 v80, v59, v72
	v_mul_u32_u24_e32 v1, 3, v0
	s_wait_alu 0xf1ff
	v_cndmask_b32_e64 v58, 0, v79, s0
	v_cmp_ge_i32_e64 s0, v59, v72
	v_min_i32_e32 v51, v59, v51
	v_mad_u32_u24 v2, v0, 3, 0x300
	v_subrev_nc_u32_e64 v3, 0x300, v1 clamp
	v_min_i32_e32 v4, 0x300, v1
	s_wait_alu 0xf1ff
	v_cndmask_b32_e64 v59, 0, v80, s0
	v_mad_u32_u24 v30, v37, 3, v30
	v_mad_u32_u24 v31, v38, 3, v31
	;; [unrolled: 1-line block ×13, first 2 shown]
	v_cmp_lt_i32_e64 s0, v52, v44
	v_cmp_lt_i32_e64 s1, v53, v45
	;; [unrolled: 1-line block ×8, first 2 shown]
	s_mov_b32 s15, s21
	v_cmp_lt_i32_e32 vcc_lo, v3, v4
	s_wait_loadcnt 0x2
	v_add_nc_u16 v63, v60, 1
	s_wait_loadcnt 0x1
	v_perm_b32 v65, v60, v61, 0xc0c0004
	s_wait_loadcnt 0x0
	v_lshlrev_b32_e32 v68, 16, v64
	v_add_nc_u16 v62, v61, 1
	v_add_nc_u16 v61, v64, 1
	v_mad_u32_u24 v60, v66, 3, v67
	s_delay_alu instid0(VALU_DEP_4)
	v_or_b32_e32 v65, v65, v68
	s_branch .LBB115_2
.LBB115_1:                              ;   in Loop: Header=BB115_2 Depth=1
	s_or_b32 exec_lo, exec_lo, s10
	s_wait_dscnt 0x0
	s_delay_alu instid0(VALU_DEP_1)
	v_and_b32_e32 v75, 0xff, v73
	v_and_b32_e32 v76, 0xff, v74
	v_cndmask_b32_e64 v67, v66, v67, s8
	v_cndmask_b32_e64 v66, v68, v69, s9
	v_cmp_le_i32_e64 s9, 0x300, v71
	v_cndmask_b32_e64 v65, v64, v65, s8
	v_cmp_lt_u16_e64 s10, v76, v75
	v_cmp_gt_i32_e64 s8, 0x600, v70
	s_wait_loadcnt 0x0
	s_barrier_signal -1
	s_barrier_wait -1
	s_or_b32 s9, s9, s10
	global_inv scope:SCOPE_SE
	s_wait_alu 0xfffe
	s_and_b32 s8, s8, s9
	ds_store_b8 v1, v61
	ds_store_b8 v1, v63 offset:1
	ds_store_b8 v1, v62 offset:2
	s_wait_alu 0xfffe
	v_cndmask_b32_e64 v70, v71, v70, s8
	s_wait_loadcnt_dscnt 0x0
	s_barrier_signal -1
	s_barrier_wait -1
	global_inv scope:SCOPE_SE
	ds_load_u8 v63, v65
	ds_load_u8 v62, v72
	;; [unrolled: 1-line block ×3, first 2 shown]
	v_lshlrev_b16 v68, 8, v66
	v_and_b32_e32 v69, 0xff, v67
	v_cndmask_b32_e64 v64, v73, v74, s8
	s_add_co_i32 s15, s15, 1
	s_delay_alu instid0(SALU_CYCLE_1) | instskip(NEXT) | instid1(VALU_DEP_2)
	s_cmp_eq_u32 s15, 10
	v_or_b32_e32 v65, v69, v68
	s_delay_alu instid0(VALU_DEP_2) | instskip(NEXT) | instid1(VALU_DEP_2)
	v_and_b32_e32 v68, 0xff, v64
	v_and_b32_e32 v65, 0xffff, v65
	s_delay_alu instid0(VALU_DEP_2) | instskip(NEXT) | instid1(VALU_DEP_1)
	v_lshlrev_b32_e32 v68, 16, v68
	v_or_b32_e32 v65, v65, v68
	s_cbranch_scc1 .LBB115_110
.LBB115_2:                              ; =>This Loop Header: Depth=1
                                        ;     Child Loop BB115_4 Depth 2
                                        ;     Child Loop BB115_16 Depth 2
	;; [unrolled: 1-line block ×9, first 2 shown]
	s_delay_alu instid0(VALU_DEP_1) | instskip(SKIP_3) | instid1(VALU_DEP_3)
	v_lshrrev_b32_e32 v64, 8, v65
	v_and_b32_e32 v66, 0xff, v65
	v_perm_b32 v67, v65, v65, 0x7060405
	s_barrier_signal -1
	v_and_b32_e32 v64, 0xff, v64
	s_barrier_wait -1
	global_inv scope:SCOPE_SE
	v_cmp_lt_u16_e64 s9, v64, v66
	v_max_u16 v64, v64, v66
	s_wait_alu 0xf1ff
	s_delay_alu instid0(VALU_DEP_2) | instskip(NEXT) | instid1(VALU_DEP_1)
	v_cndmask_b32_e64 v65, v65, v67, s9
	v_lshrrev_b32_e32 v67, 16, v65
	v_and_b32_e32 v66, 0xff, v65
	s_delay_alu instid0(VALU_DEP_2) | instskip(SKIP_2) | instid1(VALU_DEP_3)
	v_lshlrev_b16 v68, 8, v67
	v_and_b32_e32 v69, 0xffffff00, v67
	v_and_b32_e32 v67, 0xff, v67
	v_or_b32_e32 v66, v66, v68
	s_delay_alu instid0(VALU_DEP_3) | instskip(NEXT) | instid1(VALU_DEP_3)
	v_or_b32_e32 v68, v64, v69
	v_cmp_lt_u16_e64 s10, v67, v64
	v_min_u16 v64, v67, v64
	s_delay_alu instid0(VALU_DEP_4) | instskip(NEXT) | instid1(VALU_DEP_4)
	v_and_b32_e32 v66, 0xffff, v66
	v_lshlrev_b32_e32 v68, 16, v68
	s_delay_alu instid0(VALU_DEP_1) | instskip(SKIP_1) | instid1(VALU_DEP_1)
	v_or_b32_e32 v66, v66, v68
	s_wait_alu 0xf1ff
	v_cndmask_b32_e64 v65, v65, v66, s10
	s_delay_alu instid0(VALU_DEP_1) | instskip(SKIP_1) | instid1(VALU_DEP_2)
	v_lshlrev_b16 v66, 8, v65
	v_and_b32_e32 v67, 0xff, v65
	v_or_b32_e32 v66, v64, v66
	s_delay_alu instid0(VALU_DEP_2) | instskip(NEXT) | instid1(VALU_DEP_2)
	v_cmp_lt_u16_e64 s8, v64, v67
	v_and_b32_e32 v66, 0xffff, v66
	s_delay_alu instid0(VALU_DEP_1) | instskip(SKIP_1) | instid1(VALU_DEP_1)
	v_and_or_b32 v66, 0xffff0000, v65, v66
	s_wait_alu 0xf1ff
	v_cndmask_b32_e64 v64, v65, v66, s8
	v_mov_b32_e32 v66, v52
	s_delay_alu instid0(VALU_DEP_2)
	v_lshrrev_b32_e32 v65, 8, v64
	ds_store_b8 v1, v64
	ds_store_b8 v1, v65 offset:1
	ds_store_b8_d16_hi v1, v64 offset:2
	s_wait_loadcnt_dscnt 0x0
	s_barrier_signal -1
	s_barrier_wait -1
	global_inv scope:SCOPE_SE
	s_and_saveexec_b32 s12, s0
	s_cbranch_execz .LBB115_6
; %bb.3:                                ;   in Loop: Header=BB115_2 Depth=1
	v_mov_b32_e32 v66, v52
	v_mov_b32_e32 v64, v44
	s_mov_b32 s13, 0
.LBB115_4:                              ;   Parent Loop BB115_2 Depth=1
                                        ; =>  This Inner Loop Header: Depth=2
	s_delay_alu instid0(VALU_DEP_1) | instskip(NEXT) | instid1(VALU_DEP_1)
	v_sub_nc_u32_e32 v65, v64, v66
	v_lshrrev_b32_e32 v65, 1, v65
	s_delay_alu instid0(VALU_DEP_1) | instskip(NEXT) | instid1(VALU_DEP_1)
	v_add_nc_u32_e32 v65, v65, v66
	v_add_nc_u32_e32 v67, v5, v65
	v_xad_u32 v68, v65, -1, v29
	v_add_nc_u32_e32 v69, 1, v65
	ds_load_u8 v67, v67
	ds_load_u8 v68, v68 offset:3
	s_wait_dscnt 0x0
	v_cmp_lt_u16_e64 s11, v68, v67
	s_wait_alu 0xf1ff
	s_delay_alu instid0(VALU_DEP_1) | instskip(SKIP_1) | instid1(VALU_DEP_1)
	v_cndmask_b32_e64 v64, v64, v65, s11
	v_cndmask_b32_e64 v66, v69, v66, s11
	v_cmp_ge_i32_e64 s11, v66, v64
	s_wait_alu 0xfffe
	s_or_b32 s13, s11, s13
	s_wait_alu 0xfffe
	s_and_not1_b32 exec_lo, exec_lo, s13
	s_cbranch_execnz .LBB115_4
; %bb.5:                                ;   in Loop: Header=BB115_2 Depth=1
	s_or_b32 exec_lo, exec_lo, s13
.LBB115_6:                              ;   in Loop: Header=BB115_2 Depth=1
	s_wait_alu 0xfffe
	s_or_b32 exec_lo, exec_lo, s12
	v_add_nc_u32_e32 v68, v66, v5
	v_sub_nc_u32_e32 v70, v29, v66
	v_sub_nc_u32_e32 v69, v36, v66
                                        ; implicit-def: $vgpr66
	ds_load_u8 v64, v68
	ds_load_u8 v65, v70 offset:3
	v_cmp_le_i32_e64 s11, v13, v68
	v_cmp_gt_i32_e64 s13, v14, v69
	s_wait_dscnt 0x1
	v_and_b32_e32 v67, 0xff, v64
	s_wait_dscnt 0x0
	v_and_b32_e32 v71, 0xff, v65
	s_delay_alu instid0(VALU_DEP_1)
	v_cmp_lt_u16_e64 s12, v71, v67
	s_or_b32 s11, s11, s12
	s_wait_alu 0xfffe
	s_and_b32 s11, s13, s11
	s_wait_alu 0xfffe
	s_xor_b32 s12, s11, -1
	s_wait_alu 0xfffe
	s_and_saveexec_b32 s13, s12
	s_wait_alu 0xfffe
	s_xor_b32 s12, exec_lo, s13
; %bb.7:                                ;   in Loop: Header=BB115_2 Depth=1
	ds_load_u8 v66, v68 offset:1
                                        ; implicit-def: $vgpr70
; %bb.8:                                ;   in Loop: Header=BB115_2 Depth=1
	s_wait_alu 0xfffe
	s_or_saveexec_b32 s12, s12
	v_mov_b32_e32 v67, v65
	s_wait_alu 0xfffe
	s_xor_b32 exec_lo, exec_lo, s12
	s_cbranch_execz .LBB115_10
; %bb.9:                                ;   in Loop: Header=BB115_2 Depth=1
	ds_load_u8 v67, v70 offset:4
	s_wait_dscnt 0x1
	v_mov_b32_e32 v66, v64
.LBB115_10:                             ;   in Loop: Header=BB115_2 Depth=1
	s_or_b32 exec_lo, exec_lo, s12
	v_add_nc_u32_e32 v70, 1, v68
	v_add_nc_u32_e32 v71, 1, v69
	s_wait_dscnt 0x0
	v_and_b32_e32 v73, 0xff, v66
	s_delay_alu instid0(VALU_DEP_3) | instskip(SKIP_2) | instid1(VALU_DEP_3)
	v_cndmask_b32_e64 v72, v70, v68, s11
	v_and_b32_e32 v70, 0xff, v67
	v_cndmask_b32_e64 v71, v69, v71, s11
	v_cmp_ge_i32_e64 s12, v72, v13
	s_delay_alu instid0(VALU_DEP_3) | instskip(NEXT) | instid1(VALU_DEP_3)
	v_cmp_lt_u16_e64 s13, v70, v73
	v_cmp_lt_i32_e64 s14, v71, v14
                                        ; implicit-def: $vgpr70
	s_or_b32 s12, s12, s13
	s_wait_alu 0xfffe
	s_and_b32 s12, s14, s12
	s_wait_alu 0xfffe
	s_xor_b32 s13, s12, -1
	s_wait_alu 0xfffe
	s_and_saveexec_b32 s14, s13
	s_delay_alu instid0(SALU_CYCLE_1)
	s_xor_b32 s13, exec_lo, s14
; %bb.11:                               ;   in Loop: Header=BB115_2 Depth=1
	ds_load_u8 v70, v72 offset:1
; %bb.12:                               ;   in Loop: Header=BB115_2 Depth=1
	s_wait_alu 0xfffe
	s_or_saveexec_b32 s13, s13
	v_mov_b32_e32 v73, v67
	s_wait_alu 0xfffe
	s_xor_b32 exec_lo, exec_lo, s13
	s_cbranch_execz .LBB115_14
; %bb.13:                               ;   in Loop: Header=BB115_2 Depth=1
	ds_load_u8 v73, v71 offset:1
	s_wait_dscnt 0x1
	v_mov_b32_e32 v70, v66
.LBB115_14:                             ;   in Loop: Header=BB115_2 Depth=1
	s_or_b32 exec_lo, exec_lo, s13
	v_perm_b32 v74, v62, v63, 0xc0c0004
	v_perm_b32 v62, v63, v62, 0xc0c0004
	v_and_b32_e32 v63, 0xff, v61
	v_cndmask_b32_e64 v68, v68, v69, s11
	s_wait_dscnt 0x0
	v_and_b32_e32 v75, 0xff, v70
	v_and_b32_e32 v76, 0xff, v73
	v_cndmask_b32_e64 v62, v62, v74, s9
	v_lshlrev_b32_e32 v63, 16, v63
	s_wait_loadcnt 0x0
	s_barrier_signal -1
	v_cmp_lt_u16_e64 s9, v76, v75
	v_lshrrev_b16 v74, 8, v62
	v_perm_b32 v61, v62, v61, 0xc0c0004
	v_or_b32_e32 v62, v62, v63
	v_add_nc_u32_e32 v63, 1, v72
	s_barrier_wait -1
	v_lshlrev_b32_e32 v74, 16, v74
	global_inv scope:SCOPE_SE
	v_cndmask_b32_e64 v64, v64, v65, s11
	v_cndmask_b32_e64 v63, v63, v72, s12
	;; [unrolled: 1-line block ×3, first 2 shown]
	v_or_b32_e32 v61, v61, v74
	v_cndmask_b32_e64 v74, v72, v71, s12
	s_delay_alu instid0(VALU_DEP_2) | instskip(SKIP_2) | instid1(VALU_DEP_3)
	v_cndmask_b32_e64 v61, v62, v61, s10
	v_add_nc_u32_e32 v62, 1, v71
	v_cmp_ge_i32_e64 s10, v63, v13
	v_perm_b32 v69, 0, v61, 0xc0c0001
	s_delay_alu instid0(VALU_DEP_3) | instskip(SKIP_1) | instid1(VALU_DEP_2)
	v_cndmask_b32_e64 v62, v71, v62, s12
	s_or_b32 s9, s10, s9
	v_and_or_b32 v69, 0xff0000, v61, v69
	s_delay_alu instid0(VALU_DEP_1) | instskip(NEXT) | instid1(VALU_DEP_3)
	v_cndmask_b32_e64 v61, v61, v69, s8
	v_cmp_lt_i32_e64 s8, v62, v14
	s_delay_alu instid0(VALU_DEP_2)
	v_lshrrev_b32_e32 v69, 8, v61
	s_wait_alu 0xfffe
	s_and_b32 s8, s8, s9
	ds_store_b8 v1, v61
	ds_store_b8 v1, v69 offset:1
	ds_store_b8_d16_hi v1, v61 offset:2
	s_wait_alu 0xfffe
	v_cndmask_b32_e64 v62, v63, v62, s8
	s_wait_loadcnt_dscnt 0x0
	s_barrier_signal -1
	s_barrier_wait -1
	global_inv scope:SCOPE_SE
	ds_load_u8 v61, v68
	ds_load_u8 v62, v62
	;; [unrolled: 1-line block ×3, first 2 shown]
	v_cndmask_b32_e64 v70, v70, v73, s8
	s_wait_loadcnt_dscnt 0x0
	s_barrier_signal -1
	s_barrier_wait -1
	global_inv scope:SCOPE_SE
	ds_store_b8 v1, v64
	ds_store_b8 v1, v66 offset:1
	ds_store_b8 v1, v70 offset:2
	v_mov_b32_e32 v66, v53
	s_wait_loadcnt_dscnt 0x0
	s_barrier_signal -1
	s_barrier_wait -1
	global_inv scope:SCOPE_SE
	s_and_saveexec_b32 s9, s1
	s_cbranch_execz .LBB115_18
; %bb.15:                               ;   in Loop: Header=BB115_2 Depth=1
	v_mov_b32_e32 v66, v53
	v_mov_b32_e32 v64, v45
	s_mov_b32 s10, 0
.LBB115_16:                             ;   Parent Loop BB115_2 Depth=1
                                        ; =>  This Inner Loop Header: Depth=2
	s_delay_alu instid0(VALU_DEP_1) | instskip(NEXT) | instid1(VALU_DEP_1)
	v_sub_nc_u32_e32 v65, v64, v66
	v_lshrrev_b32_e32 v65, 1, v65
	s_delay_alu instid0(VALU_DEP_1) | instskip(NEXT) | instid1(VALU_DEP_1)
	v_add_nc_u32_e32 v65, v65, v66
	v_add_nc_u32_e32 v67, v6, v65
	v_xad_u32 v68, v65, -1, v30
	v_add_nc_u32_e32 v69, 1, v65
	ds_load_u8 v67, v67
	ds_load_u8 v68, v68 offset:6
	s_wait_dscnt 0x0
	v_cmp_lt_u16_e64 s8, v68, v67
	s_wait_alu 0xf1ff
	s_delay_alu instid0(VALU_DEP_1) | instskip(SKIP_1) | instid1(VALU_DEP_1)
	v_cndmask_b32_e64 v64, v64, v65, s8
	v_cndmask_b32_e64 v66, v69, v66, s8
	v_cmp_ge_i32_e64 s8, v66, v64
	s_wait_alu 0xfffe
	s_or_b32 s10, s8, s10
	s_wait_alu 0xfffe
	s_and_not1_b32 exec_lo, exec_lo, s10
	s_cbranch_execnz .LBB115_16
; %bb.17:                               ;   in Loop: Header=BB115_2 Depth=1
	s_or_b32 exec_lo, exec_lo, s10
.LBB115_18:                             ;   in Loop: Header=BB115_2 Depth=1
	s_wait_alu 0xfffe
	s_or_b32 exec_lo, exec_lo, s9
	v_add_nc_u32_e32 v67, v66, v6
	v_sub_nc_u32_e32 v70, v30, v66
	v_sub_nc_u32_e32 v68, v37, v66
                                        ; implicit-def: $vgpr66
	ds_load_u8 v64, v67
	ds_load_u8 v65, v70 offset:6
	v_cmp_le_i32_e64 s8, v15, v67
	v_cmp_gt_i32_e64 s10, v16, v68
	s_wait_dscnt 0x1
	v_and_b32_e32 v69, 0xff, v64
	s_wait_dscnt 0x0
	v_and_b32_e32 v71, 0xff, v65
	s_delay_alu instid0(VALU_DEP_1)
	v_cmp_lt_u16_e64 s9, v71, v69
	s_or_b32 s8, s8, s9
	s_wait_alu 0xfffe
	s_and_b32 s8, s10, s8
	s_wait_alu 0xfffe
	s_xor_b32 s9, s8, -1
	s_wait_alu 0xfffe
	s_and_saveexec_b32 s10, s9
	s_wait_alu 0xfffe
	s_xor_b32 s9, exec_lo, s10
; %bb.19:                               ;   in Loop: Header=BB115_2 Depth=1
	ds_load_u8 v66, v67 offset:1
                                        ; implicit-def: $vgpr70
; %bb.20:                               ;   in Loop: Header=BB115_2 Depth=1
	s_wait_alu 0xfffe
	s_or_saveexec_b32 s9, s9
	v_mov_b32_e32 v69, v65
	s_wait_alu 0xfffe
	s_xor_b32 exec_lo, exec_lo, s9
	s_cbranch_execz .LBB115_22
; %bb.21:                               ;   in Loop: Header=BB115_2 Depth=1
	ds_load_u8 v69, v70 offset:7
	s_wait_dscnt 0x1
	v_mov_b32_e32 v66, v64
.LBB115_22:                             ;   in Loop: Header=BB115_2 Depth=1
	s_or_b32 exec_lo, exec_lo, s9
	v_add_nc_u32_e32 v70, 1, v67
	v_add_nc_u32_e32 v72, 1, v68
	s_wait_dscnt 0x0
	v_and_b32_e32 v73, 0xff, v66
	s_delay_alu instid0(VALU_DEP_3) | instskip(SKIP_2) | instid1(VALU_DEP_3)
	v_cndmask_b32_e64 v71, v70, v67, s8
	v_and_b32_e32 v70, 0xff, v69
	v_cndmask_b32_e64 v72, v68, v72, s8
	v_cmp_ge_i32_e64 s9, v71, v15
	s_delay_alu instid0(VALU_DEP_3) | instskip(NEXT) | instid1(VALU_DEP_3)
	v_cmp_lt_u16_e64 s10, v70, v73
	v_cmp_lt_i32_e64 s11, v72, v16
                                        ; implicit-def: $vgpr70
	s_or_b32 s9, s9, s10
	s_wait_alu 0xfffe
	s_and_b32 s9, s11, s9
	s_wait_alu 0xfffe
	s_xor_b32 s10, s9, -1
	s_wait_alu 0xfffe
	s_and_saveexec_b32 s11, s10
	s_wait_alu 0xfffe
	s_xor_b32 s10, exec_lo, s11
; %bb.23:                               ;   in Loop: Header=BB115_2 Depth=1
	ds_load_u8 v70, v71 offset:1
; %bb.24:                               ;   in Loop: Header=BB115_2 Depth=1
	s_wait_alu 0xfffe
	s_or_saveexec_b32 s10, s10
	v_mov_b32_e32 v73, v69
	s_wait_alu 0xfffe
	s_xor_b32 exec_lo, exec_lo, s10
	s_cbranch_execz .LBB115_26
; %bb.25:                               ;   in Loop: Header=BB115_2 Depth=1
	ds_load_u8 v73, v72 offset:1
	s_wait_dscnt 0x1
	v_mov_b32_e32 v70, v66
.LBB115_26:                             ;   in Loop: Header=BB115_2 Depth=1
	s_or_b32 exec_lo, exec_lo, s10
	v_add_nc_u32_e32 v74, 1, v71
	v_add_nc_u32_e32 v75, 1, v72
	s_wait_dscnt 0x0
	v_and_b32_e32 v76, 0xff, v70
	v_and_b32_e32 v77, 0xff, v73
	v_cndmask_b32_e64 v67, v67, v68, s8
	v_cndmask_b32_e64 v74, v74, v71, s9
	;; [unrolled: 1-line block ×4, first 2 shown]
	v_cmp_lt_u16_e64 s10, v77, v76
	s_wait_loadcnt 0x0
	v_cmp_ge_i32_e64 s11, v74, v15
	s_barrier_signal -1
	v_cmp_lt_i32_e64 s12, v72, v16
	s_barrier_wait -1
	global_inv scope:SCOPE_SE
	s_or_b32 s10, s11, s10
	ds_store_b8 v1, v61
	ds_store_b8 v1, v63 offset:1
	ds_store_b8 v1, v62 offset:2
	s_wait_alu 0xfffe
	s_and_b32 s10, s12, s10
	s_wait_loadcnt_dscnt 0x0
	s_wait_alu 0xfffe
	v_cndmask_b32_e64 v68, v70, v73, s10
	v_cndmask_b32_e64 v70, v74, v72, s10
	s_barrier_signal -1
	s_barrier_wait -1
	global_inv scope:SCOPE_SE
	ds_load_u8 v61, v67
	ds_load_u8 v62, v70
	;; [unrolled: 1-line block ×3, first 2 shown]
	v_cndmask_b32_e64 v64, v64, v65, s8
	v_cndmask_b32_e64 v66, v66, v69, s9
	s_wait_loadcnt_dscnt 0x0
	s_barrier_signal -1
	s_barrier_wait -1
	global_inv scope:SCOPE_SE
	ds_store_b8 v1, v64
	ds_store_b8 v1, v66 offset:1
	ds_store_b8 v1, v68 offset:2
	v_mov_b32_e32 v66, v54
	s_wait_loadcnt_dscnt 0x0
	s_barrier_signal -1
	s_barrier_wait -1
	global_inv scope:SCOPE_SE
	s_and_saveexec_b32 s9, s2
	s_cbranch_execz .LBB115_30
; %bb.27:                               ;   in Loop: Header=BB115_2 Depth=1
	v_mov_b32_e32 v66, v54
	v_mov_b32_e32 v64, v46
	s_mov_b32 s10, 0
.LBB115_28:                             ;   Parent Loop BB115_2 Depth=1
                                        ; =>  This Inner Loop Header: Depth=2
	s_delay_alu instid0(VALU_DEP_1) | instskip(NEXT) | instid1(VALU_DEP_1)
	v_sub_nc_u32_e32 v65, v64, v66
	v_lshrrev_b32_e32 v65, 1, v65
	s_delay_alu instid0(VALU_DEP_1) | instskip(NEXT) | instid1(VALU_DEP_1)
	v_add_nc_u32_e32 v65, v65, v66
	v_add_nc_u32_e32 v67, v7, v65
	v_xad_u32 v68, v65, -1, v31
	v_add_nc_u32_e32 v69, 1, v65
	ds_load_u8 v67, v67
	ds_load_u8 v68, v68 offset:12
	s_wait_dscnt 0x0
	v_cmp_lt_u16_e64 s8, v68, v67
	s_wait_alu 0xf1ff
	s_delay_alu instid0(VALU_DEP_1) | instskip(SKIP_1) | instid1(VALU_DEP_1)
	v_cndmask_b32_e64 v64, v64, v65, s8
	v_cndmask_b32_e64 v66, v69, v66, s8
	v_cmp_ge_i32_e64 s8, v66, v64
	s_wait_alu 0xfffe
	s_or_b32 s10, s8, s10
	s_wait_alu 0xfffe
	s_and_not1_b32 exec_lo, exec_lo, s10
	s_cbranch_execnz .LBB115_28
; %bb.29:                               ;   in Loop: Header=BB115_2 Depth=1
	s_or_b32 exec_lo, exec_lo, s10
.LBB115_30:                             ;   in Loop: Header=BB115_2 Depth=1
	s_wait_alu 0xfffe
	s_or_b32 exec_lo, exec_lo, s9
	v_add_nc_u32_e32 v67, v66, v7
	v_sub_nc_u32_e32 v70, v31, v66
	v_sub_nc_u32_e32 v68, v38, v66
                                        ; implicit-def: $vgpr66
	ds_load_u8 v64, v67
	ds_load_u8 v65, v70 offset:12
	v_cmp_le_i32_e64 s8, v17, v67
	v_cmp_gt_i32_e64 s10, v18, v68
	s_wait_dscnt 0x1
	v_and_b32_e32 v69, 0xff, v64
	s_wait_dscnt 0x0
	v_and_b32_e32 v71, 0xff, v65
	s_delay_alu instid0(VALU_DEP_1)
	v_cmp_lt_u16_e64 s9, v71, v69
	s_or_b32 s8, s8, s9
	s_wait_alu 0xfffe
	s_and_b32 s8, s10, s8
	s_wait_alu 0xfffe
	s_xor_b32 s9, s8, -1
	s_wait_alu 0xfffe
	s_and_saveexec_b32 s10, s9
	s_wait_alu 0xfffe
	s_xor_b32 s9, exec_lo, s10
; %bb.31:                               ;   in Loop: Header=BB115_2 Depth=1
	ds_load_u8 v66, v67 offset:1
                                        ; implicit-def: $vgpr70
; %bb.32:                               ;   in Loop: Header=BB115_2 Depth=1
	s_wait_alu 0xfffe
	s_or_saveexec_b32 s9, s9
	v_mov_b32_e32 v69, v65
	s_wait_alu 0xfffe
	s_xor_b32 exec_lo, exec_lo, s9
	s_cbranch_execz .LBB115_34
; %bb.33:                               ;   in Loop: Header=BB115_2 Depth=1
	ds_load_u8 v69, v70 offset:13
	s_wait_dscnt 0x1
	v_mov_b32_e32 v66, v64
.LBB115_34:                             ;   in Loop: Header=BB115_2 Depth=1
	s_or_b32 exec_lo, exec_lo, s9
	v_add_nc_u32_e32 v70, 1, v67
	v_add_nc_u32_e32 v72, 1, v68
	s_wait_dscnt 0x0
	v_and_b32_e32 v73, 0xff, v66
	s_delay_alu instid0(VALU_DEP_3) | instskip(SKIP_2) | instid1(VALU_DEP_3)
	v_cndmask_b32_e64 v71, v70, v67, s8
	v_and_b32_e32 v70, 0xff, v69
	v_cndmask_b32_e64 v72, v68, v72, s8
	v_cmp_ge_i32_e64 s9, v71, v17
	s_delay_alu instid0(VALU_DEP_3) | instskip(NEXT) | instid1(VALU_DEP_3)
	v_cmp_lt_u16_e64 s10, v70, v73
	v_cmp_lt_i32_e64 s11, v72, v18
                                        ; implicit-def: $vgpr70
	s_or_b32 s9, s9, s10
	s_wait_alu 0xfffe
	s_and_b32 s9, s11, s9
	s_wait_alu 0xfffe
	s_xor_b32 s10, s9, -1
	s_wait_alu 0xfffe
	s_and_saveexec_b32 s11, s10
	s_wait_alu 0xfffe
	s_xor_b32 s10, exec_lo, s11
; %bb.35:                               ;   in Loop: Header=BB115_2 Depth=1
	ds_load_u8 v70, v71 offset:1
; %bb.36:                               ;   in Loop: Header=BB115_2 Depth=1
	s_wait_alu 0xfffe
	s_or_saveexec_b32 s10, s10
	v_mov_b32_e32 v73, v69
	s_wait_alu 0xfffe
	s_xor_b32 exec_lo, exec_lo, s10
	s_cbranch_execz .LBB115_38
; %bb.37:                               ;   in Loop: Header=BB115_2 Depth=1
	ds_load_u8 v73, v72 offset:1
	s_wait_dscnt 0x1
	v_mov_b32_e32 v70, v66
.LBB115_38:                             ;   in Loop: Header=BB115_2 Depth=1
	s_or_b32 exec_lo, exec_lo, s10
	v_add_nc_u32_e32 v74, 1, v71
	v_add_nc_u32_e32 v75, 1, v72
	s_wait_dscnt 0x0
	v_and_b32_e32 v76, 0xff, v70
	v_and_b32_e32 v77, 0xff, v73
	v_cndmask_b32_e64 v67, v67, v68, s8
	v_cndmask_b32_e64 v74, v74, v71, s9
	;; [unrolled: 1-line block ×4, first 2 shown]
	v_cmp_lt_u16_e64 s10, v77, v76
	s_wait_loadcnt 0x0
	v_cmp_ge_i32_e64 s11, v74, v17
	s_barrier_signal -1
	v_cmp_lt_i32_e64 s12, v72, v18
	s_barrier_wait -1
	global_inv scope:SCOPE_SE
	s_or_b32 s10, s11, s10
	ds_store_b8 v1, v61
	ds_store_b8 v1, v63 offset:1
	ds_store_b8 v1, v62 offset:2
	s_wait_alu 0xfffe
	s_and_b32 s10, s12, s10
	s_wait_loadcnt_dscnt 0x0
	s_wait_alu 0xfffe
	v_cndmask_b32_e64 v68, v70, v73, s10
	v_cndmask_b32_e64 v70, v74, v72, s10
	s_barrier_signal -1
	s_barrier_wait -1
	global_inv scope:SCOPE_SE
	ds_load_u8 v61, v67
	ds_load_u8 v62, v70
	;; [unrolled: 1-line block ×3, first 2 shown]
	v_cndmask_b32_e64 v64, v64, v65, s8
	v_cndmask_b32_e64 v66, v66, v69, s9
	s_wait_loadcnt_dscnt 0x0
	s_barrier_signal -1
	s_barrier_wait -1
	global_inv scope:SCOPE_SE
	ds_store_b8 v1, v64
	ds_store_b8 v1, v66 offset:1
	ds_store_b8 v1, v68 offset:2
	v_mov_b32_e32 v66, v55
	s_wait_loadcnt_dscnt 0x0
	s_barrier_signal -1
	s_barrier_wait -1
	global_inv scope:SCOPE_SE
	s_and_saveexec_b32 s9, s3
	s_cbranch_execz .LBB115_42
; %bb.39:                               ;   in Loop: Header=BB115_2 Depth=1
	v_mov_b32_e32 v66, v55
	v_mov_b32_e32 v64, v47
	s_mov_b32 s10, 0
.LBB115_40:                             ;   Parent Loop BB115_2 Depth=1
                                        ; =>  This Inner Loop Header: Depth=2
	s_delay_alu instid0(VALU_DEP_1) | instskip(NEXT) | instid1(VALU_DEP_1)
	v_sub_nc_u32_e32 v65, v64, v66
	v_lshrrev_b32_e32 v65, 1, v65
	s_delay_alu instid0(VALU_DEP_1) | instskip(NEXT) | instid1(VALU_DEP_1)
	v_add_nc_u32_e32 v65, v65, v66
	v_add_nc_u32_e32 v67, v8, v65
	v_xad_u32 v68, v65, -1, v32
	v_add_nc_u32_e32 v69, 1, v65
	ds_load_u8 v67, v67
	ds_load_u8 v68, v68 offset:24
	s_wait_dscnt 0x0
	v_cmp_lt_u16_e64 s8, v68, v67
	s_wait_alu 0xf1ff
	s_delay_alu instid0(VALU_DEP_1) | instskip(SKIP_1) | instid1(VALU_DEP_1)
	v_cndmask_b32_e64 v64, v64, v65, s8
	v_cndmask_b32_e64 v66, v69, v66, s8
	v_cmp_ge_i32_e64 s8, v66, v64
	s_wait_alu 0xfffe
	s_or_b32 s10, s8, s10
	s_wait_alu 0xfffe
	s_and_not1_b32 exec_lo, exec_lo, s10
	s_cbranch_execnz .LBB115_40
; %bb.41:                               ;   in Loop: Header=BB115_2 Depth=1
	s_or_b32 exec_lo, exec_lo, s10
.LBB115_42:                             ;   in Loop: Header=BB115_2 Depth=1
	s_wait_alu 0xfffe
	s_or_b32 exec_lo, exec_lo, s9
	v_add_nc_u32_e32 v67, v66, v8
	v_sub_nc_u32_e32 v70, v32, v66
	v_sub_nc_u32_e32 v68, v39, v66
                                        ; implicit-def: $vgpr66
	ds_load_u8 v64, v67
	ds_load_u8 v65, v70 offset:24
	v_cmp_le_i32_e64 s8, v19, v67
	v_cmp_gt_i32_e64 s10, v20, v68
	s_wait_dscnt 0x1
	v_and_b32_e32 v69, 0xff, v64
	s_wait_dscnt 0x0
	v_and_b32_e32 v71, 0xff, v65
	s_delay_alu instid0(VALU_DEP_1)
	v_cmp_lt_u16_e64 s9, v71, v69
	s_or_b32 s8, s8, s9
	s_wait_alu 0xfffe
	s_and_b32 s8, s10, s8
	s_wait_alu 0xfffe
	s_xor_b32 s9, s8, -1
	s_wait_alu 0xfffe
	s_and_saveexec_b32 s10, s9
	s_wait_alu 0xfffe
	s_xor_b32 s9, exec_lo, s10
; %bb.43:                               ;   in Loop: Header=BB115_2 Depth=1
	ds_load_u8 v66, v67 offset:1
                                        ; implicit-def: $vgpr70
; %bb.44:                               ;   in Loop: Header=BB115_2 Depth=1
	s_wait_alu 0xfffe
	s_or_saveexec_b32 s9, s9
	v_mov_b32_e32 v69, v65
	s_wait_alu 0xfffe
	s_xor_b32 exec_lo, exec_lo, s9
	s_cbranch_execz .LBB115_46
; %bb.45:                               ;   in Loop: Header=BB115_2 Depth=1
	ds_load_u8 v69, v70 offset:25
	s_wait_dscnt 0x1
	v_mov_b32_e32 v66, v64
.LBB115_46:                             ;   in Loop: Header=BB115_2 Depth=1
	s_or_b32 exec_lo, exec_lo, s9
	v_add_nc_u32_e32 v70, 1, v67
	v_add_nc_u32_e32 v72, 1, v68
	s_wait_dscnt 0x0
	v_and_b32_e32 v73, 0xff, v66
	s_delay_alu instid0(VALU_DEP_3) | instskip(SKIP_2) | instid1(VALU_DEP_3)
	v_cndmask_b32_e64 v71, v70, v67, s8
	v_and_b32_e32 v70, 0xff, v69
	v_cndmask_b32_e64 v72, v68, v72, s8
	v_cmp_ge_i32_e64 s9, v71, v19
	s_delay_alu instid0(VALU_DEP_3) | instskip(NEXT) | instid1(VALU_DEP_3)
	v_cmp_lt_u16_e64 s10, v70, v73
	v_cmp_lt_i32_e64 s11, v72, v20
                                        ; implicit-def: $vgpr70
	s_or_b32 s9, s9, s10
	s_wait_alu 0xfffe
	s_and_b32 s9, s11, s9
	s_wait_alu 0xfffe
	s_xor_b32 s10, s9, -1
	s_wait_alu 0xfffe
	s_and_saveexec_b32 s11, s10
	s_wait_alu 0xfffe
	s_xor_b32 s10, exec_lo, s11
; %bb.47:                               ;   in Loop: Header=BB115_2 Depth=1
	ds_load_u8 v70, v71 offset:1
; %bb.48:                               ;   in Loop: Header=BB115_2 Depth=1
	s_wait_alu 0xfffe
	s_or_saveexec_b32 s10, s10
	v_mov_b32_e32 v73, v69
	s_wait_alu 0xfffe
	s_xor_b32 exec_lo, exec_lo, s10
	s_cbranch_execz .LBB115_50
; %bb.49:                               ;   in Loop: Header=BB115_2 Depth=1
	ds_load_u8 v73, v72 offset:1
	s_wait_dscnt 0x1
	v_mov_b32_e32 v70, v66
.LBB115_50:                             ;   in Loop: Header=BB115_2 Depth=1
	s_or_b32 exec_lo, exec_lo, s10
	v_add_nc_u32_e32 v74, 1, v71
	v_add_nc_u32_e32 v75, 1, v72
	s_wait_dscnt 0x0
	v_and_b32_e32 v76, 0xff, v70
	v_and_b32_e32 v77, 0xff, v73
	v_cndmask_b32_e64 v67, v67, v68, s8
	v_cndmask_b32_e64 v74, v74, v71, s9
	;; [unrolled: 1-line block ×4, first 2 shown]
	v_cmp_lt_u16_e64 s10, v77, v76
	s_wait_loadcnt 0x0
	v_cmp_ge_i32_e64 s11, v74, v19
	s_barrier_signal -1
	v_cmp_lt_i32_e64 s12, v72, v20
	s_barrier_wait -1
	global_inv scope:SCOPE_SE
	s_or_b32 s10, s11, s10
	ds_store_b8 v1, v61
	ds_store_b8 v1, v63 offset:1
	ds_store_b8 v1, v62 offset:2
	s_wait_alu 0xfffe
	s_and_b32 s10, s12, s10
	s_wait_loadcnt_dscnt 0x0
	s_wait_alu 0xfffe
	v_cndmask_b32_e64 v68, v70, v73, s10
	v_cndmask_b32_e64 v70, v74, v72, s10
	s_barrier_signal -1
	s_barrier_wait -1
	global_inv scope:SCOPE_SE
	ds_load_u8 v61, v67
	ds_load_u8 v62, v70
	;; [unrolled: 1-line block ×3, first 2 shown]
	v_cndmask_b32_e64 v64, v64, v65, s8
	v_cndmask_b32_e64 v66, v66, v69, s9
	s_wait_loadcnt_dscnt 0x0
	s_barrier_signal -1
	s_barrier_wait -1
	global_inv scope:SCOPE_SE
	ds_store_b8 v1, v64
	ds_store_b8 v1, v66 offset:1
	ds_store_b8 v1, v68 offset:2
	v_mov_b32_e32 v66, v56
	s_wait_loadcnt_dscnt 0x0
	s_barrier_signal -1
	s_barrier_wait -1
	global_inv scope:SCOPE_SE
	s_and_saveexec_b32 s9, s4
	s_cbranch_execz .LBB115_54
; %bb.51:                               ;   in Loop: Header=BB115_2 Depth=1
	v_mov_b32_e32 v66, v56
	v_mov_b32_e32 v64, v48
	s_mov_b32 s10, 0
.LBB115_52:                             ;   Parent Loop BB115_2 Depth=1
                                        ; =>  This Inner Loop Header: Depth=2
	s_delay_alu instid0(VALU_DEP_1) | instskip(NEXT) | instid1(VALU_DEP_1)
	v_sub_nc_u32_e32 v65, v64, v66
	v_lshrrev_b32_e32 v65, 1, v65
	s_delay_alu instid0(VALU_DEP_1) | instskip(NEXT) | instid1(VALU_DEP_1)
	v_add_nc_u32_e32 v65, v65, v66
	v_add_nc_u32_e32 v67, v9, v65
	v_xad_u32 v68, v65, -1, v33
	v_add_nc_u32_e32 v69, 1, v65
	ds_load_u8 v67, v67
	ds_load_u8 v68, v68 offset:48
	s_wait_dscnt 0x0
	v_cmp_lt_u16_e64 s8, v68, v67
	s_wait_alu 0xf1ff
	s_delay_alu instid0(VALU_DEP_1) | instskip(SKIP_1) | instid1(VALU_DEP_1)
	v_cndmask_b32_e64 v64, v64, v65, s8
	v_cndmask_b32_e64 v66, v69, v66, s8
	v_cmp_ge_i32_e64 s8, v66, v64
	s_wait_alu 0xfffe
	s_or_b32 s10, s8, s10
	s_wait_alu 0xfffe
	s_and_not1_b32 exec_lo, exec_lo, s10
	s_cbranch_execnz .LBB115_52
; %bb.53:                               ;   in Loop: Header=BB115_2 Depth=1
	s_or_b32 exec_lo, exec_lo, s10
.LBB115_54:                             ;   in Loop: Header=BB115_2 Depth=1
	s_wait_alu 0xfffe
	s_or_b32 exec_lo, exec_lo, s9
	v_add_nc_u32_e32 v67, v66, v9
	v_sub_nc_u32_e32 v70, v33, v66
	v_sub_nc_u32_e32 v68, v40, v66
                                        ; implicit-def: $vgpr66
	ds_load_u8 v64, v67
	ds_load_u8 v65, v70 offset:48
	v_cmp_le_i32_e64 s8, v21, v67
	v_cmp_gt_i32_e64 s10, v22, v68
	s_wait_dscnt 0x1
	v_and_b32_e32 v69, 0xff, v64
	s_wait_dscnt 0x0
	v_and_b32_e32 v71, 0xff, v65
	s_delay_alu instid0(VALU_DEP_1)
	v_cmp_lt_u16_e64 s9, v71, v69
	s_or_b32 s8, s8, s9
	s_wait_alu 0xfffe
	s_and_b32 s8, s10, s8
	s_wait_alu 0xfffe
	s_xor_b32 s9, s8, -1
	s_wait_alu 0xfffe
	s_and_saveexec_b32 s10, s9
	s_wait_alu 0xfffe
	s_xor_b32 s9, exec_lo, s10
; %bb.55:                               ;   in Loop: Header=BB115_2 Depth=1
	ds_load_u8 v66, v67 offset:1
                                        ; implicit-def: $vgpr70
; %bb.56:                               ;   in Loop: Header=BB115_2 Depth=1
	s_wait_alu 0xfffe
	s_or_saveexec_b32 s9, s9
	v_mov_b32_e32 v69, v65
	s_wait_alu 0xfffe
	s_xor_b32 exec_lo, exec_lo, s9
	s_cbranch_execz .LBB115_58
; %bb.57:                               ;   in Loop: Header=BB115_2 Depth=1
	ds_load_u8 v69, v70 offset:49
	s_wait_dscnt 0x1
	v_mov_b32_e32 v66, v64
.LBB115_58:                             ;   in Loop: Header=BB115_2 Depth=1
	s_or_b32 exec_lo, exec_lo, s9
	v_add_nc_u32_e32 v70, 1, v67
	v_add_nc_u32_e32 v72, 1, v68
	s_wait_dscnt 0x0
	v_and_b32_e32 v73, 0xff, v66
	s_delay_alu instid0(VALU_DEP_3) | instskip(SKIP_2) | instid1(VALU_DEP_3)
	v_cndmask_b32_e64 v71, v70, v67, s8
	v_and_b32_e32 v70, 0xff, v69
	v_cndmask_b32_e64 v72, v68, v72, s8
	v_cmp_ge_i32_e64 s9, v71, v21
	s_delay_alu instid0(VALU_DEP_3) | instskip(NEXT) | instid1(VALU_DEP_3)
	v_cmp_lt_u16_e64 s10, v70, v73
	v_cmp_lt_i32_e64 s11, v72, v22
                                        ; implicit-def: $vgpr70
	s_or_b32 s9, s9, s10
	s_wait_alu 0xfffe
	s_and_b32 s9, s11, s9
	s_wait_alu 0xfffe
	s_xor_b32 s10, s9, -1
	s_wait_alu 0xfffe
	s_and_saveexec_b32 s11, s10
	s_wait_alu 0xfffe
	s_xor_b32 s10, exec_lo, s11
; %bb.59:                               ;   in Loop: Header=BB115_2 Depth=1
	ds_load_u8 v70, v71 offset:1
; %bb.60:                               ;   in Loop: Header=BB115_2 Depth=1
	s_wait_alu 0xfffe
	s_or_saveexec_b32 s10, s10
	v_mov_b32_e32 v73, v69
	s_wait_alu 0xfffe
	s_xor_b32 exec_lo, exec_lo, s10
	s_cbranch_execz .LBB115_62
; %bb.61:                               ;   in Loop: Header=BB115_2 Depth=1
	ds_load_u8 v73, v72 offset:1
	s_wait_dscnt 0x1
	v_mov_b32_e32 v70, v66
.LBB115_62:                             ;   in Loop: Header=BB115_2 Depth=1
	s_or_b32 exec_lo, exec_lo, s10
	v_add_nc_u32_e32 v74, 1, v71
	v_add_nc_u32_e32 v75, 1, v72
	s_wait_dscnt 0x0
	v_and_b32_e32 v76, 0xff, v70
	v_and_b32_e32 v77, 0xff, v73
	v_cndmask_b32_e64 v67, v67, v68, s8
	v_cndmask_b32_e64 v74, v74, v71, s9
	v_cndmask_b32_e64 v71, v71, v72, s9
	v_cndmask_b32_e64 v72, v72, v75, s9
	v_cmp_lt_u16_e64 s10, v77, v76
	s_wait_loadcnt 0x0
	v_cmp_ge_i32_e64 s11, v74, v21
	s_barrier_signal -1
	v_cmp_lt_i32_e64 s12, v72, v22
	s_barrier_wait -1
	global_inv scope:SCOPE_SE
	s_or_b32 s10, s11, s10
	ds_store_b8 v1, v61
	ds_store_b8 v1, v63 offset:1
	ds_store_b8 v1, v62 offset:2
	s_wait_alu 0xfffe
	s_and_b32 s10, s12, s10
	s_wait_loadcnt_dscnt 0x0
	s_wait_alu 0xfffe
	v_cndmask_b32_e64 v68, v70, v73, s10
	v_cndmask_b32_e64 v70, v74, v72, s10
	s_barrier_signal -1
	s_barrier_wait -1
	global_inv scope:SCOPE_SE
	ds_load_u8 v61, v67
	ds_load_u8 v62, v70
	;; [unrolled: 1-line block ×3, first 2 shown]
	v_cndmask_b32_e64 v64, v64, v65, s8
	v_cndmask_b32_e64 v66, v66, v69, s9
	s_wait_loadcnt_dscnt 0x0
	s_barrier_signal -1
	s_barrier_wait -1
	global_inv scope:SCOPE_SE
	ds_store_b8 v1, v64
	ds_store_b8 v1, v66 offset:1
	ds_store_b8 v1, v68 offset:2
	v_mov_b32_e32 v66, v57
	s_wait_loadcnt_dscnt 0x0
	s_barrier_signal -1
	s_barrier_wait -1
	global_inv scope:SCOPE_SE
	s_and_saveexec_b32 s9, s5
	s_cbranch_execz .LBB115_66
; %bb.63:                               ;   in Loop: Header=BB115_2 Depth=1
	v_mov_b32_e32 v66, v57
	v_mov_b32_e32 v64, v49
	s_mov_b32 s10, 0
.LBB115_64:                             ;   Parent Loop BB115_2 Depth=1
                                        ; =>  This Inner Loop Header: Depth=2
	s_delay_alu instid0(VALU_DEP_1) | instskip(NEXT) | instid1(VALU_DEP_1)
	v_sub_nc_u32_e32 v65, v64, v66
	v_lshrrev_b32_e32 v65, 1, v65
	s_delay_alu instid0(VALU_DEP_1) | instskip(NEXT) | instid1(VALU_DEP_1)
	v_add_nc_u32_e32 v65, v65, v66
	v_add_nc_u32_e32 v67, v10, v65
	v_xad_u32 v68, v65, -1, v34
	v_add_nc_u32_e32 v69, 1, v65
	ds_load_u8 v67, v67
	ds_load_u8 v68, v68 offset:96
	s_wait_dscnt 0x0
	v_cmp_lt_u16_e64 s8, v68, v67
	s_wait_alu 0xf1ff
	s_delay_alu instid0(VALU_DEP_1) | instskip(SKIP_1) | instid1(VALU_DEP_1)
	v_cndmask_b32_e64 v64, v64, v65, s8
	v_cndmask_b32_e64 v66, v69, v66, s8
	v_cmp_ge_i32_e64 s8, v66, v64
	s_wait_alu 0xfffe
	s_or_b32 s10, s8, s10
	s_wait_alu 0xfffe
	s_and_not1_b32 exec_lo, exec_lo, s10
	s_cbranch_execnz .LBB115_64
; %bb.65:                               ;   in Loop: Header=BB115_2 Depth=1
	s_or_b32 exec_lo, exec_lo, s10
.LBB115_66:                             ;   in Loop: Header=BB115_2 Depth=1
	s_wait_alu 0xfffe
	s_or_b32 exec_lo, exec_lo, s9
	v_add_nc_u32_e32 v67, v66, v10
	v_sub_nc_u32_e32 v70, v34, v66
	v_sub_nc_u32_e32 v68, v41, v66
                                        ; implicit-def: $vgpr66
	ds_load_u8 v64, v67
	ds_load_u8 v65, v70 offset:96
	v_cmp_le_i32_e64 s8, v23, v67
	v_cmp_gt_i32_e64 s10, v24, v68
	s_wait_dscnt 0x1
	v_and_b32_e32 v69, 0xff, v64
	s_wait_dscnt 0x0
	v_and_b32_e32 v71, 0xff, v65
	s_delay_alu instid0(VALU_DEP_1)
	v_cmp_lt_u16_e64 s9, v71, v69
	s_or_b32 s8, s8, s9
	s_wait_alu 0xfffe
	s_and_b32 s8, s10, s8
	s_wait_alu 0xfffe
	s_xor_b32 s9, s8, -1
	s_wait_alu 0xfffe
	s_and_saveexec_b32 s10, s9
	s_wait_alu 0xfffe
	s_xor_b32 s9, exec_lo, s10
; %bb.67:                               ;   in Loop: Header=BB115_2 Depth=1
	ds_load_u8 v66, v67 offset:1
                                        ; implicit-def: $vgpr70
; %bb.68:                               ;   in Loop: Header=BB115_2 Depth=1
	s_wait_alu 0xfffe
	s_or_saveexec_b32 s9, s9
	v_mov_b32_e32 v69, v65
	s_wait_alu 0xfffe
	s_xor_b32 exec_lo, exec_lo, s9
	s_cbranch_execz .LBB115_70
; %bb.69:                               ;   in Loop: Header=BB115_2 Depth=1
	ds_load_u8 v69, v70 offset:97
	s_wait_dscnt 0x1
	v_mov_b32_e32 v66, v64
.LBB115_70:                             ;   in Loop: Header=BB115_2 Depth=1
	s_or_b32 exec_lo, exec_lo, s9
	v_add_nc_u32_e32 v70, 1, v67
	v_add_nc_u32_e32 v72, 1, v68
	s_wait_dscnt 0x0
	v_and_b32_e32 v73, 0xff, v66
	s_delay_alu instid0(VALU_DEP_3) | instskip(SKIP_2) | instid1(VALU_DEP_3)
	v_cndmask_b32_e64 v71, v70, v67, s8
	v_and_b32_e32 v70, 0xff, v69
	v_cndmask_b32_e64 v72, v68, v72, s8
	v_cmp_ge_i32_e64 s9, v71, v23
	s_delay_alu instid0(VALU_DEP_3) | instskip(NEXT) | instid1(VALU_DEP_3)
	v_cmp_lt_u16_e64 s10, v70, v73
	v_cmp_lt_i32_e64 s11, v72, v24
                                        ; implicit-def: $vgpr70
	s_or_b32 s9, s9, s10
	s_wait_alu 0xfffe
	s_and_b32 s9, s11, s9
	s_wait_alu 0xfffe
	s_xor_b32 s10, s9, -1
	s_wait_alu 0xfffe
	s_and_saveexec_b32 s11, s10
	s_wait_alu 0xfffe
	s_xor_b32 s10, exec_lo, s11
; %bb.71:                               ;   in Loop: Header=BB115_2 Depth=1
	ds_load_u8 v70, v71 offset:1
; %bb.72:                               ;   in Loop: Header=BB115_2 Depth=1
	s_wait_alu 0xfffe
	s_or_saveexec_b32 s10, s10
	v_mov_b32_e32 v73, v69
	s_wait_alu 0xfffe
	s_xor_b32 exec_lo, exec_lo, s10
	s_cbranch_execz .LBB115_74
; %bb.73:                               ;   in Loop: Header=BB115_2 Depth=1
	ds_load_u8 v73, v72 offset:1
	s_wait_dscnt 0x1
	v_mov_b32_e32 v70, v66
.LBB115_74:                             ;   in Loop: Header=BB115_2 Depth=1
	s_or_b32 exec_lo, exec_lo, s10
	v_add_nc_u32_e32 v74, 1, v71
	v_add_nc_u32_e32 v75, 1, v72
	s_wait_dscnt 0x0
	v_and_b32_e32 v76, 0xff, v70
	v_and_b32_e32 v77, 0xff, v73
	v_cndmask_b32_e64 v67, v67, v68, s8
	v_cndmask_b32_e64 v74, v74, v71, s9
	;; [unrolled: 1-line block ×4, first 2 shown]
	v_cmp_lt_u16_e64 s10, v77, v76
	s_wait_loadcnt 0x0
	v_cmp_ge_i32_e64 s11, v74, v23
	s_barrier_signal -1
	v_cmp_lt_i32_e64 s12, v72, v24
	s_barrier_wait -1
	global_inv scope:SCOPE_SE
	s_or_b32 s10, s11, s10
	ds_store_b8 v1, v61
	ds_store_b8 v1, v63 offset:1
	ds_store_b8 v1, v62 offset:2
	s_wait_alu 0xfffe
	s_and_b32 s10, s12, s10
	s_wait_loadcnt_dscnt 0x0
	s_wait_alu 0xfffe
	v_cndmask_b32_e64 v68, v70, v73, s10
	v_cndmask_b32_e64 v70, v74, v72, s10
	s_barrier_signal -1
	s_barrier_wait -1
	global_inv scope:SCOPE_SE
	ds_load_u8 v61, v67
	ds_load_u8 v62, v70
	;; [unrolled: 1-line block ×3, first 2 shown]
	v_cndmask_b32_e64 v64, v64, v65, s8
	v_cndmask_b32_e64 v66, v66, v69, s9
	s_wait_loadcnt_dscnt 0x0
	s_barrier_signal -1
	s_barrier_wait -1
	global_inv scope:SCOPE_SE
	ds_store_b8 v1, v64
	ds_store_b8 v1, v66 offset:1
	ds_store_b8 v1, v68 offset:2
	v_mov_b32_e32 v66, v58
	s_wait_loadcnt_dscnt 0x0
	s_barrier_signal -1
	s_barrier_wait -1
	global_inv scope:SCOPE_SE
	s_and_saveexec_b32 s9, s6
	s_cbranch_execz .LBB115_78
; %bb.75:                               ;   in Loop: Header=BB115_2 Depth=1
	v_mov_b32_e32 v66, v58
	v_mov_b32_e32 v64, v50
	s_mov_b32 s10, 0
.LBB115_76:                             ;   Parent Loop BB115_2 Depth=1
                                        ; =>  This Inner Loop Header: Depth=2
	s_delay_alu instid0(VALU_DEP_1) | instskip(NEXT) | instid1(VALU_DEP_1)
	v_sub_nc_u32_e32 v65, v64, v66
	v_lshrrev_b32_e32 v65, 1, v65
	s_delay_alu instid0(VALU_DEP_1) | instskip(NEXT) | instid1(VALU_DEP_1)
	v_add_nc_u32_e32 v65, v65, v66
	v_add_nc_u32_e32 v67, v11, v65
	v_xad_u32 v68, v65, -1, v35
	v_add_nc_u32_e32 v69, 1, v65
	ds_load_u8 v67, v67
	ds_load_u8 v68, v68 offset:192
	s_wait_dscnt 0x0
	v_cmp_lt_u16_e64 s8, v68, v67
	s_wait_alu 0xf1ff
	s_delay_alu instid0(VALU_DEP_1) | instskip(SKIP_1) | instid1(VALU_DEP_1)
	v_cndmask_b32_e64 v64, v64, v65, s8
	v_cndmask_b32_e64 v66, v69, v66, s8
	v_cmp_ge_i32_e64 s8, v66, v64
	s_wait_alu 0xfffe
	s_or_b32 s10, s8, s10
	s_wait_alu 0xfffe
	s_and_not1_b32 exec_lo, exec_lo, s10
	s_cbranch_execnz .LBB115_76
; %bb.77:                               ;   in Loop: Header=BB115_2 Depth=1
	s_or_b32 exec_lo, exec_lo, s10
.LBB115_78:                             ;   in Loop: Header=BB115_2 Depth=1
	s_wait_alu 0xfffe
	s_or_b32 exec_lo, exec_lo, s9
	v_add_nc_u32_e32 v67, v66, v11
	v_sub_nc_u32_e32 v70, v35, v66
	v_sub_nc_u32_e32 v68, v42, v66
                                        ; implicit-def: $vgpr66
	ds_load_u8 v64, v67
	ds_load_u8 v65, v70 offset:192
	v_cmp_le_i32_e64 s8, v25, v67
	v_cmp_gt_i32_e64 s10, v26, v68
	s_wait_dscnt 0x1
	v_and_b32_e32 v69, 0xff, v64
	s_wait_dscnt 0x0
	v_and_b32_e32 v71, 0xff, v65
	s_delay_alu instid0(VALU_DEP_1)
	v_cmp_lt_u16_e64 s9, v71, v69
	s_or_b32 s8, s8, s9
	s_wait_alu 0xfffe
	s_and_b32 s8, s10, s8
	s_wait_alu 0xfffe
	s_xor_b32 s9, s8, -1
	s_wait_alu 0xfffe
	s_and_saveexec_b32 s10, s9
	s_wait_alu 0xfffe
	s_xor_b32 s9, exec_lo, s10
; %bb.79:                               ;   in Loop: Header=BB115_2 Depth=1
	ds_load_u8 v66, v67 offset:1
                                        ; implicit-def: $vgpr70
; %bb.80:                               ;   in Loop: Header=BB115_2 Depth=1
	s_wait_alu 0xfffe
	s_or_saveexec_b32 s9, s9
	v_mov_b32_e32 v69, v65
	s_wait_alu 0xfffe
	s_xor_b32 exec_lo, exec_lo, s9
	s_cbranch_execz .LBB115_82
; %bb.81:                               ;   in Loop: Header=BB115_2 Depth=1
	ds_load_u8 v69, v70 offset:193
	s_wait_dscnt 0x1
	v_mov_b32_e32 v66, v64
.LBB115_82:                             ;   in Loop: Header=BB115_2 Depth=1
	s_or_b32 exec_lo, exec_lo, s9
	v_add_nc_u32_e32 v70, 1, v67
	v_add_nc_u32_e32 v72, 1, v68
	s_wait_dscnt 0x0
	v_and_b32_e32 v73, 0xff, v66
	s_delay_alu instid0(VALU_DEP_3) | instskip(SKIP_2) | instid1(VALU_DEP_3)
	v_cndmask_b32_e64 v71, v70, v67, s8
	v_and_b32_e32 v70, 0xff, v69
	v_cndmask_b32_e64 v72, v68, v72, s8
	v_cmp_ge_i32_e64 s9, v71, v25
	s_delay_alu instid0(VALU_DEP_3) | instskip(NEXT) | instid1(VALU_DEP_3)
	v_cmp_lt_u16_e64 s10, v70, v73
	v_cmp_lt_i32_e64 s11, v72, v26
                                        ; implicit-def: $vgpr70
	s_or_b32 s9, s9, s10
	s_wait_alu 0xfffe
	s_and_b32 s9, s11, s9
	s_wait_alu 0xfffe
	s_xor_b32 s10, s9, -1
	s_wait_alu 0xfffe
	s_and_saveexec_b32 s11, s10
	s_wait_alu 0xfffe
	s_xor_b32 s10, exec_lo, s11
; %bb.83:                               ;   in Loop: Header=BB115_2 Depth=1
	ds_load_u8 v70, v71 offset:1
; %bb.84:                               ;   in Loop: Header=BB115_2 Depth=1
	s_wait_alu 0xfffe
	s_or_saveexec_b32 s10, s10
	v_mov_b32_e32 v73, v69
	s_wait_alu 0xfffe
	s_xor_b32 exec_lo, exec_lo, s10
	s_cbranch_execz .LBB115_86
; %bb.85:                               ;   in Loop: Header=BB115_2 Depth=1
	ds_load_u8 v73, v72 offset:1
	s_wait_dscnt 0x1
	v_mov_b32_e32 v70, v66
.LBB115_86:                             ;   in Loop: Header=BB115_2 Depth=1
	s_or_b32 exec_lo, exec_lo, s10
	v_add_nc_u32_e32 v74, 1, v71
	v_add_nc_u32_e32 v75, 1, v72
	s_wait_dscnt 0x0
	v_and_b32_e32 v76, 0xff, v70
	v_and_b32_e32 v77, 0xff, v73
	v_cndmask_b32_e64 v67, v67, v68, s8
	v_cndmask_b32_e64 v74, v74, v71, s9
	;; [unrolled: 1-line block ×4, first 2 shown]
	v_cmp_lt_u16_e64 s10, v77, v76
	s_wait_loadcnt 0x0
	v_cmp_ge_i32_e64 s11, v74, v25
	s_barrier_signal -1
	v_cmp_lt_i32_e64 s12, v72, v26
	s_barrier_wait -1
	global_inv scope:SCOPE_SE
	s_or_b32 s10, s11, s10
	ds_store_b8 v1, v61
	ds_store_b8 v1, v63 offset:1
	ds_store_b8 v1, v62 offset:2
	s_wait_alu 0xfffe
	s_and_b32 s10, s12, s10
	s_wait_loadcnt_dscnt 0x0
	s_wait_alu 0xfffe
	v_cndmask_b32_e64 v68, v70, v73, s10
	v_cndmask_b32_e64 v70, v74, v72, s10
	s_barrier_signal -1
	s_barrier_wait -1
	global_inv scope:SCOPE_SE
	ds_load_u8 v61, v67
	ds_load_u8 v62, v70
	;; [unrolled: 1-line block ×3, first 2 shown]
	v_cndmask_b32_e64 v64, v64, v65, s8
	v_cndmask_b32_e64 v66, v66, v69, s9
	s_wait_loadcnt_dscnt 0x0
	s_barrier_signal -1
	s_barrier_wait -1
	global_inv scope:SCOPE_SE
	ds_store_b8 v1, v64
	ds_store_b8 v1, v66 offset:1
	ds_store_b8 v1, v68 offset:2
	v_mov_b32_e32 v66, v59
	s_wait_loadcnt_dscnt 0x0
	s_barrier_signal -1
	s_barrier_wait -1
	global_inv scope:SCOPE_SE
	s_and_saveexec_b32 s9, s7
	s_cbranch_execz .LBB115_90
; %bb.87:                               ;   in Loop: Header=BB115_2 Depth=1
	v_mov_b32_e32 v66, v59
	v_mov_b32_e32 v64, v51
	s_mov_b32 s10, 0
.LBB115_88:                             ;   Parent Loop BB115_2 Depth=1
                                        ; =>  This Inner Loop Header: Depth=2
	s_delay_alu instid0(VALU_DEP_1) | instskip(NEXT) | instid1(VALU_DEP_1)
	v_sub_nc_u32_e32 v65, v64, v66
	v_lshrrev_b32_e32 v65, 1, v65
	s_delay_alu instid0(VALU_DEP_1) | instskip(NEXT) | instid1(VALU_DEP_1)
	v_add_nc_u32_e32 v65, v65, v66
	v_add_nc_u32_e32 v67, v12, v65
	v_xad_u32 v68, v65, -1, v60
	v_add_nc_u32_e32 v69, 1, v65
	ds_load_u8 v67, v67
	ds_load_u8 v68, v68 offset:384
	s_wait_dscnt 0x0
	v_cmp_lt_u16_e64 s8, v68, v67
	s_wait_alu 0xf1ff
	s_delay_alu instid0(VALU_DEP_1) | instskip(SKIP_1) | instid1(VALU_DEP_1)
	v_cndmask_b32_e64 v64, v64, v65, s8
	v_cndmask_b32_e64 v66, v69, v66, s8
	v_cmp_ge_i32_e64 s8, v66, v64
	s_wait_alu 0xfffe
	s_or_b32 s10, s8, s10
	s_wait_alu 0xfffe
	s_and_not1_b32 exec_lo, exec_lo, s10
	s_cbranch_execnz .LBB115_88
; %bb.89:                               ;   in Loop: Header=BB115_2 Depth=1
	s_or_b32 exec_lo, exec_lo, s10
.LBB115_90:                             ;   in Loop: Header=BB115_2 Depth=1
	s_wait_alu 0xfffe
	s_or_b32 exec_lo, exec_lo, s9
	v_add_nc_u32_e32 v67, v66, v12
	v_sub_nc_u32_e32 v70, v60, v66
	v_sub_nc_u32_e32 v68, v43, v66
                                        ; implicit-def: $vgpr66
	ds_load_u8 v64, v67
	ds_load_u8 v65, v70 offset:384
	v_cmp_le_i32_e64 s8, v27, v67
	v_cmp_gt_i32_e64 s10, v28, v68
	s_wait_dscnt 0x1
	v_and_b32_e32 v69, 0xff, v64
	s_wait_dscnt 0x0
	v_and_b32_e32 v71, 0xff, v65
	s_delay_alu instid0(VALU_DEP_1)
	v_cmp_lt_u16_e64 s9, v71, v69
	s_or_b32 s8, s8, s9
	s_wait_alu 0xfffe
	s_and_b32 s8, s10, s8
	s_wait_alu 0xfffe
	s_xor_b32 s9, s8, -1
	s_wait_alu 0xfffe
	s_and_saveexec_b32 s10, s9
	s_wait_alu 0xfffe
	s_xor_b32 s9, exec_lo, s10
; %bb.91:                               ;   in Loop: Header=BB115_2 Depth=1
	ds_load_u8 v66, v67 offset:1
                                        ; implicit-def: $vgpr70
; %bb.92:                               ;   in Loop: Header=BB115_2 Depth=1
	s_wait_alu 0xfffe
	s_or_saveexec_b32 s9, s9
	v_mov_b32_e32 v69, v65
	s_wait_alu 0xfffe
	s_xor_b32 exec_lo, exec_lo, s9
	s_cbranch_execz .LBB115_94
; %bb.93:                               ;   in Loop: Header=BB115_2 Depth=1
	ds_load_u8 v69, v70 offset:385
	s_wait_dscnt 0x1
	v_mov_b32_e32 v66, v64
.LBB115_94:                             ;   in Loop: Header=BB115_2 Depth=1
	s_or_b32 exec_lo, exec_lo, s9
	v_add_nc_u32_e32 v70, 1, v67
	v_add_nc_u32_e32 v72, 1, v68
	s_wait_dscnt 0x0
	v_and_b32_e32 v73, 0xff, v66
	s_delay_alu instid0(VALU_DEP_3) | instskip(SKIP_2) | instid1(VALU_DEP_3)
	v_cndmask_b32_e64 v71, v70, v67, s8
	v_and_b32_e32 v70, 0xff, v69
	v_cndmask_b32_e64 v72, v68, v72, s8
	v_cmp_ge_i32_e64 s9, v71, v27
	s_delay_alu instid0(VALU_DEP_3) | instskip(NEXT) | instid1(VALU_DEP_3)
	v_cmp_lt_u16_e64 s10, v70, v73
	v_cmp_lt_i32_e64 s11, v72, v28
                                        ; implicit-def: $vgpr70
	s_or_b32 s9, s9, s10
	s_wait_alu 0xfffe
	s_and_b32 s9, s11, s9
	s_wait_alu 0xfffe
	s_xor_b32 s10, s9, -1
	s_wait_alu 0xfffe
	s_and_saveexec_b32 s11, s10
	s_wait_alu 0xfffe
	s_xor_b32 s10, exec_lo, s11
; %bb.95:                               ;   in Loop: Header=BB115_2 Depth=1
	ds_load_u8 v70, v71 offset:1
; %bb.96:                               ;   in Loop: Header=BB115_2 Depth=1
	s_wait_alu 0xfffe
	s_or_saveexec_b32 s10, s10
	v_mov_b32_e32 v73, v69
	s_wait_alu 0xfffe
	s_xor_b32 exec_lo, exec_lo, s10
	s_cbranch_execz .LBB115_98
; %bb.97:                               ;   in Loop: Header=BB115_2 Depth=1
	ds_load_u8 v73, v72 offset:1
	s_wait_dscnt 0x1
	v_mov_b32_e32 v70, v66
.LBB115_98:                             ;   in Loop: Header=BB115_2 Depth=1
	s_or_b32 exec_lo, exec_lo, s10
	v_add_nc_u32_e32 v74, 1, v71
	v_add_nc_u32_e32 v75, 1, v72
	s_wait_dscnt 0x0
	v_and_b32_e32 v76, 0xff, v70
	v_and_b32_e32 v77, 0xff, v73
	v_cndmask_b32_e64 v67, v67, v68, s8
	v_cndmask_b32_e64 v74, v74, v71, s9
	;; [unrolled: 1-line block ×4, first 2 shown]
	v_cmp_lt_u16_e64 s10, v77, v76
	s_wait_loadcnt 0x0
	v_cmp_ge_i32_e64 s11, v74, v27
	s_barrier_signal -1
	v_cmp_lt_i32_e64 s12, v72, v28
	s_barrier_wait -1
	global_inv scope:SCOPE_SE
	s_or_b32 s10, s11, s10
	ds_store_b8 v1, v61
	ds_store_b8 v1, v63 offset:1
	ds_store_b8 v1, v62 offset:2
	s_wait_alu 0xfffe
	s_and_b32 s10, s12, s10
	s_wait_loadcnt_dscnt 0x0
	s_wait_alu 0xfffe
	v_cndmask_b32_e64 v68, v70, v73, s10
	v_cndmask_b32_e64 v70, v74, v72, s10
	s_barrier_signal -1
	s_barrier_wait -1
	global_inv scope:SCOPE_SE
	ds_load_u8 v61, v67
	ds_load_u8 v62, v70
	;; [unrolled: 1-line block ×3, first 2 shown]
	v_cndmask_b32_e64 v64, v64, v65, s8
	v_cndmask_b32_e64 v66, v66, v69, s9
	s_wait_loadcnt_dscnt 0x0
	s_barrier_signal -1
	s_barrier_wait -1
	global_inv scope:SCOPE_SE
	ds_store_b8 v1, v64
	ds_store_b8 v1, v66 offset:1
	ds_store_b8 v1, v68 offset:2
	v_mov_b32_e32 v64, v3
	s_wait_loadcnt_dscnt 0x0
	s_barrier_signal -1
	s_barrier_wait -1
	global_inv scope:SCOPE_SE
	s_and_saveexec_b32 s9, vcc_lo
	s_cbranch_execz .LBB115_102
; %bb.99:                               ;   in Loop: Header=BB115_2 Depth=1
	v_dual_mov_b32 v64, v3 :: v_dual_mov_b32 v65, v4
	s_mov_b32 s10, 0
.LBB115_100:                            ;   Parent Loop BB115_2 Depth=1
                                        ; =>  This Inner Loop Header: Depth=2
	s_delay_alu instid0(VALU_DEP_1) | instskip(NEXT) | instid1(VALU_DEP_1)
	v_sub_nc_u32_e32 v66, v65, v64
	v_lshrrev_b32_e32 v66, 1, v66
	s_delay_alu instid0(VALU_DEP_1) | instskip(NEXT) | instid1(VALU_DEP_1)
	v_add_nc_u32_e32 v66, v66, v64
	v_xad_u32 v67, v66, -1, v1
	v_add_nc_u32_e32 v69, 1, v66
	ds_load_u8 v68, v66
	ds_load_u8 v67, v67 offset:768
	s_wait_dscnt 0x0
	v_cmp_lt_u16_e64 s8, v67, v68
	s_wait_alu 0xf1ff
	s_delay_alu instid0(VALU_DEP_1) | instskip(SKIP_1) | instid1(VALU_DEP_1)
	v_cndmask_b32_e64 v65, v65, v66, s8
	v_cndmask_b32_e64 v64, v69, v64, s8
	v_cmp_ge_i32_e64 s8, v64, v65
	s_wait_alu 0xfffe
	s_or_b32 s10, s8, s10
	s_wait_alu 0xfffe
	s_and_not1_b32 exec_lo, exec_lo, s10
	s_cbranch_execnz .LBB115_100
; %bb.101:                              ;   in Loop: Header=BB115_2 Depth=1
	s_or_b32 exec_lo, exec_lo, s10
.LBB115_102:                            ;   in Loop: Header=BB115_2 Depth=1
	s_wait_alu 0xfffe
	s_or_b32 exec_lo, exec_lo, s9
	v_sub_nc_u32_e32 v70, v1, v64
	v_sub_nc_u32_e32 v65, v2, v64
	v_cmp_le_i32_e64 s8, 0x300, v64
	ds_load_u8 v66, v64
	ds_load_u8 v67, v70 offset:768
	v_cmp_gt_i32_e64 s10, 0x600, v65
	s_wait_dscnt 0x1
	v_and_b32_e32 v68, 0xff, v66
	s_wait_dscnt 0x0
	v_and_b32_e32 v69, 0xff, v67
	s_delay_alu instid0(VALU_DEP_1)
	v_cmp_lt_u16_e64 s9, v69, v68
                                        ; implicit-def: $vgpr68
	s_or_b32 s8, s8, s9
	s_wait_alu 0xfffe
	s_and_b32 s8, s10, s8
	s_wait_alu 0xfffe
	s_xor_b32 s9, s8, -1
	s_wait_alu 0xfffe
	s_and_saveexec_b32 s10, s9
	s_wait_alu 0xfffe
	s_xor_b32 s9, exec_lo, s10
; %bb.103:                              ;   in Loop: Header=BB115_2 Depth=1
	ds_load_u8 v68, v64 offset:1
                                        ; implicit-def: $vgpr70
; %bb.104:                              ;   in Loop: Header=BB115_2 Depth=1
	s_wait_alu 0xfffe
	s_or_saveexec_b32 s9, s9
	v_mov_b32_e32 v69, v67
	s_wait_alu 0xfffe
	s_xor_b32 exec_lo, exec_lo, s9
	s_cbranch_execz .LBB115_106
; %bb.105:                              ;   in Loop: Header=BB115_2 Depth=1
	ds_load_u8 v69, v70 offset:769
	s_wait_dscnt 0x1
	v_mov_b32_e32 v68, v66
.LBB115_106:                            ;   in Loop: Header=BB115_2 Depth=1
	s_or_b32 exec_lo, exec_lo, s9
	v_add_nc_u32_e32 v70, 1, v64
	v_add_nc_u32_e32 v71, 1, v65
	s_wait_dscnt 0x0
	v_and_b32_e32 v72, 0xff, v68
	v_and_b32_e32 v73, 0xff, v69
	v_cndmask_b32_e64 v75, v70, v64, s8
	v_cndmask_b32_e64 v70, v65, v71, s8
                                        ; implicit-def: $vgpr71
	s_delay_alu instid0(VALU_DEP_3) | instskip(NEXT) | instid1(VALU_DEP_3)
	v_cmp_lt_u16_e64 s10, v73, v72
                                        ; implicit-def: $vgpr73
	v_cmp_le_i32_e64 s9, 0x300, v75
	s_delay_alu instid0(VALU_DEP_3)
	v_cmp_gt_i32_e64 s11, 0x600, v70
	s_or_b32 s9, s9, s10
	s_wait_alu 0xfffe
	s_and_b32 s9, s11, s9
	s_wait_alu 0xfffe
	s_xor_b32 s10, s9, -1
	s_wait_alu 0xfffe
	s_and_saveexec_b32 s11, s10
	s_wait_alu 0xfffe
	s_xor_b32 s10, exec_lo, s11
; %bb.107:                              ;   in Loop: Header=BB115_2 Depth=1
	ds_load_u8 v73, v75 offset:1
	v_add_nc_u32_e32 v71, 1, v75
; %bb.108:                              ;   in Loop: Header=BB115_2 Depth=1
	s_wait_alu 0xfffe
	s_or_saveexec_b32 s10, s10
	v_mov_b32_e32 v72, v75
	v_mov_b32_e32 v74, v69
	s_wait_alu 0xfffe
	s_xor_b32 exec_lo, exec_lo, s10
	s_cbranch_execz .LBB115_1
; %bb.109:                              ;   in Loop: Header=BB115_2 Depth=1
	ds_load_u8 v74, v70 offset:1
	s_wait_dscnt 0x1
	v_dual_mov_b32 v72, v70 :: v_dual_add_nc_u32 v73, 1, v70
	s_delay_alu instid0(VALU_DEP_1)
	v_dual_mov_b32 v71, v75 :: v_dual_mov_b32 v70, v73
	v_mov_b32_e32 v73, v68
	s_branch .LBB115_1
.LBB115_110:
	s_add_nc_u64 s[0:1], s[18:19], s[20:21]
	s_wait_dscnt 0x2
	v_add_nc_u16 v2, v67, v63
	s_wait_alu 0xfffe
	v_add_co_u32 v0, s0, s0, v0
	s_wait_alu 0xf1ff
	v_add_co_ci_u32_e64 v1, null, s1, 0, s0
	s_wait_dscnt 0x1
	v_add_nc_u16 v3, v66, v62
	s_wait_dscnt 0x0
	v_add_nc_u16 v4, v64, v61
	s_clause 0x2
	global_store_b8 v[0:1], v2, off
	global_store_b8 v[0:1], v3, off offset:512
	global_store_b8 v[0:1], v4, off offset:1024
	s_endpgm
	.section	.rodata,"a",@progbits
	.p2align	6, 0x0
	.amdhsa_kernel _Z17sort_pairs_kernelIhLj512ELj3EN10test_utils4lessELj10EEvPKT_PS2_T2_
		.amdhsa_group_segment_fixed_size 1537
		.amdhsa_private_segment_fixed_size 0
		.amdhsa_kernarg_size 20
		.amdhsa_user_sgpr_count 2
		.amdhsa_user_sgpr_dispatch_ptr 0
		.amdhsa_user_sgpr_queue_ptr 0
		.amdhsa_user_sgpr_kernarg_segment_ptr 1
		.amdhsa_user_sgpr_dispatch_id 0
		.amdhsa_user_sgpr_private_segment_size 0
		.amdhsa_wavefront_size32 1
		.amdhsa_uses_dynamic_stack 0
		.amdhsa_enable_private_segment 0
		.amdhsa_system_sgpr_workgroup_id_x 1
		.amdhsa_system_sgpr_workgroup_id_y 0
		.amdhsa_system_sgpr_workgroup_id_z 0
		.amdhsa_system_sgpr_workgroup_info 0
		.amdhsa_system_vgpr_workitem_id 0
		.amdhsa_next_free_vgpr 81
		.amdhsa_next_free_sgpr 22
		.amdhsa_reserve_vcc 1
		.amdhsa_float_round_mode_32 0
		.amdhsa_float_round_mode_16_64 0
		.amdhsa_float_denorm_mode_32 3
		.amdhsa_float_denorm_mode_16_64 3
		.amdhsa_fp16_overflow 0
		.amdhsa_workgroup_processor_mode 1
		.amdhsa_memory_ordered 1
		.amdhsa_forward_progress 1
		.amdhsa_inst_pref_size 69
		.amdhsa_round_robin_scheduling 0
		.amdhsa_exception_fp_ieee_invalid_op 0
		.amdhsa_exception_fp_denorm_src 0
		.amdhsa_exception_fp_ieee_div_zero 0
		.amdhsa_exception_fp_ieee_overflow 0
		.amdhsa_exception_fp_ieee_underflow 0
		.amdhsa_exception_fp_ieee_inexact 0
		.amdhsa_exception_int_div_zero 0
	.end_amdhsa_kernel
	.section	.text._Z17sort_pairs_kernelIhLj512ELj3EN10test_utils4lessELj10EEvPKT_PS2_T2_,"axG",@progbits,_Z17sort_pairs_kernelIhLj512ELj3EN10test_utils4lessELj10EEvPKT_PS2_T2_,comdat
.Lfunc_end115:
	.size	_Z17sort_pairs_kernelIhLj512ELj3EN10test_utils4lessELj10EEvPKT_PS2_T2_, .Lfunc_end115-_Z17sort_pairs_kernelIhLj512ELj3EN10test_utils4lessELj10EEvPKT_PS2_T2_
                                        ; -- End function
	.set _Z17sort_pairs_kernelIhLj512ELj3EN10test_utils4lessELj10EEvPKT_PS2_T2_.num_vgpr, 81
	.set _Z17sort_pairs_kernelIhLj512ELj3EN10test_utils4lessELj10EEvPKT_PS2_T2_.num_agpr, 0
	.set _Z17sort_pairs_kernelIhLj512ELj3EN10test_utils4lessELj10EEvPKT_PS2_T2_.numbered_sgpr, 22
	.set _Z17sort_pairs_kernelIhLj512ELj3EN10test_utils4lessELj10EEvPKT_PS2_T2_.num_named_barrier, 0
	.set _Z17sort_pairs_kernelIhLj512ELj3EN10test_utils4lessELj10EEvPKT_PS2_T2_.private_seg_size, 0
	.set _Z17sort_pairs_kernelIhLj512ELj3EN10test_utils4lessELj10EEvPKT_PS2_T2_.uses_vcc, 1
	.set _Z17sort_pairs_kernelIhLj512ELj3EN10test_utils4lessELj10EEvPKT_PS2_T2_.uses_flat_scratch, 0
	.set _Z17sort_pairs_kernelIhLj512ELj3EN10test_utils4lessELj10EEvPKT_PS2_T2_.has_dyn_sized_stack, 0
	.set _Z17sort_pairs_kernelIhLj512ELj3EN10test_utils4lessELj10EEvPKT_PS2_T2_.has_recursion, 0
	.set _Z17sort_pairs_kernelIhLj512ELj3EN10test_utils4lessELj10EEvPKT_PS2_T2_.has_indirect_call, 0
	.section	.AMDGPU.csdata,"",@progbits
; Kernel info:
; codeLenInByte = 8740
; TotalNumSgprs: 24
; NumVgprs: 81
; ScratchSize: 0
; MemoryBound: 0
; FloatMode: 240
; IeeeMode: 1
; LDSByteSize: 1537 bytes/workgroup (compile time only)
; SGPRBlocks: 0
; VGPRBlocks: 10
; NumSGPRsForWavesPerEU: 24
; NumVGPRsForWavesPerEU: 81
; Occupancy: 16
; WaveLimiterHint : 1
; COMPUTE_PGM_RSRC2:SCRATCH_EN: 0
; COMPUTE_PGM_RSRC2:USER_SGPR: 2
; COMPUTE_PGM_RSRC2:TRAP_HANDLER: 0
; COMPUTE_PGM_RSRC2:TGID_X_EN: 1
; COMPUTE_PGM_RSRC2:TGID_Y_EN: 0
; COMPUTE_PGM_RSRC2:TGID_Z_EN: 0
; COMPUTE_PGM_RSRC2:TIDIG_COMP_CNT: 0
	.section	.text._Z16sort_keys_kernelIhLj512ELj4EN10test_utils4lessELj10EEvPKT_PS2_T2_,"axG",@progbits,_Z16sort_keys_kernelIhLj512ELj4EN10test_utils4lessELj10EEvPKT_PS2_T2_,comdat
	.protected	_Z16sort_keys_kernelIhLj512ELj4EN10test_utils4lessELj10EEvPKT_PS2_T2_ ; -- Begin function _Z16sort_keys_kernelIhLj512ELj4EN10test_utils4lessELj10EEvPKT_PS2_T2_
	.globl	_Z16sort_keys_kernelIhLj512ELj4EN10test_utils4lessELj10EEvPKT_PS2_T2_
	.p2align	8
	.type	_Z16sort_keys_kernelIhLj512ELj4EN10test_utils4lessELj10EEvPKT_PS2_T2_,@function
_Z16sort_keys_kernelIhLj512ELj4EN10test_utils4lessELj10EEvPKT_PS2_T2_: ; @_Z16sort_keys_kernelIhLj512ELj4EN10test_utils4lessELj10EEvPKT_PS2_T2_
; %bb.0:
	s_load_b128 s[12:15], s[0:1], 0x0
	s_lshl_b32 s16, ttmp9, 11
	s_mov_b32 s17, 0
	v_lshlrev_b32_e32 v1, 2, v0
	s_mov_b32 s18, s17
	s_delay_alu instid0(VALU_DEP_1)
	v_and_b32_e32 v2, 0x7f8, v1
	v_and_b32_e32 v3, 0x7f0, v1
	;; [unrolled: 1-line block ×5, first 2 shown]
	v_or_b32_e32 v12, 4, v2
	v_add_nc_u32_e32 v13, 8, v2
	v_or_b32_e32 v14, 8, v3
	v_add_nc_u32_e32 v15, 16, v3
	v_and_b32_e32 v5, 0x7c0, v1
	v_or_b32_e32 v16, 16, v4
	v_sub_nc_u32_e32 v56, v13, v12
	s_wait_kmcnt 0x0
	s_add_nc_u64 s[0:1], s[12:13], s[16:17]
	v_add_nc_u32_e32 v17, 32, v4
	s_clause 0x3
	global_load_u8 v52, v0, s[0:1] offset:512
	global_load_u8 v53, v0, s[0:1] offset:1024
	global_load_u8 v54, v0, s[0:1]
	global_load_u8 v55, v0, s[0:1] offset:1536
	v_sub_nc_u32_e32 v36, v12, v2
	v_sub_nc_u32_e32 v57, v15, v14
	;; [unrolled: 1-line block ×3, first 2 shown]
	v_cmp_ge_i32_e64 s0, v44, v56
	v_and_b32_e32 v46, 28, v1
	v_and_b32_e32 v6, 0x780, v1
	v_or_b32_e32 v18, 32, v5
	v_add_nc_u32_e32 v19, 64, v5
	v_add_nc_u32_e32 v28, v12, v44
	v_sub_nc_u32_e32 v37, v14, v3
	v_sub_nc_u32_e32 v58, v17, v16
	v_min_i32_e32 v36, v44, v36
	v_sub_nc_u32_e32 v65, v45, v57
	v_cndmask_b32_e64 v44, 0, v64, s0
	v_cmp_ge_i32_e64 s0, v45, v57
	v_and_b32_e32 v47, 60, v1
	v_and_b32_e32 v7, 0x700, v1
	v_or_b32_e32 v20, 64, v6
	v_add_nc_u32_e32 v21, 0x80, v6
	v_add_nc_u32_e32 v29, v14, v45
	v_sub_nc_u32_e32 v38, v16, v4
	v_sub_nc_u32_e32 v59, v19, v18
	v_min_i32_e32 v37, v45, v37
	v_sub_nc_u32_e32 v66, v46, v58
	s_wait_alu 0xf1ff
	v_cndmask_b32_e64 v45, 0, v65, s0
	v_cmp_ge_i32_e64 s0, v46, v58
	v_and_b32_e32 v48, 0x7c, v1
	v_and_b32_e32 v8, 0x600, v1
	v_or_b32_e32 v22, 0x80, v7
	v_add_nc_u32_e32 v23, 0x100, v7
	v_add_nc_u32_e32 v30, v16, v46
	v_sub_nc_u32_e32 v39, v18, v5
	v_sub_nc_u32_e32 v60, v21, v20
	v_min_i32_e32 v38, v46, v38
	v_sub_nc_u32_e32 v67, v47, v59
	s_wait_alu 0xf1ff
	;; [unrolled: 12-line block ×3, first 2 shown]
	v_cndmask_b32_e64 v47, 0, v67, s0
	v_cmp_ge_i32_e64 s0, v48, v60
	v_and_b32_e32 v50, 0x1fc, v1
	v_or_b32_e32 v26, 0x200, v9
	v_add_nc_u32_e32 v27, 0x400, v9
	v_add_nc_u32_e32 v32, v20, v48
	v_sub_nc_u32_e32 v41, v22, v7
	v_sub_nc_u32_e32 v62, v25, v24
	v_min_i32_e32 v40, v48, v40
	v_sub_nc_u32_e32 v69, v49, v61
	s_wait_alu 0xf1ff
	v_cndmask_b32_e64 v48, 0, v68, s0
	v_cmp_ge_i32_e64 s0, v49, v61
	v_and_b32_e32 v51, 0x3fc, v1
	v_add_nc_u32_e32 v33, v22, v49
	v_sub_nc_u32_e32 v42, v24, v8
	v_sub_nc_u32_e32 v63, v27, v26
	v_min_i32_e32 v41, v49, v41
	v_sub_nc_u32_e32 v70, v50, v62
	s_wait_alu 0xf1ff
	v_cndmask_b32_e64 v49, 0, v69, s0
	v_cmp_ge_i32_e64 s0, v50, v62
	v_add_nc_u32_e32 v34, v24, v50
	v_sub_nc_u32_e32 v43, v26, v9
	v_min_i32_e32 v42, v50, v42
	v_sub_nc_u32_e32 v71, v51, v63
	s_wait_alu 0xf1ff
	v_cndmask_b32_e64 v50, 0, v70, s0
	v_cmp_ge_i32_e64 s0, v51, v63
	v_add_nc_u32_e32 v35, v26, v51
	v_min_i32_e32 v43, v51, v43
	v_subrev_nc_u32_e64 v10, 0x400, v1 clamp
	v_min_i32_e32 v11, 0x400, v1
	s_wait_alu 0xf1ff
	v_cndmask_b32_e64 v51, 0, v71, s0
	v_cmp_lt_i32_e64 s0, v44, v36
	v_cmp_lt_i32_e64 s1, v45, v37
	;; [unrolled: 1-line block ×8, first 2 shown]
	v_cmp_lt_i32_e32 vcc_lo, v10, v11
	s_wait_loadcnt 0x1
	v_perm_b32 v52, v54, v52, 0xc0c0004
	s_wait_loadcnt 0x0
	v_perm_b32 v53, v53, v55, 0xc0c0004
	s_delay_alu instid0(VALU_DEP_1)
	v_lshl_or_b32 v57, v53, 16, v52
	v_add_nc_u32_e32 v52, 0x400, v1
	s_branch .LBB116_2
.LBB116_1:                              ;   in Loop: Header=BB116_2 Depth=1
	s_or_b32 exec_lo, exec_lo, s11
	s_wait_dscnt 0x0
	v_and_b32_e32 v62, 0xff, v60
	v_and_b32_e32 v64, 0xff, v63
	v_cmp_le_i32_e64 s11, 0x400, v61
	v_cmp_gt_i32_e64 s13, 0x800, v59
	v_cndmask_b32_e64 v53, v53, v54, s8
	v_cndmask_b32_e64 v54, v55, v56, s9
	v_cmp_lt_u16_e64 s12, v64, v62
	v_cndmask_b32_e64 v55, v57, v58, s10
	s_add_co_i32 s18, s18, 1
	v_and_b32_e32 v58, 0xff, v53
	v_lshlrev_b16 v57, 8, v54
	s_or_b32 s8, s11, s12
	v_and_b32_e32 v59, 0xff, v55
	s_wait_alu 0xfffe
	s_and_b32 s8, s13, s8
	s_cmp_eq_u32 s18, 10
	s_wait_alu 0xfffe
	v_cndmask_b32_e64 v56, v60, v63, s8
	v_or_b32_e32 v57, v58, v57
	s_delay_alu instid0(VALU_DEP_2) | instskip(NEXT) | instid1(VALU_DEP_2)
	v_lshlrev_b16 v60, 8, v56
	v_and_b32_e32 v57, 0xffff, v57
	s_delay_alu instid0(VALU_DEP_2) | instskip(NEXT) | instid1(VALU_DEP_1)
	v_or_b32_e32 v58, v59, v60
	v_lshlrev_b32_e32 v58, 16, v58
	s_delay_alu instid0(VALU_DEP_1)
	v_or_b32_e32 v57, v57, v58
	s_cbranch_scc1 .LBB116_146
.LBB116_2:                              ; =>This Loop Header: Depth=1
                                        ;     Child Loop BB116_4 Depth 2
                                        ;     Child Loop BB116_20 Depth 2
	;; [unrolled: 1-line block ×9, first 2 shown]
	s_delay_alu instid0(VALU_DEP_1) | instskip(SKIP_3) | instid1(VALU_DEP_3)
	v_lshrrev_b32_e32 v53, 8, v57
	v_and_b32_e32 v54, 0xff, v57
	v_perm_b32 v55, v57, v57, 0x7060405
	s_barrier_signal -1
	v_and_b32_e32 v53, 0xff, v53
	s_barrier_wait -1
	global_inv scope:SCOPE_SE
	v_cmp_lt_u16_e64 s8, v53, v54
	v_max_u16 v60, v53, v54
	v_min_u16 v53, v53, v54
	s_wait_alu 0xf1ff
	s_delay_alu instid0(VALU_DEP_3) | instskip(NEXT) | instid1(VALU_DEP_1)
	v_cndmask_b32_e64 v55, v57, v55, s8
	v_lshrrev_b32_e32 v56, 16, v55
	v_lshrrev_b32_e32 v58, 24, v55
	s_delay_alu instid0(VALU_DEP_2) | instskip(SKIP_1) | instid1(VALU_DEP_2)
	v_perm_b32 v57, 0, v56, 0xc0c0001
	v_and_b32_e32 v56, 0xff, v56
	v_lshlrev_b32_e32 v57, 16, v57
	s_delay_alu instid0(VALU_DEP_2) | instskip(NEXT) | instid1(VALU_DEP_2)
	v_cmp_lt_u16_e64 s8, v58, v56
	v_and_or_b32 v57, 0xffff, v55, v57
	s_wait_alu 0xf1ff
	s_delay_alu instid0(VALU_DEP_1) | instskip(SKIP_2) | instid1(VALU_DEP_3)
	v_cndmask_b32_e64 v55, v55, v57, s8
	v_min_u16 v57, v58, v56
	v_max_u16 v56, v58, v56
	v_lshrrev_b32_e32 v59, 16, v55
	s_delay_alu instid0(VALU_DEP_3)
	v_lshlrev_b16 v61, 8, v57
	v_and_b32_e32 v62, 0xff, v55
	v_max_u16 v63, v57, v60
	v_cmp_lt_u16_e64 s8, v57, v60
	v_and_b32_e32 v59, 0xffffff00, v59
	v_cmp_gt_u16_e64 s9, v60, v56
	v_or_b32_e32 v54, v62, v61
	v_lshlrev_b16 v61, 8, v53
	v_min_u16 v62, v57, v60
	v_or_b32_e32 v59, v60, v59
	v_lshlrev_b16 v58, 8, v63
	v_and_b32_e32 v54, 0xffff, v54
	s_delay_alu instid0(VALU_DEP_4) | instskip(NEXT) | instid1(VALU_DEP_4)
	v_or_b32_e32 v61, v62, v61
	v_lshlrev_b32_e32 v59, 16, v59
	s_delay_alu instid0(VALU_DEP_1) | instskip(NEXT) | instid1(VALU_DEP_3)
	v_or_b32_e32 v54, v54, v59
	v_and_b32_e32 v59, 0xffff, v61
	s_wait_alu 0xf1ff
	s_delay_alu instid0(VALU_DEP_2) | instskip(SKIP_2) | instid1(VALU_DEP_3)
	v_cndmask_b32_e64 v54, v55, v54, s8
	v_or_b32_e32 v55, v56, v58
	v_cmp_lt_u16_e64 s8, v57, v53
	v_and_or_b32 v58, 0xffff0000, v54, v59
	s_delay_alu instid0(VALU_DEP_3) | instskip(SKIP_1) | instid1(VALU_DEP_3)
	v_lshlrev_b32_e32 v55, 16, v55
	s_wait_alu 0xf1ff
	v_cndmask_b32_e64 v53, v62, v53, s8
	s_delay_alu instid0(VALU_DEP_3) | instskip(NEXT) | instid1(VALU_DEP_1)
	v_cndmask_b32_e64 v54, v54, v58, s8
	v_and_or_b32 v55, 0xffff, v54, v55
	s_delay_alu instid0(VALU_DEP_1) | instskip(SKIP_1) | instid1(VALU_DEP_2)
	v_cndmask_b32_e64 v54, v54, v55, s9
	v_cndmask_b32_e64 v55, v63, v56, s9
	v_lshrrev_b32_e32 v56, 16, v54
	v_and_b32_e32 v57, 0xff, v54
	s_delay_alu instid0(VALU_DEP_3) | instskip(SKIP_1) | instid1(VALU_DEP_4)
	v_lshlrev_b16 v58, 8, v55
	v_cmp_lt_u16_e64 s8, v55, v53
	v_and_b32_e32 v56, 0xffffff00, v56
	s_delay_alu instid0(VALU_DEP_3) | instskip(NEXT) | instid1(VALU_DEP_2)
	v_or_b32_e32 v57, v57, v58
	v_or_b32_e32 v56, v53, v56
	v_mov_b32_e32 v53, v44
	s_delay_alu instid0(VALU_DEP_3) | instskip(NEXT) | instid1(VALU_DEP_3)
	v_and_b32_e32 v57, 0xffff, v57
	v_lshlrev_b32_e32 v56, 16, v56
	s_delay_alu instid0(VALU_DEP_1) | instskip(SKIP_1) | instid1(VALU_DEP_1)
	v_or_b32_e32 v56, v57, v56
	s_wait_alu 0xf1ff
	v_cndmask_b32_e64 v54, v54, v56, s8
	ds_store_b32 v1, v54
	s_wait_loadcnt_dscnt 0x0
	s_barrier_signal -1
	s_barrier_wait -1
	global_inv scope:SCOPE_SE
	s_and_saveexec_b32 s9, s0
	s_cbranch_execz .LBB116_6
; %bb.3:                                ;   in Loop: Header=BB116_2 Depth=1
	v_dual_mov_b32 v53, v44 :: v_dual_mov_b32 v54, v36
	s_mov_b32 s10, 0
.LBB116_4:                              ;   Parent Loop BB116_2 Depth=1
                                        ; =>  This Inner Loop Header: Depth=2
	s_delay_alu instid0(VALU_DEP_1) | instskip(NEXT) | instid1(VALU_DEP_1)
	v_sub_nc_u32_e32 v55, v54, v53
	v_lshrrev_b32_e32 v55, 1, v55
	s_delay_alu instid0(VALU_DEP_1) | instskip(NEXT) | instid1(VALU_DEP_1)
	v_add_nc_u32_e32 v55, v55, v53
	v_add_nc_u32_e32 v56, v2, v55
	v_xad_u32 v57, v55, -1, v28
	v_add_nc_u32_e32 v58, 1, v55
	ds_load_u8 v56, v56
	ds_load_u8 v57, v57
	s_wait_dscnt 0x0
	v_cmp_lt_u16_e64 s8, v57, v56
	s_wait_alu 0xf1ff
	s_delay_alu instid0(VALU_DEP_1) | instskip(SKIP_1) | instid1(VALU_DEP_1)
	v_cndmask_b32_e64 v54, v54, v55, s8
	v_cndmask_b32_e64 v53, v58, v53, s8
	v_cmp_ge_i32_e64 s8, v53, v54
	s_wait_alu 0xfffe
	s_or_b32 s10, s8, s10
	s_wait_alu 0xfffe
	s_and_not1_b32 exec_lo, exec_lo, s10
	s_cbranch_execnz .LBB116_4
; %bb.5:                                ;   in Loop: Header=BB116_2 Depth=1
	s_or_b32 exec_lo, exec_lo, s10
.LBB116_6:                              ;   in Loop: Header=BB116_2 Depth=1
	s_wait_alu 0xfffe
	s_or_b32 exec_lo, exec_lo, s9
	v_add_nc_u32_e32 v58, v53, v2
	v_sub_nc_u32_e32 v57, v28, v53
	ds_load_u8 v53, v58
	ds_load_u8 v54, v57
	v_cmp_le_i32_e64 s8, v12, v58
	v_cmp_gt_i32_e64 s10, v13, v57
	s_wait_dscnt 0x1
	v_and_b32_e32 v55, 0xff, v53
	s_wait_dscnt 0x0
	v_and_b32_e32 v56, 0xff, v54
	s_delay_alu instid0(VALU_DEP_1)
	v_cmp_lt_u16_e64 s9, v56, v55
                                        ; implicit-def: $vgpr55
	s_or_b32 s8, s8, s9
	s_wait_alu 0xfffe
	s_and_b32 s8, s10, s8
	s_wait_alu 0xfffe
	s_xor_b32 s9, s8, -1
	s_wait_alu 0xfffe
	s_and_saveexec_b32 s10, s9
	s_wait_alu 0xfffe
	s_xor_b32 s9, exec_lo, s10
; %bb.7:                                ;   in Loop: Header=BB116_2 Depth=1
	ds_load_u8 v55, v58 offset:1
; %bb.8:                                ;   in Loop: Header=BB116_2 Depth=1
	s_wait_alu 0xfffe
	s_or_saveexec_b32 s9, s9
	v_mov_b32_e32 v56, v54
	s_wait_alu 0xfffe
	s_xor_b32 exec_lo, exec_lo, s9
	s_cbranch_execz .LBB116_10
; %bb.9:                                ;   in Loop: Header=BB116_2 Depth=1
	ds_load_u8 v56, v57 offset:1
	s_wait_dscnt 0x1
	v_mov_b32_e32 v55, v53
.LBB116_10:                             ;   in Loop: Header=BB116_2 Depth=1
	s_or_b32 exec_lo, exec_lo, s9
	v_add_nc_u32_e32 v59, 1, v58
	v_add_nc_u32_e32 v61, 1, v57
	s_wait_dscnt 0x0
	v_and_b32_e32 v62, 0xff, v55
	s_delay_alu instid0(VALU_DEP_3) | instskip(SKIP_2) | instid1(VALU_DEP_3)
	v_cndmask_b32_e64 v60, v59, v58, s8
	v_and_b32_e32 v58, 0xff, v56
	v_cndmask_b32_e64 v59, v57, v61, s8
                                        ; implicit-def: $vgpr57
	v_cmp_ge_i32_e64 s9, v60, v12
	s_delay_alu instid0(VALU_DEP_3) | instskip(NEXT) | instid1(VALU_DEP_3)
	v_cmp_lt_u16_e64 s10, v58, v62
	v_cmp_lt_i32_e64 s11, v59, v13
	s_or_b32 s9, s9, s10
	s_wait_alu 0xfffe
	s_and_b32 s9, s11, s9
	s_wait_alu 0xfffe
	s_xor_b32 s10, s9, -1
	s_wait_alu 0xfffe
	s_and_saveexec_b32 s11, s10
	s_wait_alu 0xfffe
	s_xor_b32 s10, exec_lo, s11
; %bb.11:                               ;   in Loop: Header=BB116_2 Depth=1
	ds_load_u8 v57, v60 offset:1
; %bb.12:                               ;   in Loop: Header=BB116_2 Depth=1
	s_wait_alu 0xfffe
	s_or_saveexec_b32 s10, s10
	v_mov_b32_e32 v58, v56
	s_wait_alu 0xfffe
	s_xor_b32 exec_lo, exec_lo, s10
	s_cbranch_execz .LBB116_14
; %bb.13:                               ;   in Loop: Header=BB116_2 Depth=1
	ds_load_u8 v58, v59 offset:1
	s_wait_dscnt 0x1
	v_mov_b32_e32 v57, v55
.LBB116_14:                             ;   in Loop: Header=BB116_2 Depth=1
	s_or_b32 exec_lo, exec_lo, s10
	v_add_nc_u32_e32 v61, 1, v60
	v_add_nc_u32_e32 v62, 1, v59
	s_wait_dscnt 0x0
	v_and_b32_e32 v63, 0xff, v57
	v_and_b32_e32 v64, 0xff, v58
	v_cndmask_b32_e64 v61, v61, v60, s9
	v_cndmask_b32_e64 v60, v59, v62, s9
                                        ; implicit-def: $vgpr59
	s_delay_alu instid0(VALU_DEP_3) | instskip(NEXT) | instid1(VALU_DEP_3)
	v_cmp_lt_u16_e64 s11, v64, v63
	v_cmp_ge_i32_e64 s10, v61, v12
	s_delay_alu instid0(VALU_DEP_3)
	v_cmp_lt_i32_e64 s12, v60, v13
	s_or_b32 s10, s10, s11
	s_wait_alu 0xfffe
	s_and_b32 s10, s12, s10
	s_wait_alu 0xfffe
	s_xor_b32 s11, s10, -1
	s_wait_alu 0xfffe
	s_and_saveexec_b32 s12, s11
	s_delay_alu instid0(SALU_CYCLE_1)
	s_xor_b32 s11, exec_lo, s12
; %bb.15:                               ;   in Loop: Header=BB116_2 Depth=1
	ds_load_u8 v59, v61 offset:1
; %bb.16:                               ;   in Loop: Header=BB116_2 Depth=1
	s_wait_alu 0xfffe
	s_or_saveexec_b32 s11, s11
	v_mov_b32_e32 v62, v58
	s_wait_alu 0xfffe
	s_xor_b32 exec_lo, exec_lo, s11
	s_cbranch_execz .LBB116_18
; %bb.17:                               ;   in Loop: Header=BB116_2 Depth=1
	ds_load_u8 v62, v60 offset:1
	s_wait_dscnt 0x1
	v_mov_b32_e32 v59, v57
.LBB116_18:                             ;   in Loop: Header=BB116_2 Depth=1
	s_or_b32 exec_lo, exec_lo, s11
	v_add_nc_u32_e32 v63, 1, v61
	v_add_nc_u32_e32 v64, 1, v60
	s_wait_dscnt 0x0
	v_and_b32_e32 v65, 0xff, v59
	v_and_b32_e32 v66, 0xff, v62
	v_cndmask_b32_e64 v57, v57, v58, s10
	v_cndmask_b32_e64 v61, v63, v61, s10
	;; [unrolled: 1-line block ×4, first 2 shown]
	v_cmp_lt_u16_e64 s9, v66, v65
	v_cndmask_b32_e64 v53, v53, v54, s8
	v_cmp_ge_i32_e64 s10, v61, v12
	v_cmp_lt_i32_e64 s8, v58, v13
	s_wait_loadcnt 0x0
	s_barrier_signal -1
	s_barrier_wait -1
	s_or_b32 s9, s10, s9
	global_inv scope:SCOPE_SE
	s_wait_alu 0xfffe
	s_and_b32 s8, s8, s9
	s_wait_alu 0xfffe
	v_cndmask_b32_e64 v54, v59, v62, s8
	ds_store_b8 v1, v53
	ds_store_b8 v1, v55 offset:1
	ds_store_b8 v1, v57 offset:2
	;; [unrolled: 1-line block ×3, first 2 shown]
	v_mov_b32_e32 v53, v45
	s_wait_loadcnt_dscnt 0x0
	s_barrier_signal -1
	s_barrier_wait -1
	global_inv scope:SCOPE_SE
	s_and_saveexec_b32 s9, s1
	s_cbranch_execz .LBB116_22
; %bb.19:                               ;   in Loop: Header=BB116_2 Depth=1
	v_dual_mov_b32 v53, v45 :: v_dual_mov_b32 v54, v37
	s_mov_b32 s10, 0
.LBB116_20:                             ;   Parent Loop BB116_2 Depth=1
                                        ; =>  This Inner Loop Header: Depth=2
	s_delay_alu instid0(VALU_DEP_1) | instskip(NEXT) | instid1(VALU_DEP_1)
	v_sub_nc_u32_e32 v55, v54, v53
	v_lshrrev_b32_e32 v55, 1, v55
	s_delay_alu instid0(VALU_DEP_1) | instskip(NEXT) | instid1(VALU_DEP_1)
	v_add_nc_u32_e32 v55, v55, v53
	v_add_nc_u32_e32 v56, v3, v55
	v_xad_u32 v57, v55, -1, v29
	v_add_nc_u32_e32 v58, 1, v55
	ds_load_u8 v56, v56
	ds_load_u8 v57, v57
	s_wait_dscnt 0x0
	v_cmp_lt_u16_e64 s8, v57, v56
	s_wait_alu 0xf1ff
	s_delay_alu instid0(VALU_DEP_1) | instskip(SKIP_1) | instid1(VALU_DEP_1)
	v_cndmask_b32_e64 v54, v54, v55, s8
	v_cndmask_b32_e64 v53, v58, v53, s8
	v_cmp_ge_i32_e64 s8, v53, v54
	s_wait_alu 0xfffe
	s_or_b32 s10, s8, s10
	s_wait_alu 0xfffe
	s_and_not1_b32 exec_lo, exec_lo, s10
	s_cbranch_execnz .LBB116_20
; %bb.21:                               ;   in Loop: Header=BB116_2 Depth=1
	s_or_b32 exec_lo, exec_lo, s10
.LBB116_22:                             ;   in Loop: Header=BB116_2 Depth=1
	s_wait_alu 0xfffe
	s_or_b32 exec_lo, exec_lo, s9
	v_add_nc_u32_e32 v58, v53, v3
	v_sub_nc_u32_e32 v57, v29, v53
	ds_load_u8 v53, v58
	ds_load_u8 v54, v57
	v_cmp_le_i32_e64 s8, v14, v58
	v_cmp_gt_i32_e64 s10, v15, v57
	s_wait_dscnt 0x1
	v_and_b32_e32 v55, 0xff, v53
	s_wait_dscnt 0x0
	v_and_b32_e32 v56, 0xff, v54
	s_delay_alu instid0(VALU_DEP_1)
	v_cmp_lt_u16_e64 s9, v56, v55
                                        ; implicit-def: $vgpr55
	s_or_b32 s8, s8, s9
	s_wait_alu 0xfffe
	s_and_b32 s8, s10, s8
	s_wait_alu 0xfffe
	s_xor_b32 s9, s8, -1
	s_wait_alu 0xfffe
	s_and_saveexec_b32 s10, s9
	s_wait_alu 0xfffe
	s_xor_b32 s9, exec_lo, s10
; %bb.23:                               ;   in Loop: Header=BB116_2 Depth=1
	ds_load_u8 v55, v58 offset:1
; %bb.24:                               ;   in Loop: Header=BB116_2 Depth=1
	s_wait_alu 0xfffe
	s_or_saveexec_b32 s9, s9
	v_mov_b32_e32 v56, v54
	s_wait_alu 0xfffe
	s_xor_b32 exec_lo, exec_lo, s9
	s_cbranch_execz .LBB116_26
; %bb.25:                               ;   in Loop: Header=BB116_2 Depth=1
	ds_load_u8 v56, v57 offset:1
	s_wait_dscnt 0x1
	v_mov_b32_e32 v55, v53
.LBB116_26:                             ;   in Loop: Header=BB116_2 Depth=1
	s_or_b32 exec_lo, exec_lo, s9
	v_add_nc_u32_e32 v59, 1, v58
	v_add_nc_u32_e32 v61, 1, v57
	s_wait_dscnt 0x0
	v_and_b32_e32 v62, 0xff, v55
	s_delay_alu instid0(VALU_DEP_3) | instskip(SKIP_2) | instid1(VALU_DEP_3)
	v_cndmask_b32_e64 v60, v59, v58, s8
	v_and_b32_e32 v58, 0xff, v56
	v_cndmask_b32_e64 v59, v57, v61, s8
                                        ; implicit-def: $vgpr57
	v_cmp_ge_i32_e64 s9, v60, v14
	s_delay_alu instid0(VALU_DEP_3) | instskip(NEXT) | instid1(VALU_DEP_3)
	v_cmp_lt_u16_e64 s10, v58, v62
	v_cmp_lt_i32_e64 s11, v59, v15
	s_or_b32 s9, s9, s10
	s_wait_alu 0xfffe
	s_and_b32 s9, s11, s9
	s_wait_alu 0xfffe
	s_xor_b32 s10, s9, -1
	s_wait_alu 0xfffe
	s_and_saveexec_b32 s11, s10
	s_wait_alu 0xfffe
	s_xor_b32 s10, exec_lo, s11
; %bb.27:                               ;   in Loop: Header=BB116_2 Depth=1
	ds_load_u8 v57, v60 offset:1
; %bb.28:                               ;   in Loop: Header=BB116_2 Depth=1
	s_wait_alu 0xfffe
	s_or_saveexec_b32 s10, s10
	v_mov_b32_e32 v58, v56
	s_wait_alu 0xfffe
	s_xor_b32 exec_lo, exec_lo, s10
	s_cbranch_execz .LBB116_30
; %bb.29:                               ;   in Loop: Header=BB116_2 Depth=1
	ds_load_u8 v58, v59 offset:1
	s_wait_dscnt 0x1
	v_mov_b32_e32 v57, v55
.LBB116_30:                             ;   in Loop: Header=BB116_2 Depth=1
	s_or_b32 exec_lo, exec_lo, s10
	v_add_nc_u32_e32 v61, 1, v60
	v_add_nc_u32_e32 v62, 1, v59
	s_wait_dscnt 0x0
	v_and_b32_e32 v63, 0xff, v57
	v_and_b32_e32 v64, 0xff, v58
	v_cndmask_b32_e64 v61, v61, v60, s9
	v_cndmask_b32_e64 v60, v59, v62, s9
                                        ; implicit-def: $vgpr59
	s_delay_alu instid0(VALU_DEP_3) | instskip(NEXT) | instid1(VALU_DEP_3)
	v_cmp_lt_u16_e64 s11, v64, v63
	v_cmp_ge_i32_e64 s10, v61, v14
	s_delay_alu instid0(VALU_DEP_3)
	v_cmp_lt_i32_e64 s12, v60, v15
	s_or_b32 s10, s10, s11
	s_wait_alu 0xfffe
	s_and_b32 s10, s12, s10
	s_wait_alu 0xfffe
	s_xor_b32 s11, s10, -1
	s_wait_alu 0xfffe
	s_and_saveexec_b32 s12, s11
	s_delay_alu instid0(SALU_CYCLE_1)
	s_xor_b32 s11, exec_lo, s12
; %bb.31:                               ;   in Loop: Header=BB116_2 Depth=1
	ds_load_u8 v59, v61 offset:1
; %bb.32:                               ;   in Loop: Header=BB116_2 Depth=1
	s_wait_alu 0xfffe
	s_or_saveexec_b32 s11, s11
	v_mov_b32_e32 v62, v58
	s_wait_alu 0xfffe
	s_xor_b32 exec_lo, exec_lo, s11
	s_cbranch_execz .LBB116_34
; %bb.33:                               ;   in Loop: Header=BB116_2 Depth=1
	ds_load_u8 v62, v60 offset:1
	s_wait_dscnt 0x1
	v_mov_b32_e32 v59, v57
.LBB116_34:                             ;   in Loop: Header=BB116_2 Depth=1
	s_or_b32 exec_lo, exec_lo, s11
	v_add_nc_u32_e32 v63, 1, v61
	v_add_nc_u32_e32 v64, 1, v60
	s_wait_dscnt 0x0
	v_and_b32_e32 v65, 0xff, v59
	v_and_b32_e32 v66, 0xff, v62
	v_cndmask_b32_e64 v57, v57, v58, s10
	v_cndmask_b32_e64 v61, v63, v61, s10
	;; [unrolled: 1-line block ×4, first 2 shown]
	v_cmp_lt_u16_e64 s9, v66, v65
	v_cndmask_b32_e64 v53, v53, v54, s8
	v_cmp_ge_i32_e64 s10, v61, v14
	v_cmp_lt_i32_e64 s8, v58, v15
	s_wait_loadcnt 0x0
	s_barrier_signal -1
	s_barrier_wait -1
	s_or_b32 s9, s10, s9
	global_inv scope:SCOPE_SE
	s_wait_alu 0xfffe
	s_and_b32 s8, s8, s9
	s_wait_alu 0xfffe
	v_cndmask_b32_e64 v54, v59, v62, s8
	ds_store_b8 v1, v53
	ds_store_b8 v1, v55 offset:1
	ds_store_b8 v1, v57 offset:2
	;; [unrolled: 1-line block ×3, first 2 shown]
	v_mov_b32_e32 v53, v46
	s_wait_loadcnt_dscnt 0x0
	s_barrier_signal -1
	s_barrier_wait -1
	global_inv scope:SCOPE_SE
	s_and_saveexec_b32 s9, s2
	s_cbranch_execz .LBB116_38
; %bb.35:                               ;   in Loop: Header=BB116_2 Depth=1
	v_dual_mov_b32 v53, v46 :: v_dual_mov_b32 v54, v38
	s_mov_b32 s10, 0
.LBB116_36:                             ;   Parent Loop BB116_2 Depth=1
                                        ; =>  This Inner Loop Header: Depth=2
	s_delay_alu instid0(VALU_DEP_1) | instskip(NEXT) | instid1(VALU_DEP_1)
	v_sub_nc_u32_e32 v55, v54, v53
	v_lshrrev_b32_e32 v55, 1, v55
	s_delay_alu instid0(VALU_DEP_1) | instskip(NEXT) | instid1(VALU_DEP_1)
	v_add_nc_u32_e32 v55, v55, v53
	v_add_nc_u32_e32 v56, v4, v55
	v_xad_u32 v57, v55, -1, v30
	v_add_nc_u32_e32 v58, 1, v55
	ds_load_u8 v56, v56
	ds_load_u8 v57, v57
	s_wait_dscnt 0x0
	v_cmp_lt_u16_e64 s8, v57, v56
	s_wait_alu 0xf1ff
	s_delay_alu instid0(VALU_DEP_1) | instskip(SKIP_1) | instid1(VALU_DEP_1)
	v_cndmask_b32_e64 v54, v54, v55, s8
	v_cndmask_b32_e64 v53, v58, v53, s8
	v_cmp_ge_i32_e64 s8, v53, v54
	s_wait_alu 0xfffe
	s_or_b32 s10, s8, s10
	s_wait_alu 0xfffe
	s_and_not1_b32 exec_lo, exec_lo, s10
	s_cbranch_execnz .LBB116_36
; %bb.37:                               ;   in Loop: Header=BB116_2 Depth=1
	s_or_b32 exec_lo, exec_lo, s10
.LBB116_38:                             ;   in Loop: Header=BB116_2 Depth=1
	s_wait_alu 0xfffe
	s_or_b32 exec_lo, exec_lo, s9
	v_add_nc_u32_e32 v58, v53, v4
	v_sub_nc_u32_e32 v57, v30, v53
	ds_load_u8 v53, v58
	ds_load_u8 v54, v57
	v_cmp_le_i32_e64 s8, v16, v58
	v_cmp_gt_i32_e64 s10, v17, v57
	s_wait_dscnt 0x1
	v_and_b32_e32 v55, 0xff, v53
	s_wait_dscnt 0x0
	v_and_b32_e32 v56, 0xff, v54
	s_delay_alu instid0(VALU_DEP_1)
	v_cmp_lt_u16_e64 s9, v56, v55
                                        ; implicit-def: $vgpr55
	s_or_b32 s8, s8, s9
	s_wait_alu 0xfffe
	s_and_b32 s8, s10, s8
	s_wait_alu 0xfffe
	s_xor_b32 s9, s8, -1
	s_wait_alu 0xfffe
	s_and_saveexec_b32 s10, s9
	s_wait_alu 0xfffe
	s_xor_b32 s9, exec_lo, s10
; %bb.39:                               ;   in Loop: Header=BB116_2 Depth=1
	ds_load_u8 v55, v58 offset:1
; %bb.40:                               ;   in Loop: Header=BB116_2 Depth=1
	s_wait_alu 0xfffe
	s_or_saveexec_b32 s9, s9
	v_mov_b32_e32 v56, v54
	s_wait_alu 0xfffe
	s_xor_b32 exec_lo, exec_lo, s9
	s_cbranch_execz .LBB116_42
; %bb.41:                               ;   in Loop: Header=BB116_2 Depth=1
	ds_load_u8 v56, v57 offset:1
	s_wait_dscnt 0x1
	v_mov_b32_e32 v55, v53
.LBB116_42:                             ;   in Loop: Header=BB116_2 Depth=1
	s_or_b32 exec_lo, exec_lo, s9
	v_add_nc_u32_e32 v59, 1, v58
	v_add_nc_u32_e32 v61, 1, v57
	s_wait_dscnt 0x0
	v_and_b32_e32 v62, 0xff, v55
	s_delay_alu instid0(VALU_DEP_3) | instskip(SKIP_2) | instid1(VALU_DEP_3)
	v_cndmask_b32_e64 v60, v59, v58, s8
	v_and_b32_e32 v58, 0xff, v56
	v_cndmask_b32_e64 v59, v57, v61, s8
                                        ; implicit-def: $vgpr57
	v_cmp_ge_i32_e64 s9, v60, v16
	s_delay_alu instid0(VALU_DEP_3) | instskip(NEXT) | instid1(VALU_DEP_3)
	v_cmp_lt_u16_e64 s10, v58, v62
	v_cmp_lt_i32_e64 s11, v59, v17
	s_or_b32 s9, s9, s10
	s_wait_alu 0xfffe
	s_and_b32 s9, s11, s9
	s_wait_alu 0xfffe
	s_xor_b32 s10, s9, -1
	s_wait_alu 0xfffe
	s_and_saveexec_b32 s11, s10
	s_wait_alu 0xfffe
	s_xor_b32 s10, exec_lo, s11
; %bb.43:                               ;   in Loop: Header=BB116_2 Depth=1
	ds_load_u8 v57, v60 offset:1
; %bb.44:                               ;   in Loop: Header=BB116_2 Depth=1
	s_wait_alu 0xfffe
	s_or_saveexec_b32 s10, s10
	v_mov_b32_e32 v58, v56
	s_wait_alu 0xfffe
	s_xor_b32 exec_lo, exec_lo, s10
	s_cbranch_execz .LBB116_46
; %bb.45:                               ;   in Loop: Header=BB116_2 Depth=1
	ds_load_u8 v58, v59 offset:1
	s_wait_dscnt 0x1
	v_mov_b32_e32 v57, v55
.LBB116_46:                             ;   in Loop: Header=BB116_2 Depth=1
	s_or_b32 exec_lo, exec_lo, s10
	v_add_nc_u32_e32 v61, 1, v60
	v_add_nc_u32_e32 v62, 1, v59
	s_wait_dscnt 0x0
	v_and_b32_e32 v63, 0xff, v57
	v_and_b32_e32 v64, 0xff, v58
	v_cndmask_b32_e64 v61, v61, v60, s9
	v_cndmask_b32_e64 v60, v59, v62, s9
                                        ; implicit-def: $vgpr59
	s_delay_alu instid0(VALU_DEP_3) | instskip(NEXT) | instid1(VALU_DEP_3)
	v_cmp_lt_u16_e64 s11, v64, v63
	v_cmp_ge_i32_e64 s10, v61, v16
	s_delay_alu instid0(VALU_DEP_3)
	v_cmp_lt_i32_e64 s12, v60, v17
	s_or_b32 s10, s10, s11
	s_wait_alu 0xfffe
	s_and_b32 s10, s12, s10
	s_wait_alu 0xfffe
	s_xor_b32 s11, s10, -1
	s_wait_alu 0xfffe
	s_and_saveexec_b32 s12, s11
	s_delay_alu instid0(SALU_CYCLE_1)
	s_xor_b32 s11, exec_lo, s12
; %bb.47:                               ;   in Loop: Header=BB116_2 Depth=1
	ds_load_u8 v59, v61 offset:1
; %bb.48:                               ;   in Loop: Header=BB116_2 Depth=1
	s_wait_alu 0xfffe
	s_or_saveexec_b32 s11, s11
	v_mov_b32_e32 v62, v58
	s_wait_alu 0xfffe
	s_xor_b32 exec_lo, exec_lo, s11
	s_cbranch_execz .LBB116_50
; %bb.49:                               ;   in Loop: Header=BB116_2 Depth=1
	ds_load_u8 v62, v60 offset:1
	s_wait_dscnt 0x1
	v_mov_b32_e32 v59, v57
.LBB116_50:                             ;   in Loop: Header=BB116_2 Depth=1
	s_or_b32 exec_lo, exec_lo, s11
	v_add_nc_u32_e32 v63, 1, v61
	v_add_nc_u32_e32 v64, 1, v60
	s_wait_dscnt 0x0
	v_and_b32_e32 v65, 0xff, v59
	v_and_b32_e32 v66, 0xff, v62
	v_cndmask_b32_e64 v57, v57, v58, s10
	v_cndmask_b32_e64 v61, v63, v61, s10
	;; [unrolled: 1-line block ×4, first 2 shown]
	v_cmp_lt_u16_e64 s9, v66, v65
	v_cndmask_b32_e64 v53, v53, v54, s8
	v_cmp_ge_i32_e64 s10, v61, v16
	v_cmp_lt_i32_e64 s8, v58, v17
	s_wait_loadcnt 0x0
	s_barrier_signal -1
	s_barrier_wait -1
	s_or_b32 s9, s10, s9
	global_inv scope:SCOPE_SE
	s_wait_alu 0xfffe
	s_and_b32 s8, s8, s9
	s_wait_alu 0xfffe
	v_cndmask_b32_e64 v54, v59, v62, s8
	ds_store_b8 v1, v53
	ds_store_b8 v1, v55 offset:1
	ds_store_b8 v1, v57 offset:2
	;; [unrolled: 1-line block ×3, first 2 shown]
	v_mov_b32_e32 v53, v47
	s_wait_loadcnt_dscnt 0x0
	s_barrier_signal -1
	s_barrier_wait -1
	global_inv scope:SCOPE_SE
	s_and_saveexec_b32 s9, s3
	s_cbranch_execz .LBB116_54
; %bb.51:                               ;   in Loop: Header=BB116_2 Depth=1
	v_dual_mov_b32 v53, v47 :: v_dual_mov_b32 v54, v39
	s_mov_b32 s10, 0
.LBB116_52:                             ;   Parent Loop BB116_2 Depth=1
                                        ; =>  This Inner Loop Header: Depth=2
	s_delay_alu instid0(VALU_DEP_1) | instskip(NEXT) | instid1(VALU_DEP_1)
	v_sub_nc_u32_e32 v55, v54, v53
	v_lshrrev_b32_e32 v55, 1, v55
	s_delay_alu instid0(VALU_DEP_1) | instskip(NEXT) | instid1(VALU_DEP_1)
	v_add_nc_u32_e32 v55, v55, v53
	v_add_nc_u32_e32 v56, v5, v55
	v_xad_u32 v57, v55, -1, v31
	v_add_nc_u32_e32 v58, 1, v55
	ds_load_u8 v56, v56
	ds_load_u8 v57, v57
	s_wait_dscnt 0x0
	v_cmp_lt_u16_e64 s8, v57, v56
	s_wait_alu 0xf1ff
	s_delay_alu instid0(VALU_DEP_1) | instskip(SKIP_1) | instid1(VALU_DEP_1)
	v_cndmask_b32_e64 v54, v54, v55, s8
	v_cndmask_b32_e64 v53, v58, v53, s8
	v_cmp_ge_i32_e64 s8, v53, v54
	s_wait_alu 0xfffe
	s_or_b32 s10, s8, s10
	s_wait_alu 0xfffe
	s_and_not1_b32 exec_lo, exec_lo, s10
	s_cbranch_execnz .LBB116_52
; %bb.53:                               ;   in Loop: Header=BB116_2 Depth=1
	s_or_b32 exec_lo, exec_lo, s10
.LBB116_54:                             ;   in Loop: Header=BB116_2 Depth=1
	s_wait_alu 0xfffe
	s_or_b32 exec_lo, exec_lo, s9
	v_add_nc_u32_e32 v58, v53, v5
	v_sub_nc_u32_e32 v57, v31, v53
	ds_load_u8 v53, v58
	ds_load_u8 v54, v57
	v_cmp_le_i32_e64 s8, v18, v58
	v_cmp_gt_i32_e64 s10, v19, v57
	s_wait_dscnt 0x1
	v_and_b32_e32 v55, 0xff, v53
	s_wait_dscnt 0x0
	v_and_b32_e32 v56, 0xff, v54
	s_delay_alu instid0(VALU_DEP_1)
	v_cmp_lt_u16_e64 s9, v56, v55
                                        ; implicit-def: $vgpr55
	s_or_b32 s8, s8, s9
	s_wait_alu 0xfffe
	s_and_b32 s8, s10, s8
	s_wait_alu 0xfffe
	s_xor_b32 s9, s8, -1
	s_wait_alu 0xfffe
	s_and_saveexec_b32 s10, s9
	s_wait_alu 0xfffe
	s_xor_b32 s9, exec_lo, s10
; %bb.55:                               ;   in Loop: Header=BB116_2 Depth=1
	ds_load_u8 v55, v58 offset:1
; %bb.56:                               ;   in Loop: Header=BB116_2 Depth=1
	s_wait_alu 0xfffe
	s_or_saveexec_b32 s9, s9
	v_mov_b32_e32 v56, v54
	s_wait_alu 0xfffe
	s_xor_b32 exec_lo, exec_lo, s9
	s_cbranch_execz .LBB116_58
; %bb.57:                               ;   in Loop: Header=BB116_2 Depth=1
	ds_load_u8 v56, v57 offset:1
	s_wait_dscnt 0x1
	v_mov_b32_e32 v55, v53
.LBB116_58:                             ;   in Loop: Header=BB116_2 Depth=1
	s_or_b32 exec_lo, exec_lo, s9
	v_add_nc_u32_e32 v59, 1, v58
	v_add_nc_u32_e32 v61, 1, v57
	s_wait_dscnt 0x0
	v_and_b32_e32 v62, 0xff, v55
	s_delay_alu instid0(VALU_DEP_3) | instskip(SKIP_2) | instid1(VALU_DEP_3)
	v_cndmask_b32_e64 v60, v59, v58, s8
	v_and_b32_e32 v58, 0xff, v56
	v_cndmask_b32_e64 v59, v57, v61, s8
                                        ; implicit-def: $vgpr57
	v_cmp_ge_i32_e64 s9, v60, v18
	s_delay_alu instid0(VALU_DEP_3) | instskip(NEXT) | instid1(VALU_DEP_3)
	v_cmp_lt_u16_e64 s10, v58, v62
	v_cmp_lt_i32_e64 s11, v59, v19
	s_or_b32 s9, s9, s10
	s_wait_alu 0xfffe
	s_and_b32 s9, s11, s9
	s_wait_alu 0xfffe
	s_xor_b32 s10, s9, -1
	s_wait_alu 0xfffe
	s_and_saveexec_b32 s11, s10
	s_wait_alu 0xfffe
	s_xor_b32 s10, exec_lo, s11
; %bb.59:                               ;   in Loop: Header=BB116_2 Depth=1
	ds_load_u8 v57, v60 offset:1
; %bb.60:                               ;   in Loop: Header=BB116_2 Depth=1
	s_wait_alu 0xfffe
	s_or_saveexec_b32 s10, s10
	v_mov_b32_e32 v58, v56
	s_wait_alu 0xfffe
	s_xor_b32 exec_lo, exec_lo, s10
	s_cbranch_execz .LBB116_62
; %bb.61:                               ;   in Loop: Header=BB116_2 Depth=1
	ds_load_u8 v58, v59 offset:1
	s_wait_dscnt 0x1
	v_mov_b32_e32 v57, v55
.LBB116_62:                             ;   in Loop: Header=BB116_2 Depth=1
	s_or_b32 exec_lo, exec_lo, s10
	v_add_nc_u32_e32 v61, 1, v60
	v_add_nc_u32_e32 v62, 1, v59
	s_wait_dscnt 0x0
	v_and_b32_e32 v63, 0xff, v57
	v_and_b32_e32 v64, 0xff, v58
	v_cndmask_b32_e64 v61, v61, v60, s9
	v_cndmask_b32_e64 v60, v59, v62, s9
                                        ; implicit-def: $vgpr59
	s_delay_alu instid0(VALU_DEP_3) | instskip(NEXT) | instid1(VALU_DEP_3)
	v_cmp_lt_u16_e64 s11, v64, v63
	v_cmp_ge_i32_e64 s10, v61, v18
	s_delay_alu instid0(VALU_DEP_3)
	v_cmp_lt_i32_e64 s12, v60, v19
	s_or_b32 s10, s10, s11
	s_wait_alu 0xfffe
	s_and_b32 s10, s12, s10
	s_wait_alu 0xfffe
	s_xor_b32 s11, s10, -1
	s_wait_alu 0xfffe
	s_and_saveexec_b32 s12, s11
	s_delay_alu instid0(SALU_CYCLE_1)
	s_xor_b32 s11, exec_lo, s12
; %bb.63:                               ;   in Loop: Header=BB116_2 Depth=1
	ds_load_u8 v59, v61 offset:1
; %bb.64:                               ;   in Loop: Header=BB116_2 Depth=1
	s_wait_alu 0xfffe
	s_or_saveexec_b32 s11, s11
	v_mov_b32_e32 v62, v58
	s_wait_alu 0xfffe
	s_xor_b32 exec_lo, exec_lo, s11
	s_cbranch_execz .LBB116_66
; %bb.65:                               ;   in Loop: Header=BB116_2 Depth=1
	ds_load_u8 v62, v60 offset:1
	s_wait_dscnt 0x1
	v_mov_b32_e32 v59, v57
.LBB116_66:                             ;   in Loop: Header=BB116_2 Depth=1
	s_or_b32 exec_lo, exec_lo, s11
	v_add_nc_u32_e32 v63, 1, v61
	v_add_nc_u32_e32 v64, 1, v60
	s_wait_dscnt 0x0
	v_and_b32_e32 v65, 0xff, v59
	v_and_b32_e32 v66, 0xff, v62
	v_cndmask_b32_e64 v57, v57, v58, s10
	v_cndmask_b32_e64 v61, v63, v61, s10
	;; [unrolled: 1-line block ×4, first 2 shown]
	v_cmp_lt_u16_e64 s9, v66, v65
	v_cndmask_b32_e64 v53, v53, v54, s8
	v_cmp_ge_i32_e64 s10, v61, v18
	v_cmp_lt_i32_e64 s8, v58, v19
	s_wait_loadcnt 0x0
	s_barrier_signal -1
	s_barrier_wait -1
	s_or_b32 s9, s10, s9
	global_inv scope:SCOPE_SE
	s_wait_alu 0xfffe
	s_and_b32 s8, s8, s9
	s_wait_alu 0xfffe
	v_cndmask_b32_e64 v54, v59, v62, s8
	ds_store_b8 v1, v53
	ds_store_b8 v1, v55 offset:1
	ds_store_b8 v1, v57 offset:2
	;; [unrolled: 1-line block ×3, first 2 shown]
	v_mov_b32_e32 v53, v48
	s_wait_loadcnt_dscnt 0x0
	s_barrier_signal -1
	s_barrier_wait -1
	global_inv scope:SCOPE_SE
	s_and_saveexec_b32 s9, s4
	s_cbranch_execz .LBB116_70
; %bb.67:                               ;   in Loop: Header=BB116_2 Depth=1
	v_dual_mov_b32 v53, v48 :: v_dual_mov_b32 v54, v40
	s_mov_b32 s10, 0
.LBB116_68:                             ;   Parent Loop BB116_2 Depth=1
                                        ; =>  This Inner Loop Header: Depth=2
	s_delay_alu instid0(VALU_DEP_1) | instskip(NEXT) | instid1(VALU_DEP_1)
	v_sub_nc_u32_e32 v55, v54, v53
	v_lshrrev_b32_e32 v55, 1, v55
	s_delay_alu instid0(VALU_DEP_1) | instskip(NEXT) | instid1(VALU_DEP_1)
	v_add_nc_u32_e32 v55, v55, v53
	v_add_nc_u32_e32 v56, v6, v55
	v_xad_u32 v57, v55, -1, v32
	v_add_nc_u32_e32 v58, 1, v55
	ds_load_u8 v56, v56
	ds_load_u8 v57, v57
	s_wait_dscnt 0x0
	v_cmp_lt_u16_e64 s8, v57, v56
	s_wait_alu 0xf1ff
	s_delay_alu instid0(VALU_DEP_1) | instskip(SKIP_1) | instid1(VALU_DEP_1)
	v_cndmask_b32_e64 v54, v54, v55, s8
	v_cndmask_b32_e64 v53, v58, v53, s8
	v_cmp_ge_i32_e64 s8, v53, v54
	s_wait_alu 0xfffe
	s_or_b32 s10, s8, s10
	s_wait_alu 0xfffe
	s_and_not1_b32 exec_lo, exec_lo, s10
	s_cbranch_execnz .LBB116_68
; %bb.69:                               ;   in Loop: Header=BB116_2 Depth=1
	s_or_b32 exec_lo, exec_lo, s10
.LBB116_70:                             ;   in Loop: Header=BB116_2 Depth=1
	s_wait_alu 0xfffe
	s_or_b32 exec_lo, exec_lo, s9
	v_add_nc_u32_e32 v58, v53, v6
	v_sub_nc_u32_e32 v57, v32, v53
	ds_load_u8 v53, v58
	ds_load_u8 v54, v57
	v_cmp_le_i32_e64 s8, v20, v58
	v_cmp_gt_i32_e64 s10, v21, v57
	s_wait_dscnt 0x1
	v_and_b32_e32 v55, 0xff, v53
	s_wait_dscnt 0x0
	v_and_b32_e32 v56, 0xff, v54
	s_delay_alu instid0(VALU_DEP_1)
	v_cmp_lt_u16_e64 s9, v56, v55
                                        ; implicit-def: $vgpr55
	s_or_b32 s8, s8, s9
	s_wait_alu 0xfffe
	s_and_b32 s8, s10, s8
	s_wait_alu 0xfffe
	s_xor_b32 s9, s8, -1
	s_wait_alu 0xfffe
	s_and_saveexec_b32 s10, s9
	s_wait_alu 0xfffe
	s_xor_b32 s9, exec_lo, s10
; %bb.71:                               ;   in Loop: Header=BB116_2 Depth=1
	ds_load_u8 v55, v58 offset:1
; %bb.72:                               ;   in Loop: Header=BB116_2 Depth=1
	s_wait_alu 0xfffe
	s_or_saveexec_b32 s9, s9
	v_mov_b32_e32 v56, v54
	s_wait_alu 0xfffe
	s_xor_b32 exec_lo, exec_lo, s9
	s_cbranch_execz .LBB116_74
; %bb.73:                               ;   in Loop: Header=BB116_2 Depth=1
	ds_load_u8 v56, v57 offset:1
	s_wait_dscnt 0x1
	v_mov_b32_e32 v55, v53
.LBB116_74:                             ;   in Loop: Header=BB116_2 Depth=1
	s_or_b32 exec_lo, exec_lo, s9
	v_add_nc_u32_e32 v59, 1, v58
	v_add_nc_u32_e32 v61, 1, v57
	s_wait_dscnt 0x0
	v_and_b32_e32 v62, 0xff, v55
	s_delay_alu instid0(VALU_DEP_3) | instskip(SKIP_2) | instid1(VALU_DEP_3)
	v_cndmask_b32_e64 v60, v59, v58, s8
	v_and_b32_e32 v58, 0xff, v56
	v_cndmask_b32_e64 v59, v57, v61, s8
                                        ; implicit-def: $vgpr57
	v_cmp_ge_i32_e64 s9, v60, v20
	s_delay_alu instid0(VALU_DEP_3) | instskip(NEXT) | instid1(VALU_DEP_3)
	v_cmp_lt_u16_e64 s10, v58, v62
	v_cmp_lt_i32_e64 s11, v59, v21
	s_or_b32 s9, s9, s10
	s_wait_alu 0xfffe
	s_and_b32 s9, s11, s9
	s_wait_alu 0xfffe
	s_xor_b32 s10, s9, -1
	s_wait_alu 0xfffe
	s_and_saveexec_b32 s11, s10
	s_wait_alu 0xfffe
	s_xor_b32 s10, exec_lo, s11
; %bb.75:                               ;   in Loop: Header=BB116_2 Depth=1
	ds_load_u8 v57, v60 offset:1
; %bb.76:                               ;   in Loop: Header=BB116_2 Depth=1
	s_wait_alu 0xfffe
	s_or_saveexec_b32 s10, s10
	v_mov_b32_e32 v58, v56
	s_wait_alu 0xfffe
	s_xor_b32 exec_lo, exec_lo, s10
	s_cbranch_execz .LBB116_78
; %bb.77:                               ;   in Loop: Header=BB116_2 Depth=1
	ds_load_u8 v58, v59 offset:1
	s_wait_dscnt 0x1
	v_mov_b32_e32 v57, v55
.LBB116_78:                             ;   in Loop: Header=BB116_2 Depth=1
	s_or_b32 exec_lo, exec_lo, s10
	v_add_nc_u32_e32 v61, 1, v60
	v_add_nc_u32_e32 v62, 1, v59
	s_wait_dscnt 0x0
	v_and_b32_e32 v63, 0xff, v57
	v_and_b32_e32 v64, 0xff, v58
	v_cndmask_b32_e64 v61, v61, v60, s9
	v_cndmask_b32_e64 v60, v59, v62, s9
                                        ; implicit-def: $vgpr59
	s_delay_alu instid0(VALU_DEP_3) | instskip(NEXT) | instid1(VALU_DEP_3)
	v_cmp_lt_u16_e64 s11, v64, v63
	v_cmp_ge_i32_e64 s10, v61, v20
	s_delay_alu instid0(VALU_DEP_3)
	v_cmp_lt_i32_e64 s12, v60, v21
	s_or_b32 s10, s10, s11
	s_wait_alu 0xfffe
	s_and_b32 s10, s12, s10
	s_wait_alu 0xfffe
	s_xor_b32 s11, s10, -1
	s_wait_alu 0xfffe
	s_and_saveexec_b32 s12, s11
	s_delay_alu instid0(SALU_CYCLE_1)
	s_xor_b32 s11, exec_lo, s12
; %bb.79:                               ;   in Loop: Header=BB116_2 Depth=1
	ds_load_u8 v59, v61 offset:1
; %bb.80:                               ;   in Loop: Header=BB116_2 Depth=1
	s_wait_alu 0xfffe
	s_or_saveexec_b32 s11, s11
	v_mov_b32_e32 v62, v58
	s_wait_alu 0xfffe
	s_xor_b32 exec_lo, exec_lo, s11
	s_cbranch_execz .LBB116_82
; %bb.81:                               ;   in Loop: Header=BB116_2 Depth=1
	ds_load_u8 v62, v60 offset:1
	s_wait_dscnt 0x1
	v_mov_b32_e32 v59, v57
.LBB116_82:                             ;   in Loop: Header=BB116_2 Depth=1
	s_or_b32 exec_lo, exec_lo, s11
	v_add_nc_u32_e32 v63, 1, v61
	v_add_nc_u32_e32 v64, 1, v60
	s_wait_dscnt 0x0
	v_and_b32_e32 v65, 0xff, v59
	v_and_b32_e32 v66, 0xff, v62
	v_cndmask_b32_e64 v57, v57, v58, s10
	v_cndmask_b32_e64 v61, v63, v61, s10
	;; [unrolled: 1-line block ×4, first 2 shown]
	v_cmp_lt_u16_e64 s9, v66, v65
	v_cndmask_b32_e64 v53, v53, v54, s8
	v_cmp_ge_i32_e64 s10, v61, v20
	v_cmp_lt_i32_e64 s8, v58, v21
	s_wait_loadcnt 0x0
	s_barrier_signal -1
	s_barrier_wait -1
	s_or_b32 s9, s10, s9
	global_inv scope:SCOPE_SE
	s_wait_alu 0xfffe
	s_and_b32 s8, s8, s9
	s_wait_alu 0xfffe
	v_cndmask_b32_e64 v54, v59, v62, s8
	ds_store_b8 v1, v53
	ds_store_b8 v1, v55 offset:1
	ds_store_b8 v1, v57 offset:2
	;; [unrolled: 1-line block ×3, first 2 shown]
	v_mov_b32_e32 v53, v49
	s_wait_loadcnt_dscnt 0x0
	s_barrier_signal -1
	s_barrier_wait -1
	global_inv scope:SCOPE_SE
	s_and_saveexec_b32 s9, s5
	s_cbranch_execz .LBB116_86
; %bb.83:                               ;   in Loop: Header=BB116_2 Depth=1
	v_dual_mov_b32 v53, v49 :: v_dual_mov_b32 v54, v41
	s_mov_b32 s10, 0
.LBB116_84:                             ;   Parent Loop BB116_2 Depth=1
                                        ; =>  This Inner Loop Header: Depth=2
	s_delay_alu instid0(VALU_DEP_1) | instskip(NEXT) | instid1(VALU_DEP_1)
	v_sub_nc_u32_e32 v55, v54, v53
	v_lshrrev_b32_e32 v55, 1, v55
	s_delay_alu instid0(VALU_DEP_1) | instskip(NEXT) | instid1(VALU_DEP_1)
	v_add_nc_u32_e32 v55, v55, v53
	v_add_nc_u32_e32 v56, v7, v55
	v_xad_u32 v57, v55, -1, v33
	v_add_nc_u32_e32 v58, 1, v55
	ds_load_u8 v56, v56
	ds_load_u8 v57, v57
	s_wait_dscnt 0x0
	v_cmp_lt_u16_e64 s8, v57, v56
	s_wait_alu 0xf1ff
	s_delay_alu instid0(VALU_DEP_1) | instskip(SKIP_1) | instid1(VALU_DEP_1)
	v_cndmask_b32_e64 v54, v54, v55, s8
	v_cndmask_b32_e64 v53, v58, v53, s8
	v_cmp_ge_i32_e64 s8, v53, v54
	s_wait_alu 0xfffe
	s_or_b32 s10, s8, s10
	s_wait_alu 0xfffe
	s_and_not1_b32 exec_lo, exec_lo, s10
	s_cbranch_execnz .LBB116_84
; %bb.85:                               ;   in Loop: Header=BB116_2 Depth=1
	s_or_b32 exec_lo, exec_lo, s10
.LBB116_86:                             ;   in Loop: Header=BB116_2 Depth=1
	s_wait_alu 0xfffe
	s_or_b32 exec_lo, exec_lo, s9
	v_add_nc_u32_e32 v58, v53, v7
	v_sub_nc_u32_e32 v57, v33, v53
	ds_load_u8 v53, v58
	ds_load_u8 v54, v57
	v_cmp_le_i32_e64 s8, v22, v58
	v_cmp_gt_i32_e64 s10, v23, v57
	s_wait_dscnt 0x1
	v_and_b32_e32 v55, 0xff, v53
	s_wait_dscnt 0x0
	v_and_b32_e32 v56, 0xff, v54
	s_delay_alu instid0(VALU_DEP_1)
	v_cmp_lt_u16_e64 s9, v56, v55
                                        ; implicit-def: $vgpr55
	s_or_b32 s8, s8, s9
	s_wait_alu 0xfffe
	s_and_b32 s8, s10, s8
	s_wait_alu 0xfffe
	s_xor_b32 s9, s8, -1
	s_wait_alu 0xfffe
	s_and_saveexec_b32 s10, s9
	s_wait_alu 0xfffe
	s_xor_b32 s9, exec_lo, s10
; %bb.87:                               ;   in Loop: Header=BB116_2 Depth=1
	ds_load_u8 v55, v58 offset:1
; %bb.88:                               ;   in Loop: Header=BB116_2 Depth=1
	s_wait_alu 0xfffe
	s_or_saveexec_b32 s9, s9
	v_mov_b32_e32 v56, v54
	s_wait_alu 0xfffe
	s_xor_b32 exec_lo, exec_lo, s9
	s_cbranch_execz .LBB116_90
; %bb.89:                               ;   in Loop: Header=BB116_2 Depth=1
	ds_load_u8 v56, v57 offset:1
	s_wait_dscnt 0x1
	v_mov_b32_e32 v55, v53
.LBB116_90:                             ;   in Loop: Header=BB116_2 Depth=1
	s_or_b32 exec_lo, exec_lo, s9
	v_add_nc_u32_e32 v59, 1, v58
	v_add_nc_u32_e32 v61, 1, v57
	s_wait_dscnt 0x0
	v_and_b32_e32 v62, 0xff, v55
	s_delay_alu instid0(VALU_DEP_3) | instskip(SKIP_2) | instid1(VALU_DEP_3)
	v_cndmask_b32_e64 v60, v59, v58, s8
	v_and_b32_e32 v58, 0xff, v56
	v_cndmask_b32_e64 v59, v57, v61, s8
                                        ; implicit-def: $vgpr57
	v_cmp_ge_i32_e64 s9, v60, v22
	s_delay_alu instid0(VALU_DEP_3) | instskip(NEXT) | instid1(VALU_DEP_3)
	v_cmp_lt_u16_e64 s10, v58, v62
	v_cmp_lt_i32_e64 s11, v59, v23
	s_or_b32 s9, s9, s10
	s_wait_alu 0xfffe
	s_and_b32 s9, s11, s9
	s_wait_alu 0xfffe
	s_xor_b32 s10, s9, -1
	s_wait_alu 0xfffe
	s_and_saveexec_b32 s11, s10
	s_wait_alu 0xfffe
	s_xor_b32 s10, exec_lo, s11
; %bb.91:                               ;   in Loop: Header=BB116_2 Depth=1
	ds_load_u8 v57, v60 offset:1
; %bb.92:                               ;   in Loop: Header=BB116_2 Depth=1
	s_wait_alu 0xfffe
	s_or_saveexec_b32 s10, s10
	v_mov_b32_e32 v58, v56
	s_wait_alu 0xfffe
	s_xor_b32 exec_lo, exec_lo, s10
	s_cbranch_execz .LBB116_94
; %bb.93:                               ;   in Loop: Header=BB116_2 Depth=1
	ds_load_u8 v58, v59 offset:1
	s_wait_dscnt 0x1
	v_mov_b32_e32 v57, v55
.LBB116_94:                             ;   in Loop: Header=BB116_2 Depth=1
	s_or_b32 exec_lo, exec_lo, s10
	v_add_nc_u32_e32 v61, 1, v60
	v_add_nc_u32_e32 v62, 1, v59
	s_wait_dscnt 0x0
	v_and_b32_e32 v63, 0xff, v57
	v_and_b32_e32 v64, 0xff, v58
	v_cndmask_b32_e64 v61, v61, v60, s9
	v_cndmask_b32_e64 v60, v59, v62, s9
                                        ; implicit-def: $vgpr59
	s_delay_alu instid0(VALU_DEP_3) | instskip(NEXT) | instid1(VALU_DEP_3)
	v_cmp_lt_u16_e64 s11, v64, v63
	v_cmp_ge_i32_e64 s10, v61, v22
	s_delay_alu instid0(VALU_DEP_3)
	v_cmp_lt_i32_e64 s12, v60, v23
	s_or_b32 s10, s10, s11
	s_wait_alu 0xfffe
	s_and_b32 s10, s12, s10
	s_wait_alu 0xfffe
	s_xor_b32 s11, s10, -1
	s_wait_alu 0xfffe
	s_and_saveexec_b32 s12, s11
	s_delay_alu instid0(SALU_CYCLE_1)
	s_xor_b32 s11, exec_lo, s12
; %bb.95:                               ;   in Loop: Header=BB116_2 Depth=1
	ds_load_u8 v59, v61 offset:1
; %bb.96:                               ;   in Loop: Header=BB116_2 Depth=1
	s_wait_alu 0xfffe
	s_or_saveexec_b32 s11, s11
	v_mov_b32_e32 v62, v58
	s_wait_alu 0xfffe
	s_xor_b32 exec_lo, exec_lo, s11
	s_cbranch_execz .LBB116_98
; %bb.97:                               ;   in Loop: Header=BB116_2 Depth=1
	ds_load_u8 v62, v60 offset:1
	s_wait_dscnt 0x1
	v_mov_b32_e32 v59, v57
.LBB116_98:                             ;   in Loop: Header=BB116_2 Depth=1
	s_or_b32 exec_lo, exec_lo, s11
	v_add_nc_u32_e32 v63, 1, v61
	v_add_nc_u32_e32 v64, 1, v60
	s_wait_dscnt 0x0
	v_and_b32_e32 v65, 0xff, v59
	v_and_b32_e32 v66, 0xff, v62
	v_cndmask_b32_e64 v57, v57, v58, s10
	v_cndmask_b32_e64 v61, v63, v61, s10
	v_cndmask_b32_e64 v58, v60, v64, s10
	v_cndmask_b32_e64 v55, v55, v56, s9
	v_cmp_lt_u16_e64 s9, v66, v65
	v_cndmask_b32_e64 v53, v53, v54, s8
	v_cmp_ge_i32_e64 s10, v61, v22
	v_cmp_lt_i32_e64 s8, v58, v23
	s_wait_loadcnt 0x0
	s_barrier_signal -1
	s_barrier_wait -1
	s_or_b32 s9, s10, s9
	global_inv scope:SCOPE_SE
	s_wait_alu 0xfffe
	s_and_b32 s8, s8, s9
	s_wait_alu 0xfffe
	v_cndmask_b32_e64 v54, v59, v62, s8
	ds_store_b8 v1, v53
	ds_store_b8 v1, v55 offset:1
	ds_store_b8 v1, v57 offset:2
	;; [unrolled: 1-line block ×3, first 2 shown]
	v_mov_b32_e32 v53, v50
	s_wait_loadcnt_dscnt 0x0
	s_barrier_signal -1
	s_barrier_wait -1
	global_inv scope:SCOPE_SE
	s_and_saveexec_b32 s9, s6
	s_cbranch_execz .LBB116_102
; %bb.99:                               ;   in Loop: Header=BB116_2 Depth=1
	v_dual_mov_b32 v53, v50 :: v_dual_mov_b32 v54, v42
	s_mov_b32 s10, 0
.LBB116_100:                            ;   Parent Loop BB116_2 Depth=1
                                        ; =>  This Inner Loop Header: Depth=2
	s_delay_alu instid0(VALU_DEP_1) | instskip(NEXT) | instid1(VALU_DEP_1)
	v_sub_nc_u32_e32 v55, v54, v53
	v_lshrrev_b32_e32 v55, 1, v55
	s_delay_alu instid0(VALU_DEP_1) | instskip(NEXT) | instid1(VALU_DEP_1)
	v_add_nc_u32_e32 v55, v55, v53
	v_add_nc_u32_e32 v56, v8, v55
	v_xad_u32 v57, v55, -1, v34
	v_add_nc_u32_e32 v58, 1, v55
	ds_load_u8 v56, v56
	ds_load_u8 v57, v57
	s_wait_dscnt 0x0
	v_cmp_lt_u16_e64 s8, v57, v56
	s_wait_alu 0xf1ff
	s_delay_alu instid0(VALU_DEP_1) | instskip(SKIP_1) | instid1(VALU_DEP_1)
	v_cndmask_b32_e64 v54, v54, v55, s8
	v_cndmask_b32_e64 v53, v58, v53, s8
	v_cmp_ge_i32_e64 s8, v53, v54
	s_wait_alu 0xfffe
	s_or_b32 s10, s8, s10
	s_wait_alu 0xfffe
	s_and_not1_b32 exec_lo, exec_lo, s10
	s_cbranch_execnz .LBB116_100
; %bb.101:                              ;   in Loop: Header=BB116_2 Depth=1
	s_or_b32 exec_lo, exec_lo, s10
.LBB116_102:                            ;   in Loop: Header=BB116_2 Depth=1
	s_wait_alu 0xfffe
	s_or_b32 exec_lo, exec_lo, s9
	v_add_nc_u32_e32 v58, v53, v8
	v_sub_nc_u32_e32 v57, v34, v53
	ds_load_u8 v53, v58
	ds_load_u8 v54, v57
	v_cmp_le_i32_e64 s8, v24, v58
	v_cmp_gt_i32_e64 s10, v25, v57
	s_wait_dscnt 0x1
	v_and_b32_e32 v55, 0xff, v53
	s_wait_dscnt 0x0
	v_and_b32_e32 v56, 0xff, v54
	s_delay_alu instid0(VALU_DEP_1)
	v_cmp_lt_u16_e64 s9, v56, v55
                                        ; implicit-def: $vgpr55
	s_or_b32 s8, s8, s9
	s_wait_alu 0xfffe
	s_and_b32 s8, s10, s8
	s_wait_alu 0xfffe
	s_xor_b32 s9, s8, -1
	s_wait_alu 0xfffe
	s_and_saveexec_b32 s10, s9
	s_wait_alu 0xfffe
	s_xor_b32 s9, exec_lo, s10
; %bb.103:                              ;   in Loop: Header=BB116_2 Depth=1
	ds_load_u8 v55, v58 offset:1
; %bb.104:                              ;   in Loop: Header=BB116_2 Depth=1
	s_wait_alu 0xfffe
	s_or_saveexec_b32 s9, s9
	v_mov_b32_e32 v56, v54
	s_wait_alu 0xfffe
	s_xor_b32 exec_lo, exec_lo, s9
	s_cbranch_execz .LBB116_106
; %bb.105:                              ;   in Loop: Header=BB116_2 Depth=1
	ds_load_u8 v56, v57 offset:1
	s_wait_dscnt 0x1
	v_mov_b32_e32 v55, v53
.LBB116_106:                            ;   in Loop: Header=BB116_2 Depth=1
	s_or_b32 exec_lo, exec_lo, s9
	v_add_nc_u32_e32 v59, 1, v58
	v_add_nc_u32_e32 v61, 1, v57
	s_wait_dscnt 0x0
	v_and_b32_e32 v62, 0xff, v55
	s_delay_alu instid0(VALU_DEP_3) | instskip(SKIP_2) | instid1(VALU_DEP_3)
	v_cndmask_b32_e64 v60, v59, v58, s8
	v_and_b32_e32 v58, 0xff, v56
	v_cndmask_b32_e64 v59, v57, v61, s8
                                        ; implicit-def: $vgpr57
	v_cmp_ge_i32_e64 s9, v60, v24
	s_delay_alu instid0(VALU_DEP_3) | instskip(NEXT) | instid1(VALU_DEP_3)
	v_cmp_lt_u16_e64 s10, v58, v62
	v_cmp_lt_i32_e64 s11, v59, v25
	s_or_b32 s9, s9, s10
	s_wait_alu 0xfffe
	s_and_b32 s9, s11, s9
	s_wait_alu 0xfffe
	s_xor_b32 s10, s9, -1
	s_wait_alu 0xfffe
	s_and_saveexec_b32 s11, s10
	s_wait_alu 0xfffe
	s_xor_b32 s10, exec_lo, s11
; %bb.107:                              ;   in Loop: Header=BB116_2 Depth=1
	ds_load_u8 v57, v60 offset:1
; %bb.108:                              ;   in Loop: Header=BB116_2 Depth=1
	s_wait_alu 0xfffe
	s_or_saveexec_b32 s10, s10
	v_mov_b32_e32 v58, v56
	s_wait_alu 0xfffe
	s_xor_b32 exec_lo, exec_lo, s10
	s_cbranch_execz .LBB116_110
; %bb.109:                              ;   in Loop: Header=BB116_2 Depth=1
	ds_load_u8 v58, v59 offset:1
	s_wait_dscnt 0x1
	v_mov_b32_e32 v57, v55
.LBB116_110:                            ;   in Loop: Header=BB116_2 Depth=1
	s_or_b32 exec_lo, exec_lo, s10
	v_add_nc_u32_e32 v61, 1, v60
	v_add_nc_u32_e32 v62, 1, v59
	s_wait_dscnt 0x0
	v_and_b32_e32 v63, 0xff, v57
	v_and_b32_e32 v64, 0xff, v58
	v_cndmask_b32_e64 v61, v61, v60, s9
	v_cndmask_b32_e64 v60, v59, v62, s9
                                        ; implicit-def: $vgpr59
	s_delay_alu instid0(VALU_DEP_3) | instskip(NEXT) | instid1(VALU_DEP_3)
	v_cmp_lt_u16_e64 s11, v64, v63
	v_cmp_ge_i32_e64 s10, v61, v24
	s_delay_alu instid0(VALU_DEP_3)
	v_cmp_lt_i32_e64 s12, v60, v25
	s_or_b32 s10, s10, s11
	s_wait_alu 0xfffe
	s_and_b32 s10, s12, s10
	s_wait_alu 0xfffe
	s_xor_b32 s11, s10, -1
	s_wait_alu 0xfffe
	s_and_saveexec_b32 s12, s11
	s_delay_alu instid0(SALU_CYCLE_1)
	s_xor_b32 s11, exec_lo, s12
; %bb.111:                              ;   in Loop: Header=BB116_2 Depth=1
	ds_load_u8 v59, v61 offset:1
; %bb.112:                              ;   in Loop: Header=BB116_2 Depth=1
	s_wait_alu 0xfffe
	s_or_saveexec_b32 s11, s11
	v_mov_b32_e32 v62, v58
	s_wait_alu 0xfffe
	s_xor_b32 exec_lo, exec_lo, s11
	s_cbranch_execz .LBB116_114
; %bb.113:                              ;   in Loop: Header=BB116_2 Depth=1
	ds_load_u8 v62, v60 offset:1
	s_wait_dscnt 0x1
	v_mov_b32_e32 v59, v57
.LBB116_114:                            ;   in Loop: Header=BB116_2 Depth=1
	s_or_b32 exec_lo, exec_lo, s11
	v_add_nc_u32_e32 v63, 1, v61
	v_add_nc_u32_e32 v64, 1, v60
	s_wait_dscnt 0x0
	v_and_b32_e32 v65, 0xff, v59
	v_and_b32_e32 v66, 0xff, v62
	v_cndmask_b32_e64 v57, v57, v58, s10
	v_cndmask_b32_e64 v61, v63, v61, s10
	;; [unrolled: 1-line block ×4, first 2 shown]
	v_cmp_lt_u16_e64 s9, v66, v65
	v_cndmask_b32_e64 v53, v53, v54, s8
	v_cmp_ge_i32_e64 s10, v61, v24
	v_cmp_lt_i32_e64 s8, v58, v25
	s_wait_loadcnt 0x0
	s_barrier_signal -1
	s_barrier_wait -1
	s_or_b32 s9, s10, s9
	global_inv scope:SCOPE_SE
	s_wait_alu 0xfffe
	s_and_b32 s8, s8, s9
	s_wait_alu 0xfffe
	v_cndmask_b32_e64 v54, v59, v62, s8
	ds_store_b8 v1, v53
	ds_store_b8 v1, v55 offset:1
	ds_store_b8 v1, v57 offset:2
	;; [unrolled: 1-line block ×3, first 2 shown]
	v_mov_b32_e32 v53, v51
	s_wait_loadcnt_dscnt 0x0
	s_barrier_signal -1
	s_barrier_wait -1
	global_inv scope:SCOPE_SE
	s_and_saveexec_b32 s9, s7
	s_cbranch_execz .LBB116_118
; %bb.115:                              ;   in Loop: Header=BB116_2 Depth=1
	v_dual_mov_b32 v53, v51 :: v_dual_mov_b32 v54, v43
	s_mov_b32 s10, 0
.LBB116_116:                            ;   Parent Loop BB116_2 Depth=1
                                        ; =>  This Inner Loop Header: Depth=2
	s_delay_alu instid0(VALU_DEP_1) | instskip(NEXT) | instid1(VALU_DEP_1)
	v_sub_nc_u32_e32 v55, v54, v53
	v_lshrrev_b32_e32 v55, 1, v55
	s_delay_alu instid0(VALU_DEP_1) | instskip(NEXT) | instid1(VALU_DEP_1)
	v_add_nc_u32_e32 v55, v55, v53
	v_add_nc_u32_e32 v56, v9, v55
	v_xad_u32 v57, v55, -1, v35
	v_add_nc_u32_e32 v58, 1, v55
	ds_load_u8 v56, v56
	ds_load_u8 v57, v57
	s_wait_dscnt 0x0
	v_cmp_lt_u16_e64 s8, v57, v56
	s_wait_alu 0xf1ff
	s_delay_alu instid0(VALU_DEP_1) | instskip(SKIP_1) | instid1(VALU_DEP_1)
	v_cndmask_b32_e64 v54, v54, v55, s8
	v_cndmask_b32_e64 v53, v58, v53, s8
	v_cmp_ge_i32_e64 s8, v53, v54
	s_wait_alu 0xfffe
	s_or_b32 s10, s8, s10
	s_wait_alu 0xfffe
	s_and_not1_b32 exec_lo, exec_lo, s10
	s_cbranch_execnz .LBB116_116
; %bb.117:                              ;   in Loop: Header=BB116_2 Depth=1
	s_or_b32 exec_lo, exec_lo, s10
.LBB116_118:                            ;   in Loop: Header=BB116_2 Depth=1
	s_wait_alu 0xfffe
	s_or_b32 exec_lo, exec_lo, s9
	v_add_nc_u32_e32 v58, v53, v9
	v_sub_nc_u32_e32 v57, v35, v53
	ds_load_u8 v53, v58
	ds_load_u8 v54, v57
	v_cmp_le_i32_e64 s8, v26, v58
	v_cmp_gt_i32_e64 s10, v27, v57
	s_wait_dscnt 0x1
	v_and_b32_e32 v55, 0xff, v53
	s_wait_dscnt 0x0
	v_and_b32_e32 v56, 0xff, v54
	s_delay_alu instid0(VALU_DEP_1)
	v_cmp_lt_u16_e64 s9, v56, v55
                                        ; implicit-def: $vgpr55
	s_or_b32 s8, s8, s9
	s_wait_alu 0xfffe
	s_and_b32 s8, s10, s8
	s_wait_alu 0xfffe
	s_xor_b32 s9, s8, -1
	s_wait_alu 0xfffe
	s_and_saveexec_b32 s10, s9
	s_wait_alu 0xfffe
	s_xor_b32 s9, exec_lo, s10
; %bb.119:                              ;   in Loop: Header=BB116_2 Depth=1
	ds_load_u8 v55, v58 offset:1
; %bb.120:                              ;   in Loop: Header=BB116_2 Depth=1
	s_wait_alu 0xfffe
	s_or_saveexec_b32 s9, s9
	v_mov_b32_e32 v56, v54
	s_wait_alu 0xfffe
	s_xor_b32 exec_lo, exec_lo, s9
	s_cbranch_execz .LBB116_122
; %bb.121:                              ;   in Loop: Header=BB116_2 Depth=1
	ds_load_u8 v56, v57 offset:1
	s_wait_dscnt 0x1
	v_mov_b32_e32 v55, v53
.LBB116_122:                            ;   in Loop: Header=BB116_2 Depth=1
	s_or_b32 exec_lo, exec_lo, s9
	v_add_nc_u32_e32 v59, 1, v58
	v_add_nc_u32_e32 v61, 1, v57
	s_wait_dscnt 0x0
	v_and_b32_e32 v62, 0xff, v55
	s_delay_alu instid0(VALU_DEP_3) | instskip(SKIP_2) | instid1(VALU_DEP_3)
	v_cndmask_b32_e64 v60, v59, v58, s8
	v_and_b32_e32 v58, 0xff, v56
	v_cndmask_b32_e64 v59, v57, v61, s8
                                        ; implicit-def: $vgpr57
	v_cmp_ge_i32_e64 s9, v60, v26
	s_delay_alu instid0(VALU_DEP_3) | instskip(NEXT) | instid1(VALU_DEP_3)
	v_cmp_lt_u16_e64 s10, v58, v62
	v_cmp_lt_i32_e64 s11, v59, v27
	s_or_b32 s9, s9, s10
	s_wait_alu 0xfffe
	s_and_b32 s9, s11, s9
	s_wait_alu 0xfffe
	s_xor_b32 s10, s9, -1
	s_wait_alu 0xfffe
	s_and_saveexec_b32 s11, s10
	s_wait_alu 0xfffe
	s_xor_b32 s10, exec_lo, s11
; %bb.123:                              ;   in Loop: Header=BB116_2 Depth=1
	ds_load_u8 v57, v60 offset:1
; %bb.124:                              ;   in Loop: Header=BB116_2 Depth=1
	s_wait_alu 0xfffe
	s_or_saveexec_b32 s10, s10
	v_mov_b32_e32 v58, v56
	s_wait_alu 0xfffe
	s_xor_b32 exec_lo, exec_lo, s10
	s_cbranch_execz .LBB116_126
; %bb.125:                              ;   in Loop: Header=BB116_2 Depth=1
	ds_load_u8 v58, v59 offset:1
	s_wait_dscnt 0x1
	v_mov_b32_e32 v57, v55
.LBB116_126:                            ;   in Loop: Header=BB116_2 Depth=1
	s_or_b32 exec_lo, exec_lo, s10
	v_add_nc_u32_e32 v61, 1, v60
	v_add_nc_u32_e32 v62, 1, v59
	s_wait_dscnt 0x0
	v_and_b32_e32 v63, 0xff, v57
	v_and_b32_e32 v64, 0xff, v58
	v_cndmask_b32_e64 v61, v61, v60, s9
	v_cndmask_b32_e64 v60, v59, v62, s9
                                        ; implicit-def: $vgpr59
	s_delay_alu instid0(VALU_DEP_3) | instskip(NEXT) | instid1(VALU_DEP_3)
	v_cmp_lt_u16_e64 s11, v64, v63
	v_cmp_ge_i32_e64 s10, v61, v26
	s_delay_alu instid0(VALU_DEP_3)
	v_cmp_lt_i32_e64 s12, v60, v27
	s_or_b32 s10, s10, s11
	s_wait_alu 0xfffe
	s_and_b32 s10, s12, s10
	s_wait_alu 0xfffe
	s_xor_b32 s11, s10, -1
	s_wait_alu 0xfffe
	s_and_saveexec_b32 s12, s11
	s_delay_alu instid0(SALU_CYCLE_1)
	s_xor_b32 s11, exec_lo, s12
; %bb.127:                              ;   in Loop: Header=BB116_2 Depth=1
	ds_load_u8 v59, v61 offset:1
; %bb.128:                              ;   in Loop: Header=BB116_2 Depth=1
	s_wait_alu 0xfffe
	s_or_saveexec_b32 s11, s11
	v_mov_b32_e32 v62, v58
	s_wait_alu 0xfffe
	s_xor_b32 exec_lo, exec_lo, s11
	s_cbranch_execz .LBB116_130
; %bb.129:                              ;   in Loop: Header=BB116_2 Depth=1
	ds_load_u8 v62, v60 offset:1
	s_wait_dscnt 0x1
	v_mov_b32_e32 v59, v57
.LBB116_130:                            ;   in Loop: Header=BB116_2 Depth=1
	s_or_b32 exec_lo, exec_lo, s11
	v_add_nc_u32_e32 v63, 1, v61
	v_add_nc_u32_e32 v64, 1, v60
	s_wait_dscnt 0x0
	v_and_b32_e32 v65, 0xff, v59
	v_and_b32_e32 v66, 0xff, v62
	v_cndmask_b32_e64 v57, v57, v58, s10
	v_cndmask_b32_e64 v61, v63, v61, s10
	;; [unrolled: 1-line block ×4, first 2 shown]
	v_cmp_lt_u16_e64 s9, v66, v65
	v_cndmask_b32_e64 v53, v53, v54, s8
	v_cmp_ge_i32_e64 s10, v61, v26
	v_cmp_lt_i32_e64 s8, v58, v27
	s_wait_loadcnt 0x0
	s_barrier_signal -1
	s_barrier_wait -1
	s_or_b32 s9, s10, s9
	global_inv scope:SCOPE_SE
	s_wait_alu 0xfffe
	s_and_b32 s8, s8, s9
	s_wait_alu 0xfffe
	v_cndmask_b32_e64 v54, v59, v62, s8
	ds_store_b8 v1, v53
	ds_store_b8 v1, v55 offset:1
	ds_store_b8 v1, v57 offset:2
	;; [unrolled: 1-line block ×3, first 2 shown]
	v_mov_b32_e32 v57, v10
	s_wait_loadcnt_dscnt 0x0
	s_barrier_signal -1
	s_barrier_wait -1
	global_inv scope:SCOPE_SE
	s_and_saveexec_b32 s9, vcc_lo
	s_cbranch_execz .LBB116_134
; %bb.131:                              ;   in Loop: Header=BB116_2 Depth=1
	v_mov_b32_e32 v57, v10
	v_mov_b32_e32 v53, v11
	s_mov_b32 s10, 0
.LBB116_132:                            ;   Parent Loop BB116_2 Depth=1
                                        ; =>  This Inner Loop Header: Depth=2
	s_delay_alu instid0(VALU_DEP_1) | instskip(NEXT) | instid1(VALU_DEP_1)
	v_sub_nc_u32_e32 v54, v53, v57
	v_lshrrev_b32_e32 v54, 1, v54
	s_delay_alu instid0(VALU_DEP_1) | instskip(NEXT) | instid1(VALU_DEP_1)
	v_add_nc_u32_e32 v54, v54, v57
	v_xad_u32 v55, v54, -1, v52
	v_add_nc_u32_e32 v58, 1, v54
	ds_load_u8 v56, v54
	ds_load_u8 v55, v55
	s_wait_dscnt 0x0
	v_cmp_lt_u16_e64 s8, v55, v56
	s_wait_alu 0xf1ff
	s_delay_alu instid0(VALU_DEP_1) | instskip(SKIP_1) | instid1(VALU_DEP_1)
	v_cndmask_b32_e64 v53, v53, v54, s8
	v_cndmask_b32_e64 v57, v58, v57, s8
	v_cmp_ge_i32_e64 s8, v57, v53
	s_wait_alu 0xfffe
	s_or_b32 s10, s8, s10
	s_wait_alu 0xfffe
	s_and_not1_b32 exec_lo, exec_lo, s10
	s_cbranch_execnz .LBB116_132
; %bb.133:                              ;   in Loop: Header=BB116_2 Depth=1
	s_or_b32 exec_lo, exec_lo, s10
.LBB116_134:                            ;   in Loop: Header=BB116_2 Depth=1
	s_wait_alu 0xfffe
	s_or_b32 exec_lo, exec_lo, s9
	v_sub_nc_u32_e32 v58, v52, v57
	v_cmp_le_i32_e64 s8, 0x400, v57
	ds_load_u8 v53, v57
	ds_load_u8 v54, v58
	v_cmp_gt_i32_e64 s10, 0x800, v58
	s_wait_dscnt 0x1
	v_and_b32_e32 v55, 0xff, v53
	s_wait_dscnt 0x0
	v_and_b32_e32 v56, 0xff, v54
	s_delay_alu instid0(VALU_DEP_1)
	v_cmp_lt_u16_e64 s9, v56, v55
                                        ; implicit-def: $vgpr55
	s_or_b32 s8, s8, s9
	s_wait_alu 0xfffe
	s_and_b32 s8, s10, s8
	s_wait_alu 0xfffe
	s_xor_b32 s9, s8, -1
	s_wait_alu 0xfffe
	s_and_saveexec_b32 s10, s9
	s_wait_alu 0xfffe
	s_xor_b32 s9, exec_lo, s10
; %bb.135:                              ;   in Loop: Header=BB116_2 Depth=1
	ds_load_u8 v55, v57 offset:1
; %bb.136:                              ;   in Loop: Header=BB116_2 Depth=1
	s_wait_alu 0xfffe
	s_or_saveexec_b32 s9, s9
	v_mov_b32_e32 v56, v54
	s_wait_alu 0xfffe
	s_xor_b32 exec_lo, exec_lo, s9
	s_cbranch_execz .LBB116_138
; %bb.137:                              ;   in Loop: Header=BB116_2 Depth=1
	ds_load_u8 v56, v58 offset:1
	s_wait_dscnt 0x1
	v_mov_b32_e32 v55, v53
.LBB116_138:                            ;   in Loop: Header=BB116_2 Depth=1
	s_or_b32 exec_lo, exec_lo, s9
	v_add_nc_u32_e32 v59, 1, v57
	v_add_nc_u32_e32 v61, 1, v58
	s_wait_dscnt 0x0
	v_and_b32_e32 v62, 0xff, v55
	s_delay_alu instid0(VALU_DEP_3) | instskip(SKIP_2) | instid1(VALU_DEP_3)
	v_cndmask_b32_e64 v60, v59, v57, s8
	v_and_b32_e32 v57, 0xff, v56
	v_cndmask_b32_e64 v59, v58, v61, s8
	v_cmp_le_i32_e64 s9, 0x400, v60
	s_delay_alu instid0(VALU_DEP_3) | instskip(NEXT) | instid1(VALU_DEP_3)
	v_cmp_lt_u16_e64 s10, v57, v62
	v_cmp_gt_i32_e64 s11, 0x800, v59
                                        ; implicit-def: $vgpr57
	s_or_b32 s9, s9, s10
	s_wait_alu 0xfffe
	s_and_b32 s9, s11, s9
	s_wait_alu 0xfffe
	s_xor_b32 s10, s9, -1
	s_wait_alu 0xfffe
	s_and_saveexec_b32 s11, s10
	s_wait_alu 0xfffe
	s_xor_b32 s10, exec_lo, s11
; %bb.139:                              ;   in Loop: Header=BB116_2 Depth=1
	ds_load_u8 v57, v60 offset:1
; %bb.140:                              ;   in Loop: Header=BB116_2 Depth=1
	s_wait_alu 0xfffe
	s_or_saveexec_b32 s10, s10
	v_mov_b32_e32 v58, v56
	s_wait_alu 0xfffe
	s_xor_b32 exec_lo, exec_lo, s10
	s_cbranch_execz .LBB116_142
; %bb.141:                              ;   in Loop: Header=BB116_2 Depth=1
	ds_load_u8 v58, v59 offset:1
	s_wait_dscnt 0x1
	v_mov_b32_e32 v57, v55
.LBB116_142:                            ;   in Loop: Header=BB116_2 Depth=1
	s_or_b32 exec_lo, exec_lo, s10
	v_add_nc_u32_e32 v61, 1, v60
	v_add_nc_u32_e32 v63, 1, v59
	s_wait_dscnt 0x0
	v_and_b32_e32 v64, 0xff, v57
	s_delay_alu instid0(VALU_DEP_3) | instskip(SKIP_2) | instid1(VALU_DEP_3)
	v_cndmask_b32_e64 v62, v61, v60, s9
	v_and_b32_e32 v60, 0xff, v58
	v_cndmask_b32_e64 v59, v59, v63, s9
                                        ; implicit-def: $vgpr61
	v_cmp_le_i32_e64 s10, 0x400, v62
	s_delay_alu instid0(VALU_DEP_3) | instskip(NEXT) | instid1(VALU_DEP_3)
	v_cmp_lt_u16_e64 s11, v60, v64
	v_cmp_gt_i32_e64 s12, 0x800, v59
                                        ; implicit-def: $vgpr60
	s_or_b32 s10, s10, s11
	s_wait_alu 0xfffe
	s_and_b32 s10, s12, s10
	s_wait_alu 0xfffe
	s_xor_b32 s11, s10, -1
	s_wait_alu 0xfffe
	s_and_saveexec_b32 s12, s11
	s_delay_alu instid0(SALU_CYCLE_1)
	s_xor_b32 s11, exec_lo, s12
; %bb.143:                              ;   in Loop: Header=BB116_2 Depth=1
	ds_load_u8 v60, v62 offset:1
	v_add_nc_u32_e32 v61, 1, v62
                                        ; implicit-def: $vgpr62
; %bb.144:                              ;   in Loop: Header=BB116_2 Depth=1
	s_wait_alu 0xfffe
	s_or_saveexec_b32 s11, s11
	v_mov_b32_e32 v63, v58
	s_wait_alu 0xfffe
	s_xor_b32 exec_lo, exec_lo, s11
	s_cbranch_execz .LBB116_1
; %bb.145:                              ;   in Loop: Header=BB116_2 Depth=1
	ds_load_u8 v63, v59 offset:1
	s_wait_dscnt 0x1
	v_dual_mov_b32 v60, v57 :: v_dual_add_nc_u32 v59, 1, v59
	v_mov_b32_e32 v61, v62
	s_branch .LBB116_1
.LBB116_146:
	s_add_nc_u64 s[0:1], s[14:15], s[16:17]
	s_wait_alu 0xfffe
	v_add_co_u32 v0, s0, s0, v0
	s_wait_alu 0xf1ff
	v_add_co_ci_u32_e64 v1, null, s1, 0, s0
	s_clause 0x3
	global_store_b8 v[0:1], v53, off
	global_store_b8 v[0:1], v54, off offset:512
	global_store_b8 v[0:1], v55, off offset:1024
	;; [unrolled: 1-line block ×3, first 2 shown]
	s_endpgm
	.section	.rodata,"a",@progbits
	.p2align	6, 0x0
	.amdhsa_kernel _Z16sort_keys_kernelIhLj512ELj4EN10test_utils4lessELj10EEvPKT_PS2_T2_
		.amdhsa_group_segment_fixed_size 2049
		.amdhsa_private_segment_fixed_size 0
		.amdhsa_kernarg_size 20
		.amdhsa_user_sgpr_count 2
		.amdhsa_user_sgpr_dispatch_ptr 0
		.amdhsa_user_sgpr_queue_ptr 0
		.amdhsa_user_sgpr_kernarg_segment_ptr 1
		.amdhsa_user_sgpr_dispatch_id 0
		.amdhsa_user_sgpr_private_segment_size 0
		.amdhsa_wavefront_size32 1
		.amdhsa_uses_dynamic_stack 0
		.amdhsa_enable_private_segment 0
		.amdhsa_system_sgpr_workgroup_id_x 1
		.amdhsa_system_sgpr_workgroup_id_y 0
		.amdhsa_system_sgpr_workgroup_id_z 0
		.amdhsa_system_sgpr_workgroup_info 0
		.amdhsa_system_vgpr_workitem_id 0
		.amdhsa_next_free_vgpr 72
		.amdhsa_next_free_sgpr 19
		.amdhsa_reserve_vcc 1
		.amdhsa_float_round_mode_32 0
		.amdhsa_float_round_mode_16_64 0
		.amdhsa_float_denorm_mode_32 3
		.amdhsa_float_denorm_mode_16_64 3
		.amdhsa_fp16_overflow 0
		.amdhsa_workgroup_processor_mode 1
		.amdhsa_memory_ordered 1
		.amdhsa_forward_progress 1
		.amdhsa_inst_pref_size 70
		.amdhsa_round_robin_scheduling 0
		.amdhsa_exception_fp_ieee_invalid_op 0
		.amdhsa_exception_fp_denorm_src 0
		.amdhsa_exception_fp_ieee_div_zero 0
		.amdhsa_exception_fp_ieee_overflow 0
		.amdhsa_exception_fp_ieee_underflow 0
		.amdhsa_exception_fp_ieee_inexact 0
		.amdhsa_exception_int_div_zero 0
	.end_amdhsa_kernel
	.section	.text._Z16sort_keys_kernelIhLj512ELj4EN10test_utils4lessELj10EEvPKT_PS2_T2_,"axG",@progbits,_Z16sort_keys_kernelIhLj512ELj4EN10test_utils4lessELj10EEvPKT_PS2_T2_,comdat
.Lfunc_end116:
	.size	_Z16sort_keys_kernelIhLj512ELj4EN10test_utils4lessELj10EEvPKT_PS2_T2_, .Lfunc_end116-_Z16sort_keys_kernelIhLj512ELj4EN10test_utils4lessELj10EEvPKT_PS2_T2_
                                        ; -- End function
	.set _Z16sort_keys_kernelIhLj512ELj4EN10test_utils4lessELj10EEvPKT_PS2_T2_.num_vgpr, 72
	.set _Z16sort_keys_kernelIhLj512ELj4EN10test_utils4lessELj10EEvPKT_PS2_T2_.num_agpr, 0
	.set _Z16sort_keys_kernelIhLj512ELj4EN10test_utils4lessELj10EEvPKT_PS2_T2_.numbered_sgpr, 19
	.set _Z16sort_keys_kernelIhLj512ELj4EN10test_utils4lessELj10EEvPKT_PS2_T2_.num_named_barrier, 0
	.set _Z16sort_keys_kernelIhLj512ELj4EN10test_utils4lessELj10EEvPKT_PS2_T2_.private_seg_size, 0
	.set _Z16sort_keys_kernelIhLj512ELj4EN10test_utils4lessELj10EEvPKT_PS2_T2_.uses_vcc, 1
	.set _Z16sort_keys_kernelIhLj512ELj4EN10test_utils4lessELj10EEvPKT_PS2_T2_.uses_flat_scratch, 0
	.set _Z16sort_keys_kernelIhLj512ELj4EN10test_utils4lessELj10EEvPKT_PS2_T2_.has_dyn_sized_stack, 0
	.set _Z16sort_keys_kernelIhLj512ELj4EN10test_utils4lessELj10EEvPKT_PS2_T2_.has_recursion, 0
	.set _Z16sort_keys_kernelIhLj512ELj4EN10test_utils4lessELj10EEvPKT_PS2_T2_.has_indirect_call, 0
	.section	.AMDGPU.csdata,"",@progbits
; Kernel info:
; codeLenInByte = 8948
; TotalNumSgprs: 21
; NumVgprs: 72
; ScratchSize: 0
; MemoryBound: 0
; FloatMode: 240
; IeeeMode: 1
; LDSByteSize: 2049 bytes/workgroup (compile time only)
; SGPRBlocks: 0
; VGPRBlocks: 8
; NumSGPRsForWavesPerEU: 21
; NumVGPRsForWavesPerEU: 72
; Occupancy: 16
; WaveLimiterHint : 1
; COMPUTE_PGM_RSRC2:SCRATCH_EN: 0
; COMPUTE_PGM_RSRC2:USER_SGPR: 2
; COMPUTE_PGM_RSRC2:TRAP_HANDLER: 0
; COMPUTE_PGM_RSRC2:TGID_X_EN: 1
; COMPUTE_PGM_RSRC2:TGID_Y_EN: 0
; COMPUTE_PGM_RSRC2:TGID_Z_EN: 0
; COMPUTE_PGM_RSRC2:TIDIG_COMP_CNT: 0
	.section	.text._Z17sort_pairs_kernelIhLj512ELj4EN10test_utils4lessELj10EEvPKT_PS2_T2_,"axG",@progbits,_Z17sort_pairs_kernelIhLj512ELj4EN10test_utils4lessELj10EEvPKT_PS2_T2_,comdat
	.protected	_Z17sort_pairs_kernelIhLj512ELj4EN10test_utils4lessELj10EEvPKT_PS2_T2_ ; -- Begin function _Z17sort_pairs_kernelIhLj512ELj4EN10test_utils4lessELj10EEvPKT_PS2_T2_
	.globl	_Z17sort_pairs_kernelIhLj512ELj4EN10test_utils4lessELj10EEvPKT_PS2_T2_
	.p2align	8
	.type	_Z17sort_pairs_kernelIhLj512ELj4EN10test_utils4lessELj10EEvPKT_PS2_T2_,@function
_Z17sort_pairs_kernelIhLj512ELj4EN10test_utils4lessELj10EEvPKT_PS2_T2_: ; @_Z17sort_pairs_kernelIhLj512ELj4EN10test_utils4lessELj10EEvPKT_PS2_T2_
; %bb.0:
	s_load_b128 s[20:23], s[0:1], 0x0
	s_lshl_b32 s24, ttmp9, 11
	s_mov_b32 s25, 0
	v_lshlrev_b32_e32 v1, 2, v0
	s_mov_b32 s19, s25
	s_delay_alu instid0(VALU_DEP_1)
	v_and_b32_e32 v2, 0x7f8, v1
	v_and_b32_e32 v3, 0x7f0, v1
	;; [unrolled: 1-line block ×5, first 2 shown]
	v_or_b32_e32 v12, 4, v2
	v_add_nc_u32_e32 v13, 8, v2
	v_or_b32_e32 v14, 8, v3
	v_add_nc_u32_e32 v15, 16, v3
	v_and_b32_e32 v5, 0x7c0, v1
	v_or_b32_e32 v16, 16, v4
	v_sub_nc_u32_e32 v52, v13, v12
	s_wait_kmcnt 0x0
	s_add_nc_u64 s[0:1], s[20:21], s[24:25]
	v_add_nc_u32_e32 v17, 32, v4
	s_clause 0x3
	global_load_u8 v59, v0, s[0:1]
	global_load_u8 v58, v0, s[0:1] offset:512
	global_load_u8 v60, v0, s[0:1] offset:1024
	;; [unrolled: 1-line block ×3, first 2 shown]
	v_sub_nc_u32_e32 v36, v12, v2
	v_sub_nc_u32_e32 v53, v15, v14
	;; [unrolled: 1-line block ×3, first 2 shown]
	v_cmp_ge_i32_e64 s0, v44, v52
	v_and_b32_e32 v46, 28, v1
	v_and_b32_e32 v6, 0x780, v1
	v_or_b32_e32 v18, 32, v5
	v_add_nc_u32_e32 v19, 64, v5
	v_add_nc_u32_e32 v28, v12, v44
	v_sub_nc_u32_e32 v37, v14, v3
	v_sub_nc_u32_e32 v54, v17, v16
	v_min_i32_e32 v36, v44, v36
	v_sub_nc_u32_e32 v65, v45, v53
	v_cndmask_b32_e64 v44, 0, v64, s0
	v_cmp_ge_i32_e64 s0, v45, v53
	v_and_b32_e32 v47, 60, v1
	v_and_b32_e32 v7, 0x700, v1
	v_or_b32_e32 v20, 64, v6
	v_add_nc_u32_e32 v21, 0x80, v6
	v_add_nc_u32_e32 v29, v14, v45
	v_sub_nc_u32_e32 v38, v16, v4
	v_sub_nc_u32_e32 v55, v19, v18
	v_min_i32_e32 v37, v45, v37
	v_sub_nc_u32_e32 v66, v46, v54
	s_wait_alu 0xf1ff
	v_cndmask_b32_e64 v45, 0, v65, s0
	v_cmp_ge_i32_e64 s0, v46, v54
	v_and_b32_e32 v48, 0x7c, v1
	v_and_b32_e32 v8, 0x600, v1
	v_or_b32_e32 v22, 0x80, v7
	v_add_nc_u32_e32 v23, 0x100, v7
	v_add_nc_u32_e32 v30, v16, v46
	v_sub_nc_u32_e32 v39, v18, v5
	v_sub_nc_u32_e32 v56, v21, v20
	v_min_i32_e32 v38, v46, v38
	v_sub_nc_u32_e32 v67, v47, v55
	s_wait_alu 0xf1ff
	;; [unrolled: 12-line block ×3, first 2 shown]
	v_cndmask_b32_e64 v47, 0, v67, s0
	v_cmp_ge_i32_e64 s0, v48, v56
	v_and_b32_e32 v50, 0x1fc, v1
	v_or_b32_e32 v26, 0x200, v9
	v_add_nc_u32_e32 v27, 0x400, v9
	v_add_nc_u32_e32 v32, v20, v48
	v_sub_nc_u32_e32 v41, v22, v7
	v_sub_nc_u32_e32 v62, v25, v24
	v_min_i32_e32 v40, v48, v40
	v_sub_nc_u32_e32 v69, v49, v61
	s_wait_alu 0xf1ff
	v_cndmask_b32_e64 v48, 0, v68, s0
	v_cmp_ge_i32_e64 s0, v49, v61
	v_and_b32_e32 v51, 0x3fc, v1
	v_add_nc_u32_e32 v33, v22, v49
	v_sub_nc_u32_e32 v42, v24, v8
	v_sub_nc_u32_e32 v63, v27, v26
	v_min_i32_e32 v41, v49, v41
	v_sub_nc_u32_e32 v70, v50, v62
	s_wait_alu 0xf1ff
	v_cndmask_b32_e64 v49, 0, v69, s0
	v_cmp_ge_i32_e64 s0, v50, v62
	v_add_nc_u32_e32 v34, v24, v50
	v_sub_nc_u32_e32 v43, v26, v9
	v_min_i32_e32 v42, v50, v42
	v_sub_nc_u32_e32 v71, v51, v63
	s_wait_alu 0xf1ff
	v_cndmask_b32_e64 v50, 0, v70, s0
	v_cmp_ge_i32_e64 s0, v51, v63
	v_add_nc_u32_e32 v35, v26, v51
	v_min_i32_e32 v43, v51, v43
	v_subrev_nc_u32_e64 v10, 0x400, v1 clamp
	v_min_i32_e32 v11, 0x400, v1
	s_wait_alu 0xf1ff
	v_cndmask_b32_e64 v51, 0, v71, s0
	v_cmp_lt_i32_e64 s0, v44, v36
	v_cmp_lt_i32_e64 s1, v45, v37
	;; [unrolled: 1-line block ×8, first 2 shown]
	v_add_nc_u32_e32 v52, 0x400, v1
	v_cmp_lt_i32_e32 vcc_lo, v10, v11
	s_wait_loadcnt 0x3
	v_add_nc_u16 v56, v59, 1
	s_wait_loadcnt 0x2
	v_add_nc_u16 v55, v58, 1
	;; [unrolled: 2-line block ×4, first 2 shown]
	s_branch .LBB117_2
.LBB117_1:                              ;   in Loop: Header=BB117_2 Depth=1
	s_or_b32 exec_lo, exec_lo, s11
	s_wait_dscnt 0x0
	s_delay_alu instid0(VALU_DEP_1)
	v_and_b32_e32 v72, 0xff, v69
	v_and_b32_e32 v73, 0xff, v71
	v_cmp_le_i32_e64 s11, 0x400, v68
	v_cmp_gt_i32_e64 s13, 0x800, v67
	v_cndmask_b32_e64 v62, v57, v62, s8
	v_cndmask_b32_e64 v65, v65, v66, s9
	v_cmp_lt_u16_e64 s12, v73, v72
	s_wait_loadcnt 0x0
	s_barrier_signal -1
	s_barrier_wait -1
	global_inv scope:SCOPE_SE
	s_or_b32 s11, s11, s12
	ds_store_b8 v1, v53
	ds_store_b8 v1, v55 offset:1
	ds_store_b8 v1, v56 offset:2
	;; [unrolled: 1-line block ×3, first 2 shown]
	s_wait_alu 0xfffe
	s_and_b32 s11, s13, s11
	s_wait_loadcnt_dscnt 0x0
	s_wait_alu 0xfffe
	v_cndmask_b32_e64 v66, v68, v67, s11
	s_barrier_signal -1
	s_barrier_wait -1
	global_inv scope:SCOPE_SE
	ds_load_u8 v56, v62
	ds_load_u8 v53, v70
	ds_load_u8 v54, v66
	ds_load_u8 v55, v65
	v_cndmask_b32_e64 v57, v69, v71, s11
	v_cndmask_b32_e64 v59, v58, v59, s8
	;; [unrolled: 1-line block ×4, first 2 shown]
	s_add_co_i32 s19, s19, 1
	s_delay_alu instid0(SALU_CYCLE_1)
	s_cmp_eq_u32 s19, 10
	s_cbranch_scc1 .LBB117_146
.LBB117_2:                              ; =>This Loop Header: Depth=1
                                        ;     Child Loop BB117_4 Depth 2
                                        ;     Child Loop BB117_20 Depth 2
	;; [unrolled: 1-line block ×9, first 2 shown]
	s_delay_alu instid0(VALU_DEP_1)
	v_perm_b32 v57, v60, v57, 0xc0c0004
	v_perm_b32 v60, v58, v59, 0xc0c0004
	;; [unrolled: 1-line block ×3, first 2 shown]
	v_and_b32_e32 v59, 0xff, v59
	v_and_b32_e32 v58, 0xff, v58
	v_lshlrev_b32_e32 v57, 16, v57
	s_barrier_signal -1
	s_barrier_wait -1
	s_delay_alu instid0(VALU_DEP_2) | instskip(NEXT) | instid1(VALU_DEP_2)
	v_cmp_lt_u16_e64 s8, v58, v59
	v_or_b32_e32 v60, v60, v57
	v_or_b32_e32 v57, v61, v57
	global_inv scope:SCOPE_SE
	s_wait_alu 0xf1ff
	v_cndmask_b32_e64 v57, v57, v60, s8
	s_delay_alu instid0(VALU_DEP_1) | instskip(SKIP_1) | instid1(VALU_DEP_2)
	v_lshrrev_b32_e32 v58, 16, v57
	v_lshrrev_b32_e32 v60, 24, v57
	v_perm_b32 v59, 0, v58, 0xc0c0001
	v_and_b32_e32 v58, 0xff, v58
	s_delay_alu instid0(VALU_DEP_2) | instskip(NEXT) | instid1(VALU_DEP_2)
	v_lshlrev_b32_e32 v59, 16, v59
	v_cmp_lt_u16_e64 s9, v60, v58
	v_min_u16 v58, v60, v58
	s_delay_alu instid0(VALU_DEP_3) | instskip(NEXT) | instid1(VALU_DEP_2)
	v_and_or_b32 v59, 0xffff, v57, v59
	v_lshlrev_b16 v60, 8, v58
	s_wait_alu 0xf1ff
	s_delay_alu instid0(VALU_DEP_2) | instskip(NEXT) | instid1(VALU_DEP_1)
	v_cndmask_b32_e64 v57, v57, v59, s9
	v_lshrrev_b32_e32 v59, 16, v57
	v_lshrrev_b16 v61, 8, v57
	v_and_b32_e32 v62, 0xff, v57
	s_delay_alu instid0(VALU_DEP_3) | instskip(NEXT) | instid1(VALU_DEP_2)
	v_and_b32_e32 v59, 0xffffff00, v59
	v_or_b32_e32 v60, v62, v60
	s_delay_alu instid0(VALU_DEP_2) | instskip(SKIP_1) | instid1(VALU_DEP_3)
	v_or_b32_e32 v59, v61, v59
	v_lshrrev_b32_e32 v61, 8, v57
	v_and_b32_e32 v60, 0xffff, v60
	s_delay_alu instid0(VALU_DEP_3) | instskip(NEXT) | instid1(VALU_DEP_3)
	v_lshlrev_b32_e32 v59, 16, v59
	v_and_b32_e32 v61, 0xff, v61
	s_delay_alu instid0(VALU_DEP_2) | instskip(NEXT) | instid1(VALU_DEP_2)
	v_or_b32_e32 v59, v60, v59
	v_cmp_lt_u16_e64 s10, v58, v61
	v_min_u16 v58, v58, v61
	s_wait_alu 0xf1ff
	s_delay_alu instid0(VALU_DEP_2) | instskip(NEXT) | instid1(VALU_DEP_1)
	v_cndmask_b32_e64 v57, v57, v59, s10
	v_lshlrev_b16 v59, 8, v57
	v_and_b32_e32 v60, 0xff, v57
	s_delay_alu instid0(VALU_DEP_2) | instskip(NEXT) | instid1(VALU_DEP_2)
	v_or_b32_e32 v59, v58, v59
	v_cmp_lt_u16_e64 s12, v58, v60
	s_delay_alu instid0(VALU_DEP_2) | instskip(NEXT) | instid1(VALU_DEP_1)
	v_and_b32_e32 v59, 0xffff, v59
	v_and_or_b32 v59, 0xffff0000, v57, v59
	s_wait_alu 0xf1ff
	s_delay_alu instid0(VALU_DEP_1) | instskip(NEXT) | instid1(VALU_DEP_1)
	v_cndmask_b32_e64 v57, v57, v59, s12
	v_lshrrev_b32_e32 v58, 16, v57
	v_lshrrev_b32_e32 v60, 24, v57
	s_delay_alu instid0(VALU_DEP_2) | instskip(SKIP_1) | instid1(VALU_DEP_2)
	v_perm_b32 v59, 0, v58, 0xc0c0001
	v_and_b32_e32 v58, 0xff, v58
	v_lshlrev_b32_e32 v59, 16, v59
	s_delay_alu instid0(VALU_DEP_2) | instskip(SKIP_1) | instid1(VALU_DEP_3)
	v_cmp_lt_u16_e64 s11, v60, v58
	v_min_u16 v58, v60, v58
	v_and_or_b32 v59, 0xffff, v57, v59
	s_delay_alu instid0(VALU_DEP_2) | instskip(SKIP_1) | instid1(VALU_DEP_2)
	v_lshlrev_b16 v60, 8, v58
	s_wait_alu 0xf1ff
	v_cndmask_b32_e64 v57, v57, v59, s11
	s_delay_alu instid0(VALU_DEP_1) | instskip(SKIP_2) | instid1(VALU_DEP_3)
	v_lshrrev_b32_e32 v59, 16, v57
	v_lshrrev_b16 v61, 8, v57
	v_and_b32_e32 v62, 0xff, v57
	v_and_b32_e32 v59, 0xffffff00, v59
	s_delay_alu instid0(VALU_DEP_2) | instskip(NEXT) | instid1(VALU_DEP_2)
	v_or_b32_e32 v60, v62, v60
	v_or_b32_e32 v59, v61, v59
	v_lshrrev_b32_e32 v61, 8, v57
	s_delay_alu instid0(VALU_DEP_3) | instskip(NEXT) | instid1(VALU_DEP_3)
	v_and_b32_e32 v60, 0xffff, v60
	v_lshlrev_b32_e32 v59, 16, v59
	s_delay_alu instid0(VALU_DEP_3) | instskip(NEXT) | instid1(VALU_DEP_2)
	v_and_b32_e32 v61, 0xff, v61
	v_or_b32_e32 v59, v60, v59
	s_delay_alu instid0(VALU_DEP_2) | instskip(SKIP_1) | instid1(VALU_DEP_1)
	v_cmp_lt_u16_e64 s13, v58, v61
	s_wait_alu 0xf1ff
	v_cndmask_b32_e64 v58, v57, v59, s13
	v_mov_b32_e32 v57, v44
	ds_store_b32 v1, v58
	s_wait_loadcnt_dscnt 0x0
	s_barrier_signal -1
	s_barrier_wait -1
	global_inv scope:SCOPE_SE
	s_and_saveexec_b32 s15, s0
	s_cbranch_execz .LBB117_6
; %bb.3:                                ;   in Loop: Header=BB117_2 Depth=1
	v_dual_mov_b32 v57, v44 :: v_dual_mov_b32 v58, v36
	s_mov_b32 s16, 0
.LBB117_4:                              ;   Parent Loop BB117_2 Depth=1
                                        ; =>  This Inner Loop Header: Depth=2
	s_delay_alu instid0(VALU_DEP_1) | instskip(NEXT) | instid1(VALU_DEP_1)
	v_sub_nc_u32_e32 v59, v58, v57
	v_lshrrev_b32_e32 v59, 1, v59
	s_delay_alu instid0(VALU_DEP_1) | instskip(NEXT) | instid1(VALU_DEP_1)
	v_add_nc_u32_e32 v59, v59, v57
	v_add_nc_u32_e32 v60, v2, v59
	v_xad_u32 v61, v59, -1, v28
	v_add_nc_u32_e32 v62, 1, v59
	ds_load_u8 v60, v60
	ds_load_u8 v61, v61
	s_wait_dscnt 0x0
	v_cmp_lt_u16_e64 s14, v61, v60
	s_wait_alu 0xf1ff
	s_delay_alu instid0(VALU_DEP_1) | instskip(SKIP_1) | instid1(VALU_DEP_1)
	v_cndmask_b32_e64 v58, v58, v59, s14
	v_cndmask_b32_e64 v57, v62, v57, s14
	v_cmp_ge_i32_e64 s14, v57, v58
	s_wait_alu 0xfffe
	s_or_b32 s16, s14, s16
	s_wait_alu 0xfffe
	s_and_not1_b32 exec_lo, exec_lo, s16
	s_cbranch_execnz .LBB117_4
; %bb.5:                                ;   in Loop: Header=BB117_2 Depth=1
	s_or_b32 exec_lo, exec_lo, s16
.LBB117_6:                              ;   in Loop: Header=BB117_2 Depth=1
	s_wait_alu 0xfffe
	s_or_b32 exec_lo, exec_lo, s15
	v_add_nc_u32_e32 v61, v57, v2
	v_sub_nc_u32_e32 v62, v28, v57
	ds_load_u8 v57, v61
	ds_load_u8 v58, v62
	v_cmp_le_i32_e64 s14, v12, v61
	v_cmp_gt_i32_e64 s16, v13, v62
	s_wait_dscnt 0x1
	v_and_b32_e32 v59, 0xff, v57
	s_wait_dscnt 0x0
	v_and_b32_e32 v60, 0xff, v58
	s_delay_alu instid0(VALU_DEP_1)
	v_cmp_lt_u16_e64 s15, v60, v59
                                        ; implicit-def: $vgpr59
	s_or_b32 s14, s14, s15
	s_wait_alu 0xfffe
	s_and_b32 s14, s16, s14
	s_wait_alu 0xfffe
	s_xor_b32 s15, s14, -1
	s_wait_alu 0xfffe
	s_and_saveexec_b32 s16, s15
	s_wait_alu 0xfffe
	s_xor_b32 s15, exec_lo, s16
; %bb.7:                                ;   in Loop: Header=BB117_2 Depth=1
	ds_load_u8 v59, v61 offset:1
; %bb.8:                                ;   in Loop: Header=BB117_2 Depth=1
	s_wait_alu 0xfffe
	s_or_saveexec_b32 s15, s15
	v_mov_b32_e32 v60, v58
	s_wait_alu 0xfffe
	s_xor_b32 exec_lo, exec_lo, s15
	s_cbranch_execz .LBB117_10
; %bb.9:                                ;   in Loop: Header=BB117_2 Depth=1
	ds_load_u8 v60, v62 offset:1
	s_wait_dscnt 0x1
	v_mov_b32_e32 v59, v57
.LBB117_10:                             ;   in Loop: Header=BB117_2 Depth=1
	s_or_b32 exec_lo, exec_lo, s15
	v_add_nc_u32_e32 v63, 1, v61
	v_add_nc_u32_e32 v64, 1, v62
	s_wait_dscnt 0x0
	v_and_b32_e32 v67, 0xff, v59
	s_delay_alu instid0(VALU_DEP_3) | instskip(SKIP_2) | instid1(VALU_DEP_3)
	v_cndmask_b32_e64 v65, v63, v61, s14
	v_and_b32_e32 v63, 0xff, v60
	v_cndmask_b32_e64 v66, v62, v64, s14
	v_cmp_ge_i32_e64 s15, v65, v12
	s_delay_alu instid0(VALU_DEP_3) | instskip(NEXT) | instid1(VALU_DEP_3)
	v_cmp_lt_u16_e64 s16, v63, v67
	v_cmp_lt_i32_e64 s17, v66, v13
                                        ; implicit-def: $vgpr63
	s_or_b32 s15, s15, s16
	s_wait_alu 0xfffe
	s_and_b32 s15, s17, s15
	s_wait_alu 0xfffe
	s_xor_b32 s16, s15, -1
	s_wait_alu 0xfffe
	s_and_saveexec_b32 s17, s16
	s_wait_alu 0xfffe
	s_xor_b32 s16, exec_lo, s17
; %bb.11:                               ;   in Loop: Header=BB117_2 Depth=1
	ds_load_u8 v63, v65 offset:1
; %bb.12:                               ;   in Loop: Header=BB117_2 Depth=1
	s_wait_alu 0xfffe
	s_or_saveexec_b32 s16, s16
	v_mov_b32_e32 v64, v60
	s_wait_alu 0xfffe
	s_xor_b32 exec_lo, exec_lo, s16
	s_cbranch_execz .LBB117_14
; %bb.13:                               ;   in Loop: Header=BB117_2 Depth=1
	ds_load_u8 v64, v66 offset:1
	s_wait_dscnt 0x1
	v_mov_b32_e32 v63, v59
.LBB117_14:                             ;   in Loop: Header=BB117_2 Depth=1
	s_or_b32 exec_lo, exec_lo, s16
	v_add_nc_u32_e32 v67, 1, v65
	v_add_nc_u32_e32 v68, 1, v66
	s_wait_dscnt 0x0
	v_and_b32_e32 v70, 0xff, v63
	s_delay_alu instid0(VALU_DEP_3) | instskip(SKIP_2) | instid1(VALU_DEP_3)
	v_cndmask_b32_e64 v69, v67, v65, s15
	v_and_b32_e32 v67, 0xff, v64
	v_cndmask_b32_e64 v68, v66, v68, s15
	v_cmp_ge_i32_e64 s16, v69, v12
	s_delay_alu instid0(VALU_DEP_3) | instskip(NEXT) | instid1(VALU_DEP_3)
	v_cmp_lt_u16_e64 s17, v67, v70
	v_cmp_lt_i32_e64 s18, v68, v13
                                        ; implicit-def: $vgpr67
	s_or_b32 s16, s16, s17
	s_wait_alu 0xfffe
	s_and_b32 s16, s18, s16
	s_wait_alu 0xfffe
	s_xor_b32 s17, s16, -1
	s_wait_alu 0xfffe
	s_and_saveexec_b32 s18, s17
	s_delay_alu instid0(SALU_CYCLE_1)
	s_xor_b32 s17, exec_lo, s18
; %bb.15:                               ;   in Loop: Header=BB117_2 Depth=1
	ds_load_u8 v67, v69 offset:1
; %bb.16:                               ;   in Loop: Header=BB117_2 Depth=1
	s_wait_alu 0xfffe
	s_or_saveexec_b32 s17, s17
	v_mov_b32_e32 v70, v64
	s_wait_alu 0xfffe
	s_xor_b32 exec_lo, exec_lo, s17
	s_cbranch_execz .LBB117_18
; %bb.17:                               ;   in Loop: Header=BB117_2 Depth=1
	ds_load_u8 v70, v68 offset:1
	s_wait_dscnt 0x1
	v_mov_b32_e32 v67, v63
.LBB117_18:                             ;   in Loop: Header=BB117_2 Depth=1
	s_or_b32 exec_lo, exec_lo, s17
	v_perm_b32 v71, v55, v56, 0xc0c0004
	v_perm_b32 v55, v56, v55, 0xc0c0004
	;; [unrolled: 1-line block ×3, first 2 shown]
	v_add_nc_u32_e32 v56, 1, v69
	v_cndmask_b32_e64 v65, v65, v66, s15
	v_cndmask_b32_e64 v61, v61, v62, s14
	;; [unrolled: 1-line block ×3, first 2 shown]
	v_perm_b32 v55, 0, v53, 0xc0c0001
	s_wait_dscnt 0x0
	v_and_b32_e32 v62, 0xff, v67
	v_and_b32_e32 v66, 0xff, v70
	v_cndmask_b32_e64 v56, v56, v69, s16
	v_lshl_or_b32 v53, v53, 16, v54
	v_lshlrev_b32_e32 v54, 16, v55
	v_add_nc_u32_e32 v55, 1, v68
	v_cmp_lt_u16_e64 s8, v66, v62
	v_cndmask_b32_e64 v71, v69, v68, s16
	s_wait_loadcnt 0x0
	v_and_or_b32 v54, 0xffff, v53, v54
	s_barrier_signal -1
	s_barrier_wait -1
	global_inv scope:SCOPE_SE
	v_cndmask_b32_e64 v57, v57, v58, s14
	v_cndmask_b32_e64 v53, v53, v54, s9
	v_cmp_ge_i32_e64 s9, v56, v12
	v_cndmask_b32_e64 v59, v59, v60, s15
	s_delay_alu instid0(VALU_DEP_3) | instskip(SKIP_1) | instid1(VALU_DEP_1)
	v_perm_b32 v54, v53, v53, 0x7050604
	s_or_b32 s8, s9, s8
	v_cndmask_b32_e64 v53, v53, v54, s10
	s_delay_alu instid0(VALU_DEP_1) | instskip(NEXT) | instid1(VALU_DEP_1)
	v_perm_b32 v54, 0, v53, 0xc0c0001
	v_and_or_b32 v54, 0xffff0000, v53, v54
	s_delay_alu instid0(VALU_DEP_1) | instskip(NEXT) | instid1(VALU_DEP_1)
	v_cndmask_b32_e64 v53, v53, v54, s12
	v_lshrrev_b32_e32 v54, 16, v53
	s_delay_alu instid0(VALU_DEP_1) | instskip(NEXT) | instid1(VALU_DEP_1)
	v_perm_b32 v54, 0, v54, 0xc0c0001
	v_lshlrev_b32_e32 v54, 16, v54
	s_delay_alu instid0(VALU_DEP_1) | instskip(NEXT) | instid1(VALU_DEP_1)
	v_and_or_b32 v54, 0xffff, v53, v54
	v_cndmask_b32_e64 v53, v53, v54, s11
	v_cndmask_b32_e64 v54, v68, v55, s16
	s_delay_alu instid0(VALU_DEP_2) | instskip(NEXT) | instid1(VALU_DEP_2)
	v_perm_b32 v55, v53, v53, 0x7050604
	v_cmp_lt_i32_e64 s10, v54, v13
	s_delay_alu instid0(VALU_DEP_2)
	v_cndmask_b32_e64 v53, v53, v55, s13
	s_wait_alu 0xfffe
	s_and_b32 s8, s10, s8
	s_wait_alu 0xfffe
	v_cndmask_b32_e64 v54, v56, v54, s8
	v_cndmask_b32_e64 v62, v67, v70, s8
	ds_store_b32 v1, v53
	s_wait_loadcnt_dscnt 0x0
	s_barrier_signal -1
	s_barrier_wait -1
	global_inv scope:SCOPE_SE
	ds_load_u8 v53, v61
	ds_load_u8 v54, v54
	;; [unrolled: 1-line block ×4, first 2 shown]
	v_cndmask_b32_e64 v61, v63, v64, s16
	s_wait_loadcnt_dscnt 0x0
	s_barrier_signal -1
	s_barrier_wait -1
	global_inv scope:SCOPE_SE
	ds_store_b8 v1, v57
	ds_store_b8 v1, v59 offset:1
	ds_store_b8 v1, v61 offset:2
	;; [unrolled: 1-line block ×3, first 2 shown]
	v_mov_b32_e32 v57, v45
	s_wait_loadcnt_dscnt 0x0
	s_barrier_signal -1
	s_barrier_wait -1
	global_inv scope:SCOPE_SE
	s_and_saveexec_b32 s9, s1
	s_cbranch_execz .LBB117_22
; %bb.19:                               ;   in Loop: Header=BB117_2 Depth=1
	v_dual_mov_b32 v57, v45 :: v_dual_mov_b32 v58, v37
	s_mov_b32 s10, 0
.LBB117_20:                             ;   Parent Loop BB117_2 Depth=1
                                        ; =>  This Inner Loop Header: Depth=2
	s_delay_alu instid0(VALU_DEP_1) | instskip(NEXT) | instid1(VALU_DEP_1)
	v_sub_nc_u32_e32 v59, v58, v57
	v_lshrrev_b32_e32 v59, 1, v59
	s_delay_alu instid0(VALU_DEP_1) | instskip(NEXT) | instid1(VALU_DEP_1)
	v_add_nc_u32_e32 v59, v59, v57
	v_add_nc_u32_e32 v60, v3, v59
	v_xad_u32 v61, v59, -1, v29
	v_add_nc_u32_e32 v62, 1, v59
	ds_load_u8 v60, v60
	ds_load_u8 v61, v61
	s_wait_dscnt 0x0
	v_cmp_lt_u16_e64 s8, v61, v60
	s_wait_alu 0xf1ff
	s_delay_alu instid0(VALU_DEP_1) | instskip(SKIP_1) | instid1(VALU_DEP_1)
	v_cndmask_b32_e64 v58, v58, v59, s8
	v_cndmask_b32_e64 v57, v62, v57, s8
	v_cmp_ge_i32_e64 s8, v57, v58
	s_wait_alu 0xfffe
	s_or_b32 s10, s8, s10
	s_wait_alu 0xfffe
	s_and_not1_b32 exec_lo, exec_lo, s10
	s_cbranch_execnz .LBB117_20
; %bb.21:                               ;   in Loop: Header=BB117_2 Depth=1
	s_or_b32 exec_lo, exec_lo, s10
.LBB117_22:                             ;   in Loop: Header=BB117_2 Depth=1
	s_wait_alu 0xfffe
	s_or_b32 exec_lo, exec_lo, s9
	v_add_nc_u32_e32 v60, v57, v3
	v_sub_nc_u32_e32 v62, v29, v57
	ds_load_u8 v57, v60
	ds_load_u8 v58, v62
	v_cmp_le_i32_e64 s8, v14, v60
	v_cmp_gt_i32_e64 s10, v15, v62
	s_wait_dscnt 0x1
	v_and_b32_e32 v59, 0xff, v57
	s_wait_dscnt 0x0
	v_and_b32_e32 v61, 0xff, v58
	s_delay_alu instid0(VALU_DEP_1)
	v_cmp_lt_u16_e64 s9, v61, v59
                                        ; implicit-def: $vgpr59
	s_or_b32 s8, s8, s9
	s_wait_alu 0xfffe
	s_and_b32 s8, s10, s8
	s_wait_alu 0xfffe
	s_xor_b32 s9, s8, -1
	s_wait_alu 0xfffe
	s_and_saveexec_b32 s10, s9
	s_wait_alu 0xfffe
	s_xor_b32 s9, exec_lo, s10
; %bb.23:                               ;   in Loop: Header=BB117_2 Depth=1
	ds_load_u8 v59, v60 offset:1
; %bb.24:                               ;   in Loop: Header=BB117_2 Depth=1
	s_wait_alu 0xfffe
	s_or_saveexec_b32 s9, s9
	v_mov_b32_e32 v61, v58
	s_wait_alu 0xfffe
	s_xor_b32 exec_lo, exec_lo, s9
	s_cbranch_execz .LBB117_26
; %bb.25:                               ;   in Loop: Header=BB117_2 Depth=1
	ds_load_u8 v61, v62 offset:1
	s_wait_dscnt 0x1
	v_mov_b32_e32 v59, v57
.LBB117_26:                             ;   in Loop: Header=BB117_2 Depth=1
	s_or_b32 exec_lo, exec_lo, s9
	v_add_nc_u32_e32 v63, 1, v60
	v_add_nc_u32_e32 v64, 1, v62
	s_wait_dscnt 0x0
	v_and_b32_e32 v67, 0xff, v59
	s_delay_alu instid0(VALU_DEP_3) | instskip(SKIP_2) | instid1(VALU_DEP_3)
	v_cndmask_b32_e64 v65, v63, v60, s8
	v_and_b32_e32 v63, 0xff, v61
	v_cndmask_b32_e64 v66, v62, v64, s8
	v_cmp_ge_i32_e64 s9, v65, v14
	s_delay_alu instid0(VALU_DEP_3) | instskip(NEXT) | instid1(VALU_DEP_3)
	v_cmp_lt_u16_e64 s10, v63, v67
	v_cmp_lt_i32_e64 s11, v66, v15
                                        ; implicit-def: $vgpr63
	s_or_b32 s9, s9, s10
	s_wait_alu 0xfffe
	s_and_b32 s9, s11, s9
	s_wait_alu 0xfffe
	s_xor_b32 s10, s9, -1
	s_wait_alu 0xfffe
	s_and_saveexec_b32 s11, s10
	s_wait_alu 0xfffe
	s_xor_b32 s10, exec_lo, s11
; %bb.27:                               ;   in Loop: Header=BB117_2 Depth=1
	ds_load_u8 v63, v65 offset:1
; %bb.28:                               ;   in Loop: Header=BB117_2 Depth=1
	s_wait_alu 0xfffe
	s_or_saveexec_b32 s10, s10
	v_mov_b32_e32 v64, v61
	s_wait_alu 0xfffe
	s_xor_b32 exec_lo, exec_lo, s10
	s_cbranch_execz .LBB117_30
; %bb.29:                               ;   in Loop: Header=BB117_2 Depth=1
	ds_load_u8 v64, v66 offset:1
	s_wait_dscnt 0x1
	v_mov_b32_e32 v63, v59
.LBB117_30:                             ;   in Loop: Header=BB117_2 Depth=1
	s_or_b32 exec_lo, exec_lo, s10
	v_add_nc_u32_e32 v67, 1, v65
	v_add_nc_u32_e32 v68, 1, v66
	s_wait_dscnt 0x0
	v_and_b32_e32 v70, 0xff, v63
	s_delay_alu instid0(VALU_DEP_3) | instskip(SKIP_2) | instid1(VALU_DEP_3)
	v_cndmask_b32_e64 v69, v67, v65, s9
	v_and_b32_e32 v67, 0xff, v64
	v_cndmask_b32_e64 v68, v66, v68, s9
	v_cmp_ge_i32_e64 s10, v69, v14
	s_delay_alu instid0(VALU_DEP_3) | instskip(NEXT) | instid1(VALU_DEP_3)
	v_cmp_lt_u16_e64 s11, v67, v70
	v_cmp_lt_i32_e64 s12, v68, v15
                                        ; implicit-def: $vgpr67
	s_or_b32 s10, s10, s11
	s_wait_alu 0xfffe
	s_and_b32 s10, s12, s10
	s_wait_alu 0xfffe
	s_xor_b32 s11, s10, -1
	s_wait_alu 0xfffe
	s_and_saveexec_b32 s12, s11
	s_wait_alu 0xfffe
	s_xor_b32 s11, exec_lo, s12
; %bb.31:                               ;   in Loop: Header=BB117_2 Depth=1
	ds_load_u8 v67, v69 offset:1
; %bb.32:                               ;   in Loop: Header=BB117_2 Depth=1
	s_wait_alu 0xfffe
	s_or_saveexec_b32 s11, s11
	v_mov_b32_e32 v70, v64
	s_wait_alu 0xfffe
	s_xor_b32 exec_lo, exec_lo, s11
	s_cbranch_execz .LBB117_34
; %bb.33:                               ;   in Loop: Header=BB117_2 Depth=1
	ds_load_u8 v70, v68 offset:1
	s_wait_dscnt 0x1
	v_mov_b32_e32 v67, v63
.LBB117_34:                             ;   in Loop: Header=BB117_2 Depth=1
	s_or_b32 exec_lo, exec_lo, s11
	v_add_nc_u32_e32 v71, 1, v69
	v_add_nc_u32_e32 v72, 1, v68
	v_cndmask_b32_e64 v73, v69, v68, s10
	s_wait_dscnt 0x0
	v_and_b32_e32 v74, 0xff, v67
	v_and_b32_e32 v75, 0xff, v70
	v_cndmask_b32_e64 v69, v71, v69, s10
	v_cndmask_b32_e64 v65, v65, v66, s9
	v_cndmask_b32_e64 v66, v68, v72, s10
	v_cndmask_b32_e64 v60, v60, v62, s8
	v_cmp_lt_u16_e64 s11, v75, v74
	v_cmp_ge_i32_e64 s12, v69, v14
	s_wait_loadcnt 0x0
	v_cmp_lt_i32_e64 s13, v66, v15
	s_barrier_signal -1
	s_barrier_wait -1
	s_or_b32 s11, s12, s11
	global_inv scope:SCOPE_SE
	s_wait_alu 0xfffe
	s_and_b32 s11, s13, s11
	ds_store_b8 v1, v53
	ds_store_b8 v1, v55 offset:1
	ds_store_b8 v1, v56 offset:2
	;; [unrolled: 1-line block ×3, first 2 shown]
	s_wait_alu 0xfffe
	v_cndmask_b32_e64 v66, v69, v66, s11
	s_wait_loadcnt_dscnt 0x0
	s_barrier_signal -1
	s_barrier_wait -1
	global_inv scope:SCOPE_SE
	ds_load_u8 v53, v60
	ds_load_u8 v54, v66
	;; [unrolled: 1-line block ×4, first 2 shown]
	v_cndmask_b32_e64 v57, v57, v58, s8
	v_cndmask_b32_e64 v59, v59, v61, s9
	;; [unrolled: 1-line block ×4, first 2 shown]
	s_wait_loadcnt_dscnt 0x0
	s_barrier_signal -1
	s_barrier_wait -1
	global_inv scope:SCOPE_SE
	ds_store_b8 v1, v57
	ds_store_b8 v1, v59 offset:1
	ds_store_b8 v1, v60 offset:2
	;; [unrolled: 1-line block ×3, first 2 shown]
	v_mov_b32_e32 v57, v46
	s_wait_loadcnt_dscnt 0x0
	s_barrier_signal -1
	s_barrier_wait -1
	global_inv scope:SCOPE_SE
	s_and_saveexec_b32 s9, s2
	s_cbranch_execz .LBB117_38
; %bb.35:                               ;   in Loop: Header=BB117_2 Depth=1
	v_dual_mov_b32 v57, v46 :: v_dual_mov_b32 v58, v38
	s_mov_b32 s10, 0
.LBB117_36:                             ;   Parent Loop BB117_2 Depth=1
                                        ; =>  This Inner Loop Header: Depth=2
	s_delay_alu instid0(VALU_DEP_1) | instskip(NEXT) | instid1(VALU_DEP_1)
	v_sub_nc_u32_e32 v59, v58, v57
	v_lshrrev_b32_e32 v59, 1, v59
	s_delay_alu instid0(VALU_DEP_1) | instskip(NEXT) | instid1(VALU_DEP_1)
	v_add_nc_u32_e32 v59, v59, v57
	v_add_nc_u32_e32 v60, v4, v59
	v_xad_u32 v61, v59, -1, v30
	v_add_nc_u32_e32 v62, 1, v59
	ds_load_u8 v60, v60
	ds_load_u8 v61, v61
	s_wait_dscnt 0x0
	v_cmp_lt_u16_e64 s8, v61, v60
	s_wait_alu 0xf1ff
	s_delay_alu instid0(VALU_DEP_1) | instskip(SKIP_1) | instid1(VALU_DEP_1)
	v_cndmask_b32_e64 v58, v58, v59, s8
	v_cndmask_b32_e64 v57, v62, v57, s8
	v_cmp_ge_i32_e64 s8, v57, v58
	s_wait_alu 0xfffe
	s_or_b32 s10, s8, s10
	s_wait_alu 0xfffe
	s_and_not1_b32 exec_lo, exec_lo, s10
	s_cbranch_execnz .LBB117_36
; %bb.37:                               ;   in Loop: Header=BB117_2 Depth=1
	s_or_b32 exec_lo, exec_lo, s10
.LBB117_38:                             ;   in Loop: Header=BB117_2 Depth=1
	s_wait_alu 0xfffe
	s_or_b32 exec_lo, exec_lo, s9
	v_add_nc_u32_e32 v60, v57, v4
	v_sub_nc_u32_e32 v62, v30, v57
	ds_load_u8 v57, v60
	ds_load_u8 v58, v62
	v_cmp_le_i32_e64 s8, v16, v60
	v_cmp_gt_i32_e64 s10, v17, v62
	s_wait_dscnt 0x1
	v_and_b32_e32 v59, 0xff, v57
	s_wait_dscnt 0x0
	v_and_b32_e32 v61, 0xff, v58
	s_delay_alu instid0(VALU_DEP_1)
	v_cmp_lt_u16_e64 s9, v61, v59
                                        ; implicit-def: $vgpr59
	s_or_b32 s8, s8, s9
	s_wait_alu 0xfffe
	s_and_b32 s8, s10, s8
	s_wait_alu 0xfffe
	s_xor_b32 s9, s8, -1
	s_wait_alu 0xfffe
	s_and_saveexec_b32 s10, s9
	s_wait_alu 0xfffe
	s_xor_b32 s9, exec_lo, s10
; %bb.39:                               ;   in Loop: Header=BB117_2 Depth=1
	ds_load_u8 v59, v60 offset:1
; %bb.40:                               ;   in Loop: Header=BB117_2 Depth=1
	s_wait_alu 0xfffe
	s_or_saveexec_b32 s9, s9
	v_mov_b32_e32 v61, v58
	s_wait_alu 0xfffe
	s_xor_b32 exec_lo, exec_lo, s9
	s_cbranch_execz .LBB117_42
; %bb.41:                               ;   in Loop: Header=BB117_2 Depth=1
	ds_load_u8 v61, v62 offset:1
	s_wait_dscnt 0x1
	v_mov_b32_e32 v59, v57
.LBB117_42:                             ;   in Loop: Header=BB117_2 Depth=1
	s_or_b32 exec_lo, exec_lo, s9
	v_add_nc_u32_e32 v63, 1, v60
	v_add_nc_u32_e32 v64, 1, v62
	s_wait_dscnt 0x0
	v_and_b32_e32 v67, 0xff, v59
	s_delay_alu instid0(VALU_DEP_3) | instskip(SKIP_2) | instid1(VALU_DEP_3)
	v_cndmask_b32_e64 v65, v63, v60, s8
	v_and_b32_e32 v63, 0xff, v61
	v_cndmask_b32_e64 v66, v62, v64, s8
	v_cmp_ge_i32_e64 s9, v65, v16
	s_delay_alu instid0(VALU_DEP_3) | instskip(NEXT) | instid1(VALU_DEP_3)
	v_cmp_lt_u16_e64 s10, v63, v67
	v_cmp_lt_i32_e64 s11, v66, v17
                                        ; implicit-def: $vgpr63
	s_or_b32 s9, s9, s10
	s_wait_alu 0xfffe
	s_and_b32 s9, s11, s9
	s_wait_alu 0xfffe
	s_xor_b32 s10, s9, -1
	s_wait_alu 0xfffe
	s_and_saveexec_b32 s11, s10
	s_wait_alu 0xfffe
	s_xor_b32 s10, exec_lo, s11
; %bb.43:                               ;   in Loop: Header=BB117_2 Depth=1
	ds_load_u8 v63, v65 offset:1
; %bb.44:                               ;   in Loop: Header=BB117_2 Depth=1
	s_wait_alu 0xfffe
	s_or_saveexec_b32 s10, s10
	v_mov_b32_e32 v64, v61
	s_wait_alu 0xfffe
	s_xor_b32 exec_lo, exec_lo, s10
	s_cbranch_execz .LBB117_46
; %bb.45:                               ;   in Loop: Header=BB117_2 Depth=1
	ds_load_u8 v64, v66 offset:1
	s_wait_dscnt 0x1
	v_mov_b32_e32 v63, v59
.LBB117_46:                             ;   in Loop: Header=BB117_2 Depth=1
	s_or_b32 exec_lo, exec_lo, s10
	v_add_nc_u32_e32 v67, 1, v65
	v_add_nc_u32_e32 v68, 1, v66
	s_wait_dscnt 0x0
	v_and_b32_e32 v70, 0xff, v63
	s_delay_alu instid0(VALU_DEP_3) | instskip(SKIP_2) | instid1(VALU_DEP_3)
	v_cndmask_b32_e64 v69, v67, v65, s9
	v_and_b32_e32 v67, 0xff, v64
	v_cndmask_b32_e64 v68, v66, v68, s9
	v_cmp_ge_i32_e64 s10, v69, v16
	s_delay_alu instid0(VALU_DEP_3) | instskip(NEXT) | instid1(VALU_DEP_3)
	v_cmp_lt_u16_e64 s11, v67, v70
	v_cmp_lt_i32_e64 s12, v68, v17
                                        ; implicit-def: $vgpr67
	s_or_b32 s10, s10, s11
	s_wait_alu 0xfffe
	s_and_b32 s10, s12, s10
	s_wait_alu 0xfffe
	s_xor_b32 s11, s10, -1
	s_wait_alu 0xfffe
	s_and_saveexec_b32 s12, s11
	s_wait_alu 0xfffe
	s_xor_b32 s11, exec_lo, s12
; %bb.47:                               ;   in Loop: Header=BB117_2 Depth=1
	ds_load_u8 v67, v69 offset:1
; %bb.48:                               ;   in Loop: Header=BB117_2 Depth=1
	s_wait_alu 0xfffe
	s_or_saveexec_b32 s11, s11
	v_mov_b32_e32 v70, v64
	s_wait_alu 0xfffe
	s_xor_b32 exec_lo, exec_lo, s11
	s_cbranch_execz .LBB117_50
; %bb.49:                               ;   in Loop: Header=BB117_2 Depth=1
	ds_load_u8 v70, v68 offset:1
	s_wait_dscnt 0x1
	v_mov_b32_e32 v67, v63
.LBB117_50:                             ;   in Loop: Header=BB117_2 Depth=1
	s_or_b32 exec_lo, exec_lo, s11
	v_add_nc_u32_e32 v71, 1, v69
	v_add_nc_u32_e32 v72, 1, v68
	v_cndmask_b32_e64 v73, v69, v68, s10
	s_wait_dscnt 0x0
	v_and_b32_e32 v74, 0xff, v67
	v_and_b32_e32 v75, 0xff, v70
	v_cndmask_b32_e64 v69, v71, v69, s10
	v_cndmask_b32_e64 v65, v65, v66, s9
	;; [unrolled: 1-line block ×4, first 2 shown]
	v_cmp_lt_u16_e64 s11, v75, v74
	v_cmp_ge_i32_e64 s12, v69, v16
	s_wait_loadcnt 0x0
	v_cmp_lt_i32_e64 s13, v66, v17
	s_barrier_signal -1
	s_barrier_wait -1
	s_or_b32 s11, s12, s11
	global_inv scope:SCOPE_SE
	s_wait_alu 0xfffe
	s_and_b32 s11, s13, s11
	ds_store_b8 v1, v53
	ds_store_b8 v1, v55 offset:1
	ds_store_b8 v1, v56 offset:2
	;; [unrolled: 1-line block ×3, first 2 shown]
	s_wait_alu 0xfffe
	v_cndmask_b32_e64 v66, v69, v66, s11
	s_wait_loadcnt_dscnt 0x0
	s_barrier_signal -1
	s_barrier_wait -1
	global_inv scope:SCOPE_SE
	ds_load_u8 v53, v60
	ds_load_u8 v54, v66
	;; [unrolled: 1-line block ×4, first 2 shown]
	v_cndmask_b32_e64 v57, v57, v58, s8
	v_cndmask_b32_e64 v59, v59, v61, s9
	;; [unrolled: 1-line block ×4, first 2 shown]
	s_wait_loadcnt_dscnt 0x0
	s_barrier_signal -1
	s_barrier_wait -1
	global_inv scope:SCOPE_SE
	ds_store_b8 v1, v57
	ds_store_b8 v1, v59 offset:1
	ds_store_b8 v1, v60 offset:2
	;; [unrolled: 1-line block ×3, first 2 shown]
	v_mov_b32_e32 v57, v47
	s_wait_loadcnt_dscnt 0x0
	s_barrier_signal -1
	s_barrier_wait -1
	global_inv scope:SCOPE_SE
	s_and_saveexec_b32 s9, s3
	s_cbranch_execz .LBB117_54
; %bb.51:                               ;   in Loop: Header=BB117_2 Depth=1
	v_dual_mov_b32 v57, v47 :: v_dual_mov_b32 v58, v39
	s_mov_b32 s10, 0
.LBB117_52:                             ;   Parent Loop BB117_2 Depth=1
                                        ; =>  This Inner Loop Header: Depth=2
	s_delay_alu instid0(VALU_DEP_1) | instskip(NEXT) | instid1(VALU_DEP_1)
	v_sub_nc_u32_e32 v59, v58, v57
	v_lshrrev_b32_e32 v59, 1, v59
	s_delay_alu instid0(VALU_DEP_1) | instskip(NEXT) | instid1(VALU_DEP_1)
	v_add_nc_u32_e32 v59, v59, v57
	v_add_nc_u32_e32 v60, v5, v59
	v_xad_u32 v61, v59, -1, v31
	v_add_nc_u32_e32 v62, 1, v59
	ds_load_u8 v60, v60
	ds_load_u8 v61, v61
	s_wait_dscnt 0x0
	v_cmp_lt_u16_e64 s8, v61, v60
	s_wait_alu 0xf1ff
	s_delay_alu instid0(VALU_DEP_1) | instskip(SKIP_1) | instid1(VALU_DEP_1)
	v_cndmask_b32_e64 v58, v58, v59, s8
	v_cndmask_b32_e64 v57, v62, v57, s8
	v_cmp_ge_i32_e64 s8, v57, v58
	s_wait_alu 0xfffe
	s_or_b32 s10, s8, s10
	s_wait_alu 0xfffe
	s_and_not1_b32 exec_lo, exec_lo, s10
	s_cbranch_execnz .LBB117_52
; %bb.53:                               ;   in Loop: Header=BB117_2 Depth=1
	s_or_b32 exec_lo, exec_lo, s10
.LBB117_54:                             ;   in Loop: Header=BB117_2 Depth=1
	s_wait_alu 0xfffe
	s_or_b32 exec_lo, exec_lo, s9
	v_add_nc_u32_e32 v60, v57, v5
	v_sub_nc_u32_e32 v62, v31, v57
	ds_load_u8 v57, v60
	ds_load_u8 v58, v62
	v_cmp_le_i32_e64 s8, v18, v60
	v_cmp_gt_i32_e64 s10, v19, v62
	s_wait_dscnt 0x1
	v_and_b32_e32 v59, 0xff, v57
	s_wait_dscnt 0x0
	v_and_b32_e32 v61, 0xff, v58
	s_delay_alu instid0(VALU_DEP_1)
	v_cmp_lt_u16_e64 s9, v61, v59
                                        ; implicit-def: $vgpr59
	s_or_b32 s8, s8, s9
	s_wait_alu 0xfffe
	s_and_b32 s8, s10, s8
	s_wait_alu 0xfffe
	s_xor_b32 s9, s8, -1
	s_wait_alu 0xfffe
	s_and_saveexec_b32 s10, s9
	s_wait_alu 0xfffe
	s_xor_b32 s9, exec_lo, s10
; %bb.55:                               ;   in Loop: Header=BB117_2 Depth=1
	ds_load_u8 v59, v60 offset:1
; %bb.56:                               ;   in Loop: Header=BB117_2 Depth=1
	s_wait_alu 0xfffe
	s_or_saveexec_b32 s9, s9
	v_mov_b32_e32 v61, v58
	s_wait_alu 0xfffe
	s_xor_b32 exec_lo, exec_lo, s9
	s_cbranch_execz .LBB117_58
; %bb.57:                               ;   in Loop: Header=BB117_2 Depth=1
	ds_load_u8 v61, v62 offset:1
	s_wait_dscnt 0x1
	v_mov_b32_e32 v59, v57
.LBB117_58:                             ;   in Loop: Header=BB117_2 Depth=1
	s_or_b32 exec_lo, exec_lo, s9
	v_add_nc_u32_e32 v63, 1, v60
	v_add_nc_u32_e32 v64, 1, v62
	s_wait_dscnt 0x0
	v_and_b32_e32 v67, 0xff, v59
	s_delay_alu instid0(VALU_DEP_3) | instskip(SKIP_2) | instid1(VALU_DEP_3)
	v_cndmask_b32_e64 v65, v63, v60, s8
	v_and_b32_e32 v63, 0xff, v61
	v_cndmask_b32_e64 v66, v62, v64, s8
	v_cmp_ge_i32_e64 s9, v65, v18
	s_delay_alu instid0(VALU_DEP_3) | instskip(NEXT) | instid1(VALU_DEP_3)
	v_cmp_lt_u16_e64 s10, v63, v67
	v_cmp_lt_i32_e64 s11, v66, v19
                                        ; implicit-def: $vgpr63
	s_or_b32 s9, s9, s10
	s_wait_alu 0xfffe
	s_and_b32 s9, s11, s9
	s_wait_alu 0xfffe
	s_xor_b32 s10, s9, -1
	s_wait_alu 0xfffe
	s_and_saveexec_b32 s11, s10
	s_wait_alu 0xfffe
	s_xor_b32 s10, exec_lo, s11
; %bb.59:                               ;   in Loop: Header=BB117_2 Depth=1
	ds_load_u8 v63, v65 offset:1
; %bb.60:                               ;   in Loop: Header=BB117_2 Depth=1
	s_wait_alu 0xfffe
	s_or_saveexec_b32 s10, s10
	v_mov_b32_e32 v64, v61
	s_wait_alu 0xfffe
	s_xor_b32 exec_lo, exec_lo, s10
	s_cbranch_execz .LBB117_62
; %bb.61:                               ;   in Loop: Header=BB117_2 Depth=1
	ds_load_u8 v64, v66 offset:1
	s_wait_dscnt 0x1
	v_mov_b32_e32 v63, v59
.LBB117_62:                             ;   in Loop: Header=BB117_2 Depth=1
	s_or_b32 exec_lo, exec_lo, s10
	v_add_nc_u32_e32 v67, 1, v65
	v_add_nc_u32_e32 v68, 1, v66
	s_wait_dscnt 0x0
	v_and_b32_e32 v70, 0xff, v63
	s_delay_alu instid0(VALU_DEP_3) | instskip(SKIP_2) | instid1(VALU_DEP_3)
	v_cndmask_b32_e64 v69, v67, v65, s9
	v_and_b32_e32 v67, 0xff, v64
	v_cndmask_b32_e64 v68, v66, v68, s9
	v_cmp_ge_i32_e64 s10, v69, v18
	s_delay_alu instid0(VALU_DEP_3) | instskip(NEXT) | instid1(VALU_DEP_3)
	v_cmp_lt_u16_e64 s11, v67, v70
	v_cmp_lt_i32_e64 s12, v68, v19
                                        ; implicit-def: $vgpr67
	s_or_b32 s10, s10, s11
	s_wait_alu 0xfffe
	s_and_b32 s10, s12, s10
	s_wait_alu 0xfffe
	s_xor_b32 s11, s10, -1
	s_wait_alu 0xfffe
	s_and_saveexec_b32 s12, s11
	s_wait_alu 0xfffe
	s_xor_b32 s11, exec_lo, s12
; %bb.63:                               ;   in Loop: Header=BB117_2 Depth=1
	ds_load_u8 v67, v69 offset:1
; %bb.64:                               ;   in Loop: Header=BB117_2 Depth=1
	s_wait_alu 0xfffe
	s_or_saveexec_b32 s11, s11
	v_mov_b32_e32 v70, v64
	s_wait_alu 0xfffe
	s_xor_b32 exec_lo, exec_lo, s11
	s_cbranch_execz .LBB117_66
; %bb.65:                               ;   in Loop: Header=BB117_2 Depth=1
	ds_load_u8 v70, v68 offset:1
	s_wait_dscnt 0x1
	v_mov_b32_e32 v67, v63
.LBB117_66:                             ;   in Loop: Header=BB117_2 Depth=1
	s_or_b32 exec_lo, exec_lo, s11
	v_add_nc_u32_e32 v71, 1, v69
	v_add_nc_u32_e32 v72, 1, v68
	v_cndmask_b32_e64 v73, v69, v68, s10
	s_wait_dscnt 0x0
	v_and_b32_e32 v74, 0xff, v67
	v_and_b32_e32 v75, 0xff, v70
	v_cndmask_b32_e64 v69, v71, v69, s10
	v_cndmask_b32_e64 v65, v65, v66, s9
	;; [unrolled: 1-line block ×4, first 2 shown]
	v_cmp_lt_u16_e64 s11, v75, v74
	v_cmp_ge_i32_e64 s12, v69, v18
	s_wait_loadcnt 0x0
	v_cmp_lt_i32_e64 s13, v66, v19
	s_barrier_signal -1
	s_barrier_wait -1
	s_or_b32 s11, s12, s11
	global_inv scope:SCOPE_SE
	s_wait_alu 0xfffe
	s_and_b32 s11, s13, s11
	ds_store_b8 v1, v53
	ds_store_b8 v1, v55 offset:1
	ds_store_b8 v1, v56 offset:2
	ds_store_b8 v1, v54 offset:3
	s_wait_alu 0xfffe
	v_cndmask_b32_e64 v66, v69, v66, s11
	s_wait_loadcnt_dscnt 0x0
	s_barrier_signal -1
	s_barrier_wait -1
	global_inv scope:SCOPE_SE
	ds_load_u8 v53, v60
	ds_load_u8 v54, v66
	;; [unrolled: 1-line block ×4, first 2 shown]
	v_cndmask_b32_e64 v57, v57, v58, s8
	v_cndmask_b32_e64 v59, v59, v61, s9
	;; [unrolled: 1-line block ×4, first 2 shown]
	s_wait_loadcnt_dscnt 0x0
	s_barrier_signal -1
	s_barrier_wait -1
	global_inv scope:SCOPE_SE
	ds_store_b8 v1, v57
	ds_store_b8 v1, v59 offset:1
	ds_store_b8 v1, v60 offset:2
	;; [unrolled: 1-line block ×3, first 2 shown]
	v_mov_b32_e32 v57, v48
	s_wait_loadcnt_dscnt 0x0
	s_barrier_signal -1
	s_barrier_wait -1
	global_inv scope:SCOPE_SE
	s_and_saveexec_b32 s9, s4
	s_cbranch_execz .LBB117_70
; %bb.67:                               ;   in Loop: Header=BB117_2 Depth=1
	v_dual_mov_b32 v57, v48 :: v_dual_mov_b32 v58, v40
	s_mov_b32 s10, 0
.LBB117_68:                             ;   Parent Loop BB117_2 Depth=1
                                        ; =>  This Inner Loop Header: Depth=2
	s_delay_alu instid0(VALU_DEP_1) | instskip(NEXT) | instid1(VALU_DEP_1)
	v_sub_nc_u32_e32 v59, v58, v57
	v_lshrrev_b32_e32 v59, 1, v59
	s_delay_alu instid0(VALU_DEP_1) | instskip(NEXT) | instid1(VALU_DEP_1)
	v_add_nc_u32_e32 v59, v59, v57
	v_add_nc_u32_e32 v60, v6, v59
	v_xad_u32 v61, v59, -1, v32
	v_add_nc_u32_e32 v62, 1, v59
	ds_load_u8 v60, v60
	ds_load_u8 v61, v61
	s_wait_dscnt 0x0
	v_cmp_lt_u16_e64 s8, v61, v60
	s_wait_alu 0xf1ff
	s_delay_alu instid0(VALU_DEP_1) | instskip(SKIP_1) | instid1(VALU_DEP_1)
	v_cndmask_b32_e64 v58, v58, v59, s8
	v_cndmask_b32_e64 v57, v62, v57, s8
	v_cmp_ge_i32_e64 s8, v57, v58
	s_wait_alu 0xfffe
	s_or_b32 s10, s8, s10
	s_wait_alu 0xfffe
	s_and_not1_b32 exec_lo, exec_lo, s10
	s_cbranch_execnz .LBB117_68
; %bb.69:                               ;   in Loop: Header=BB117_2 Depth=1
	s_or_b32 exec_lo, exec_lo, s10
.LBB117_70:                             ;   in Loop: Header=BB117_2 Depth=1
	s_wait_alu 0xfffe
	s_or_b32 exec_lo, exec_lo, s9
	v_add_nc_u32_e32 v60, v57, v6
	v_sub_nc_u32_e32 v62, v32, v57
	ds_load_u8 v57, v60
	ds_load_u8 v58, v62
	v_cmp_le_i32_e64 s8, v20, v60
	v_cmp_gt_i32_e64 s10, v21, v62
	s_wait_dscnt 0x1
	v_and_b32_e32 v59, 0xff, v57
	s_wait_dscnt 0x0
	v_and_b32_e32 v61, 0xff, v58
	s_delay_alu instid0(VALU_DEP_1)
	v_cmp_lt_u16_e64 s9, v61, v59
                                        ; implicit-def: $vgpr59
	s_or_b32 s8, s8, s9
	s_wait_alu 0xfffe
	s_and_b32 s8, s10, s8
	s_wait_alu 0xfffe
	s_xor_b32 s9, s8, -1
	s_wait_alu 0xfffe
	s_and_saveexec_b32 s10, s9
	s_wait_alu 0xfffe
	s_xor_b32 s9, exec_lo, s10
; %bb.71:                               ;   in Loop: Header=BB117_2 Depth=1
	ds_load_u8 v59, v60 offset:1
; %bb.72:                               ;   in Loop: Header=BB117_2 Depth=1
	s_wait_alu 0xfffe
	s_or_saveexec_b32 s9, s9
	v_mov_b32_e32 v61, v58
	s_wait_alu 0xfffe
	s_xor_b32 exec_lo, exec_lo, s9
	s_cbranch_execz .LBB117_74
; %bb.73:                               ;   in Loop: Header=BB117_2 Depth=1
	ds_load_u8 v61, v62 offset:1
	s_wait_dscnt 0x1
	v_mov_b32_e32 v59, v57
.LBB117_74:                             ;   in Loop: Header=BB117_2 Depth=1
	s_or_b32 exec_lo, exec_lo, s9
	v_add_nc_u32_e32 v63, 1, v60
	v_add_nc_u32_e32 v64, 1, v62
	s_wait_dscnt 0x0
	v_and_b32_e32 v67, 0xff, v59
	s_delay_alu instid0(VALU_DEP_3) | instskip(SKIP_2) | instid1(VALU_DEP_3)
	v_cndmask_b32_e64 v65, v63, v60, s8
	v_and_b32_e32 v63, 0xff, v61
	v_cndmask_b32_e64 v66, v62, v64, s8
	v_cmp_ge_i32_e64 s9, v65, v20
	s_delay_alu instid0(VALU_DEP_3) | instskip(NEXT) | instid1(VALU_DEP_3)
	v_cmp_lt_u16_e64 s10, v63, v67
	v_cmp_lt_i32_e64 s11, v66, v21
                                        ; implicit-def: $vgpr63
	s_or_b32 s9, s9, s10
	s_wait_alu 0xfffe
	s_and_b32 s9, s11, s9
	s_wait_alu 0xfffe
	s_xor_b32 s10, s9, -1
	s_wait_alu 0xfffe
	s_and_saveexec_b32 s11, s10
	s_wait_alu 0xfffe
	s_xor_b32 s10, exec_lo, s11
; %bb.75:                               ;   in Loop: Header=BB117_2 Depth=1
	ds_load_u8 v63, v65 offset:1
; %bb.76:                               ;   in Loop: Header=BB117_2 Depth=1
	s_wait_alu 0xfffe
	s_or_saveexec_b32 s10, s10
	v_mov_b32_e32 v64, v61
	s_wait_alu 0xfffe
	s_xor_b32 exec_lo, exec_lo, s10
	s_cbranch_execz .LBB117_78
; %bb.77:                               ;   in Loop: Header=BB117_2 Depth=1
	ds_load_u8 v64, v66 offset:1
	s_wait_dscnt 0x1
	v_mov_b32_e32 v63, v59
.LBB117_78:                             ;   in Loop: Header=BB117_2 Depth=1
	s_or_b32 exec_lo, exec_lo, s10
	v_add_nc_u32_e32 v67, 1, v65
	v_add_nc_u32_e32 v68, 1, v66
	s_wait_dscnt 0x0
	v_and_b32_e32 v70, 0xff, v63
	s_delay_alu instid0(VALU_DEP_3) | instskip(SKIP_2) | instid1(VALU_DEP_3)
	v_cndmask_b32_e64 v69, v67, v65, s9
	v_and_b32_e32 v67, 0xff, v64
	v_cndmask_b32_e64 v68, v66, v68, s9
	v_cmp_ge_i32_e64 s10, v69, v20
	s_delay_alu instid0(VALU_DEP_3) | instskip(NEXT) | instid1(VALU_DEP_3)
	v_cmp_lt_u16_e64 s11, v67, v70
	v_cmp_lt_i32_e64 s12, v68, v21
                                        ; implicit-def: $vgpr67
	s_or_b32 s10, s10, s11
	s_wait_alu 0xfffe
	s_and_b32 s10, s12, s10
	s_wait_alu 0xfffe
	s_xor_b32 s11, s10, -1
	s_wait_alu 0xfffe
	s_and_saveexec_b32 s12, s11
	s_wait_alu 0xfffe
	s_xor_b32 s11, exec_lo, s12
; %bb.79:                               ;   in Loop: Header=BB117_2 Depth=1
	ds_load_u8 v67, v69 offset:1
; %bb.80:                               ;   in Loop: Header=BB117_2 Depth=1
	s_wait_alu 0xfffe
	s_or_saveexec_b32 s11, s11
	v_mov_b32_e32 v70, v64
	s_wait_alu 0xfffe
	s_xor_b32 exec_lo, exec_lo, s11
	s_cbranch_execz .LBB117_82
; %bb.81:                               ;   in Loop: Header=BB117_2 Depth=1
	ds_load_u8 v70, v68 offset:1
	s_wait_dscnt 0x1
	v_mov_b32_e32 v67, v63
.LBB117_82:                             ;   in Loop: Header=BB117_2 Depth=1
	s_or_b32 exec_lo, exec_lo, s11
	v_add_nc_u32_e32 v71, 1, v69
	v_add_nc_u32_e32 v72, 1, v68
	v_cndmask_b32_e64 v73, v69, v68, s10
	s_wait_dscnt 0x0
	v_and_b32_e32 v74, 0xff, v67
	v_and_b32_e32 v75, 0xff, v70
	v_cndmask_b32_e64 v69, v71, v69, s10
	v_cndmask_b32_e64 v65, v65, v66, s9
	;; [unrolled: 1-line block ×4, first 2 shown]
	v_cmp_lt_u16_e64 s11, v75, v74
	v_cmp_ge_i32_e64 s12, v69, v20
	s_wait_loadcnt 0x0
	v_cmp_lt_i32_e64 s13, v66, v21
	s_barrier_signal -1
	s_barrier_wait -1
	s_or_b32 s11, s12, s11
	global_inv scope:SCOPE_SE
	s_wait_alu 0xfffe
	s_and_b32 s11, s13, s11
	ds_store_b8 v1, v53
	ds_store_b8 v1, v55 offset:1
	ds_store_b8 v1, v56 offset:2
	;; [unrolled: 1-line block ×3, first 2 shown]
	s_wait_alu 0xfffe
	v_cndmask_b32_e64 v66, v69, v66, s11
	s_wait_loadcnt_dscnt 0x0
	s_barrier_signal -1
	s_barrier_wait -1
	global_inv scope:SCOPE_SE
	ds_load_u8 v53, v60
	ds_load_u8 v54, v66
	;; [unrolled: 1-line block ×4, first 2 shown]
	v_cndmask_b32_e64 v57, v57, v58, s8
	v_cndmask_b32_e64 v59, v59, v61, s9
	;; [unrolled: 1-line block ×4, first 2 shown]
	s_wait_loadcnt_dscnt 0x0
	s_barrier_signal -1
	s_barrier_wait -1
	global_inv scope:SCOPE_SE
	ds_store_b8 v1, v57
	ds_store_b8 v1, v59 offset:1
	ds_store_b8 v1, v60 offset:2
	;; [unrolled: 1-line block ×3, first 2 shown]
	v_mov_b32_e32 v57, v49
	s_wait_loadcnt_dscnt 0x0
	s_barrier_signal -1
	s_barrier_wait -1
	global_inv scope:SCOPE_SE
	s_and_saveexec_b32 s9, s5
	s_cbranch_execz .LBB117_86
; %bb.83:                               ;   in Loop: Header=BB117_2 Depth=1
	v_dual_mov_b32 v57, v49 :: v_dual_mov_b32 v58, v41
	s_mov_b32 s10, 0
.LBB117_84:                             ;   Parent Loop BB117_2 Depth=1
                                        ; =>  This Inner Loop Header: Depth=2
	s_delay_alu instid0(VALU_DEP_1) | instskip(NEXT) | instid1(VALU_DEP_1)
	v_sub_nc_u32_e32 v59, v58, v57
	v_lshrrev_b32_e32 v59, 1, v59
	s_delay_alu instid0(VALU_DEP_1) | instskip(NEXT) | instid1(VALU_DEP_1)
	v_add_nc_u32_e32 v59, v59, v57
	v_add_nc_u32_e32 v60, v7, v59
	v_xad_u32 v61, v59, -1, v33
	v_add_nc_u32_e32 v62, 1, v59
	ds_load_u8 v60, v60
	ds_load_u8 v61, v61
	s_wait_dscnt 0x0
	v_cmp_lt_u16_e64 s8, v61, v60
	s_wait_alu 0xf1ff
	s_delay_alu instid0(VALU_DEP_1) | instskip(SKIP_1) | instid1(VALU_DEP_1)
	v_cndmask_b32_e64 v58, v58, v59, s8
	v_cndmask_b32_e64 v57, v62, v57, s8
	v_cmp_ge_i32_e64 s8, v57, v58
	s_wait_alu 0xfffe
	s_or_b32 s10, s8, s10
	s_wait_alu 0xfffe
	s_and_not1_b32 exec_lo, exec_lo, s10
	s_cbranch_execnz .LBB117_84
; %bb.85:                               ;   in Loop: Header=BB117_2 Depth=1
	s_or_b32 exec_lo, exec_lo, s10
.LBB117_86:                             ;   in Loop: Header=BB117_2 Depth=1
	s_wait_alu 0xfffe
	s_or_b32 exec_lo, exec_lo, s9
	v_add_nc_u32_e32 v60, v57, v7
	v_sub_nc_u32_e32 v62, v33, v57
	ds_load_u8 v57, v60
	ds_load_u8 v58, v62
	v_cmp_le_i32_e64 s8, v22, v60
	v_cmp_gt_i32_e64 s10, v23, v62
	s_wait_dscnt 0x1
	v_and_b32_e32 v59, 0xff, v57
	s_wait_dscnt 0x0
	v_and_b32_e32 v61, 0xff, v58
	s_delay_alu instid0(VALU_DEP_1)
	v_cmp_lt_u16_e64 s9, v61, v59
                                        ; implicit-def: $vgpr59
	s_or_b32 s8, s8, s9
	s_wait_alu 0xfffe
	s_and_b32 s8, s10, s8
	s_wait_alu 0xfffe
	s_xor_b32 s9, s8, -1
	s_wait_alu 0xfffe
	s_and_saveexec_b32 s10, s9
	s_wait_alu 0xfffe
	s_xor_b32 s9, exec_lo, s10
; %bb.87:                               ;   in Loop: Header=BB117_2 Depth=1
	ds_load_u8 v59, v60 offset:1
; %bb.88:                               ;   in Loop: Header=BB117_2 Depth=1
	s_wait_alu 0xfffe
	s_or_saveexec_b32 s9, s9
	v_mov_b32_e32 v61, v58
	s_wait_alu 0xfffe
	s_xor_b32 exec_lo, exec_lo, s9
	s_cbranch_execz .LBB117_90
; %bb.89:                               ;   in Loop: Header=BB117_2 Depth=1
	ds_load_u8 v61, v62 offset:1
	s_wait_dscnt 0x1
	v_mov_b32_e32 v59, v57
.LBB117_90:                             ;   in Loop: Header=BB117_2 Depth=1
	s_or_b32 exec_lo, exec_lo, s9
	v_add_nc_u32_e32 v63, 1, v60
	v_add_nc_u32_e32 v64, 1, v62
	s_wait_dscnt 0x0
	v_and_b32_e32 v67, 0xff, v59
	s_delay_alu instid0(VALU_DEP_3) | instskip(SKIP_2) | instid1(VALU_DEP_3)
	v_cndmask_b32_e64 v65, v63, v60, s8
	v_and_b32_e32 v63, 0xff, v61
	v_cndmask_b32_e64 v66, v62, v64, s8
	v_cmp_ge_i32_e64 s9, v65, v22
	s_delay_alu instid0(VALU_DEP_3) | instskip(NEXT) | instid1(VALU_DEP_3)
	v_cmp_lt_u16_e64 s10, v63, v67
	v_cmp_lt_i32_e64 s11, v66, v23
                                        ; implicit-def: $vgpr63
	s_or_b32 s9, s9, s10
	s_wait_alu 0xfffe
	s_and_b32 s9, s11, s9
	s_wait_alu 0xfffe
	s_xor_b32 s10, s9, -1
	s_wait_alu 0xfffe
	s_and_saveexec_b32 s11, s10
	s_wait_alu 0xfffe
	s_xor_b32 s10, exec_lo, s11
; %bb.91:                               ;   in Loop: Header=BB117_2 Depth=1
	ds_load_u8 v63, v65 offset:1
; %bb.92:                               ;   in Loop: Header=BB117_2 Depth=1
	s_wait_alu 0xfffe
	s_or_saveexec_b32 s10, s10
	v_mov_b32_e32 v64, v61
	s_wait_alu 0xfffe
	s_xor_b32 exec_lo, exec_lo, s10
	s_cbranch_execz .LBB117_94
; %bb.93:                               ;   in Loop: Header=BB117_2 Depth=1
	ds_load_u8 v64, v66 offset:1
	s_wait_dscnt 0x1
	v_mov_b32_e32 v63, v59
.LBB117_94:                             ;   in Loop: Header=BB117_2 Depth=1
	s_or_b32 exec_lo, exec_lo, s10
	v_add_nc_u32_e32 v67, 1, v65
	v_add_nc_u32_e32 v68, 1, v66
	s_wait_dscnt 0x0
	v_and_b32_e32 v70, 0xff, v63
	s_delay_alu instid0(VALU_DEP_3) | instskip(SKIP_2) | instid1(VALU_DEP_3)
	v_cndmask_b32_e64 v69, v67, v65, s9
	v_and_b32_e32 v67, 0xff, v64
	v_cndmask_b32_e64 v68, v66, v68, s9
	v_cmp_ge_i32_e64 s10, v69, v22
	s_delay_alu instid0(VALU_DEP_3) | instskip(NEXT) | instid1(VALU_DEP_3)
	v_cmp_lt_u16_e64 s11, v67, v70
	v_cmp_lt_i32_e64 s12, v68, v23
                                        ; implicit-def: $vgpr67
	s_or_b32 s10, s10, s11
	s_wait_alu 0xfffe
	s_and_b32 s10, s12, s10
	s_wait_alu 0xfffe
	s_xor_b32 s11, s10, -1
	s_wait_alu 0xfffe
	s_and_saveexec_b32 s12, s11
	s_wait_alu 0xfffe
	s_xor_b32 s11, exec_lo, s12
; %bb.95:                               ;   in Loop: Header=BB117_2 Depth=1
	ds_load_u8 v67, v69 offset:1
; %bb.96:                               ;   in Loop: Header=BB117_2 Depth=1
	s_wait_alu 0xfffe
	s_or_saveexec_b32 s11, s11
	v_mov_b32_e32 v70, v64
	s_wait_alu 0xfffe
	s_xor_b32 exec_lo, exec_lo, s11
	s_cbranch_execz .LBB117_98
; %bb.97:                               ;   in Loop: Header=BB117_2 Depth=1
	ds_load_u8 v70, v68 offset:1
	s_wait_dscnt 0x1
	v_mov_b32_e32 v67, v63
.LBB117_98:                             ;   in Loop: Header=BB117_2 Depth=1
	s_or_b32 exec_lo, exec_lo, s11
	v_add_nc_u32_e32 v71, 1, v69
	v_add_nc_u32_e32 v72, 1, v68
	v_cndmask_b32_e64 v73, v69, v68, s10
	s_wait_dscnt 0x0
	v_and_b32_e32 v74, 0xff, v67
	v_and_b32_e32 v75, 0xff, v70
	v_cndmask_b32_e64 v69, v71, v69, s10
	v_cndmask_b32_e64 v65, v65, v66, s9
	;; [unrolled: 1-line block ×4, first 2 shown]
	v_cmp_lt_u16_e64 s11, v75, v74
	v_cmp_ge_i32_e64 s12, v69, v22
	s_wait_loadcnt 0x0
	v_cmp_lt_i32_e64 s13, v66, v23
	s_barrier_signal -1
	s_barrier_wait -1
	s_or_b32 s11, s12, s11
	global_inv scope:SCOPE_SE
	s_wait_alu 0xfffe
	s_and_b32 s11, s13, s11
	ds_store_b8 v1, v53
	ds_store_b8 v1, v55 offset:1
	ds_store_b8 v1, v56 offset:2
	ds_store_b8 v1, v54 offset:3
	s_wait_alu 0xfffe
	v_cndmask_b32_e64 v66, v69, v66, s11
	s_wait_loadcnt_dscnt 0x0
	s_barrier_signal -1
	s_barrier_wait -1
	global_inv scope:SCOPE_SE
	ds_load_u8 v53, v60
	ds_load_u8 v54, v66
	;; [unrolled: 1-line block ×4, first 2 shown]
	v_cndmask_b32_e64 v57, v57, v58, s8
	v_cndmask_b32_e64 v59, v59, v61, s9
	;; [unrolled: 1-line block ×4, first 2 shown]
	s_wait_loadcnt_dscnt 0x0
	s_barrier_signal -1
	s_barrier_wait -1
	global_inv scope:SCOPE_SE
	ds_store_b8 v1, v57
	ds_store_b8 v1, v59 offset:1
	ds_store_b8 v1, v60 offset:2
	;; [unrolled: 1-line block ×3, first 2 shown]
	v_mov_b32_e32 v57, v50
	s_wait_loadcnt_dscnt 0x0
	s_barrier_signal -1
	s_barrier_wait -1
	global_inv scope:SCOPE_SE
	s_and_saveexec_b32 s9, s6
	s_cbranch_execz .LBB117_102
; %bb.99:                               ;   in Loop: Header=BB117_2 Depth=1
	v_dual_mov_b32 v57, v50 :: v_dual_mov_b32 v58, v42
	s_mov_b32 s10, 0
.LBB117_100:                            ;   Parent Loop BB117_2 Depth=1
                                        ; =>  This Inner Loop Header: Depth=2
	s_delay_alu instid0(VALU_DEP_1) | instskip(NEXT) | instid1(VALU_DEP_1)
	v_sub_nc_u32_e32 v59, v58, v57
	v_lshrrev_b32_e32 v59, 1, v59
	s_delay_alu instid0(VALU_DEP_1) | instskip(NEXT) | instid1(VALU_DEP_1)
	v_add_nc_u32_e32 v59, v59, v57
	v_add_nc_u32_e32 v60, v8, v59
	v_xad_u32 v61, v59, -1, v34
	v_add_nc_u32_e32 v62, 1, v59
	ds_load_u8 v60, v60
	ds_load_u8 v61, v61
	s_wait_dscnt 0x0
	v_cmp_lt_u16_e64 s8, v61, v60
	s_wait_alu 0xf1ff
	s_delay_alu instid0(VALU_DEP_1) | instskip(SKIP_1) | instid1(VALU_DEP_1)
	v_cndmask_b32_e64 v58, v58, v59, s8
	v_cndmask_b32_e64 v57, v62, v57, s8
	v_cmp_ge_i32_e64 s8, v57, v58
	s_wait_alu 0xfffe
	s_or_b32 s10, s8, s10
	s_wait_alu 0xfffe
	s_and_not1_b32 exec_lo, exec_lo, s10
	s_cbranch_execnz .LBB117_100
; %bb.101:                              ;   in Loop: Header=BB117_2 Depth=1
	s_or_b32 exec_lo, exec_lo, s10
.LBB117_102:                            ;   in Loop: Header=BB117_2 Depth=1
	s_wait_alu 0xfffe
	s_or_b32 exec_lo, exec_lo, s9
	v_add_nc_u32_e32 v60, v57, v8
	v_sub_nc_u32_e32 v62, v34, v57
	ds_load_u8 v57, v60
	ds_load_u8 v58, v62
	v_cmp_le_i32_e64 s8, v24, v60
	v_cmp_gt_i32_e64 s10, v25, v62
	s_wait_dscnt 0x1
	v_and_b32_e32 v59, 0xff, v57
	s_wait_dscnt 0x0
	v_and_b32_e32 v61, 0xff, v58
	s_delay_alu instid0(VALU_DEP_1)
	v_cmp_lt_u16_e64 s9, v61, v59
                                        ; implicit-def: $vgpr59
	s_or_b32 s8, s8, s9
	s_wait_alu 0xfffe
	s_and_b32 s8, s10, s8
	s_wait_alu 0xfffe
	s_xor_b32 s9, s8, -1
	s_wait_alu 0xfffe
	s_and_saveexec_b32 s10, s9
	s_wait_alu 0xfffe
	s_xor_b32 s9, exec_lo, s10
; %bb.103:                              ;   in Loop: Header=BB117_2 Depth=1
	ds_load_u8 v59, v60 offset:1
; %bb.104:                              ;   in Loop: Header=BB117_2 Depth=1
	s_wait_alu 0xfffe
	s_or_saveexec_b32 s9, s9
	v_mov_b32_e32 v61, v58
	s_wait_alu 0xfffe
	s_xor_b32 exec_lo, exec_lo, s9
	s_cbranch_execz .LBB117_106
; %bb.105:                              ;   in Loop: Header=BB117_2 Depth=1
	ds_load_u8 v61, v62 offset:1
	s_wait_dscnt 0x1
	v_mov_b32_e32 v59, v57
.LBB117_106:                            ;   in Loop: Header=BB117_2 Depth=1
	s_or_b32 exec_lo, exec_lo, s9
	v_add_nc_u32_e32 v63, 1, v60
	v_add_nc_u32_e32 v64, 1, v62
	s_wait_dscnt 0x0
	v_and_b32_e32 v67, 0xff, v59
	s_delay_alu instid0(VALU_DEP_3) | instskip(SKIP_2) | instid1(VALU_DEP_3)
	v_cndmask_b32_e64 v65, v63, v60, s8
	v_and_b32_e32 v63, 0xff, v61
	v_cndmask_b32_e64 v66, v62, v64, s8
	v_cmp_ge_i32_e64 s9, v65, v24
	s_delay_alu instid0(VALU_DEP_3) | instskip(NEXT) | instid1(VALU_DEP_3)
	v_cmp_lt_u16_e64 s10, v63, v67
	v_cmp_lt_i32_e64 s11, v66, v25
                                        ; implicit-def: $vgpr63
	s_or_b32 s9, s9, s10
	s_wait_alu 0xfffe
	s_and_b32 s9, s11, s9
	s_wait_alu 0xfffe
	s_xor_b32 s10, s9, -1
	s_wait_alu 0xfffe
	s_and_saveexec_b32 s11, s10
	s_wait_alu 0xfffe
	s_xor_b32 s10, exec_lo, s11
; %bb.107:                              ;   in Loop: Header=BB117_2 Depth=1
	ds_load_u8 v63, v65 offset:1
; %bb.108:                              ;   in Loop: Header=BB117_2 Depth=1
	s_wait_alu 0xfffe
	s_or_saveexec_b32 s10, s10
	v_mov_b32_e32 v64, v61
	s_wait_alu 0xfffe
	s_xor_b32 exec_lo, exec_lo, s10
	s_cbranch_execz .LBB117_110
; %bb.109:                              ;   in Loop: Header=BB117_2 Depth=1
	ds_load_u8 v64, v66 offset:1
	s_wait_dscnt 0x1
	v_mov_b32_e32 v63, v59
.LBB117_110:                            ;   in Loop: Header=BB117_2 Depth=1
	s_or_b32 exec_lo, exec_lo, s10
	v_add_nc_u32_e32 v67, 1, v65
	v_add_nc_u32_e32 v68, 1, v66
	s_wait_dscnt 0x0
	v_and_b32_e32 v70, 0xff, v63
	s_delay_alu instid0(VALU_DEP_3) | instskip(SKIP_2) | instid1(VALU_DEP_3)
	v_cndmask_b32_e64 v69, v67, v65, s9
	v_and_b32_e32 v67, 0xff, v64
	v_cndmask_b32_e64 v68, v66, v68, s9
	v_cmp_ge_i32_e64 s10, v69, v24
	s_delay_alu instid0(VALU_DEP_3) | instskip(NEXT) | instid1(VALU_DEP_3)
	v_cmp_lt_u16_e64 s11, v67, v70
	v_cmp_lt_i32_e64 s12, v68, v25
                                        ; implicit-def: $vgpr67
	s_or_b32 s10, s10, s11
	s_wait_alu 0xfffe
	s_and_b32 s10, s12, s10
	s_wait_alu 0xfffe
	s_xor_b32 s11, s10, -1
	s_wait_alu 0xfffe
	s_and_saveexec_b32 s12, s11
	s_wait_alu 0xfffe
	s_xor_b32 s11, exec_lo, s12
; %bb.111:                              ;   in Loop: Header=BB117_2 Depth=1
	ds_load_u8 v67, v69 offset:1
; %bb.112:                              ;   in Loop: Header=BB117_2 Depth=1
	s_wait_alu 0xfffe
	s_or_saveexec_b32 s11, s11
	v_mov_b32_e32 v70, v64
	s_wait_alu 0xfffe
	s_xor_b32 exec_lo, exec_lo, s11
	s_cbranch_execz .LBB117_114
; %bb.113:                              ;   in Loop: Header=BB117_2 Depth=1
	ds_load_u8 v70, v68 offset:1
	s_wait_dscnt 0x1
	v_mov_b32_e32 v67, v63
.LBB117_114:                            ;   in Loop: Header=BB117_2 Depth=1
	s_or_b32 exec_lo, exec_lo, s11
	v_add_nc_u32_e32 v71, 1, v69
	v_add_nc_u32_e32 v72, 1, v68
	v_cndmask_b32_e64 v73, v69, v68, s10
	s_wait_dscnt 0x0
	v_and_b32_e32 v74, 0xff, v67
	v_and_b32_e32 v75, 0xff, v70
	v_cndmask_b32_e64 v69, v71, v69, s10
	v_cndmask_b32_e64 v65, v65, v66, s9
	;; [unrolled: 1-line block ×4, first 2 shown]
	v_cmp_lt_u16_e64 s11, v75, v74
	v_cmp_ge_i32_e64 s12, v69, v24
	s_wait_loadcnt 0x0
	v_cmp_lt_i32_e64 s13, v66, v25
	s_barrier_signal -1
	s_barrier_wait -1
	s_or_b32 s11, s12, s11
	global_inv scope:SCOPE_SE
	s_wait_alu 0xfffe
	s_and_b32 s11, s13, s11
	ds_store_b8 v1, v53
	ds_store_b8 v1, v55 offset:1
	ds_store_b8 v1, v56 offset:2
	;; [unrolled: 1-line block ×3, first 2 shown]
	s_wait_alu 0xfffe
	v_cndmask_b32_e64 v66, v69, v66, s11
	s_wait_loadcnt_dscnt 0x0
	s_barrier_signal -1
	s_barrier_wait -1
	global_inv scope:SCOPE_SE
	ds_load_u8 v53, v60
	ds_load_u8 v54, v66
	;; [unrolled: 1-line block ×4, first 2 shown]
	v_cndmask_b32_e64 v57, v57, v58, s8
	v_cndmask_b32_e64 v59, v59, v61, s9
	;; [unrolled: 1-line block ×4, first 2 shown]
	s_wait_loadcnt_dscnt 0x0
	s_barrier_signal -1
	s_barrier_wait -1
	global_inv scope:SCOPE_SE
	ds_store_b8 v1, v57
	ds_store_b8 v1, v59 offset:1
	ds_store_b8 v1, v60 offset:2
	;; [unrolled: 1-line block ×3, first 2 shown]
	v_mov_b32_e32 v57, v51
	s_wait_loadcnt_dscnt 0x0
	s_barrier_signal -1
	s_barrier_wait -1
	global_inv scope:SCOPE_SE
	s_and_saveexec_b32 s9, s7
	s_cbranch_execz .LBB117_118
; %bb.115:                              ;   in Loop: Header=BB117_2 Depth=1
	v_dual_mov_b32 v57, v51 :: v_dual_mov_b32 v58, v43
	s_mov_b32 s10, 0
.LBB117_116:                            ;   Parent Loop BB117_2 Depth=1
                                        ; =>  This Inner Loop Header: Depth=2
	s_delay_alu instid0(VALU_DEP_1) | instskip(NEXT) | instid1(VALU_DEP_1)
	v_sub_nc_u32_e32 v59, v58, v57
	v_lshrrev_b32_e32 v59, 1, v59
	s_delay_alu instid0(VALU_DEP_1) | instskip(NEXT) | instid1(VALU_DEP_1)
	v_add_nc_u32_e32 v59, v59, v57
	v_add_nc_u32_e32 v60, v9, v59
	v_xad_u32 v61, v59, -1, v35
	v_add_nc_u32_e32 v62, 1, v59
	ds_load_u8 v60, v60
	ds_load_u8 v61, v61
	s_wait_dscnt 0x0
	v_cmp_lt_u16_e64 s8, v61, v60
	s_wait_alu 0xf1ff
	s_delay_alu instid0(VALU_DEP_1) | instskip(SKIP_1) | instid1(VALU_DEP_1)
	v_cndmask_b32_e64 v58, v58, v59, s8
	v_cndmask_b32_e64 v57, v62, v57, s8
	v_cmp_ge_i32_e64 s8, v57, v58
	s_wait_alu 0xfffe
	s_or_b32 s10, s8, s10
	s_wait_alu 0xfffe
	s_and_not1_b32 exec_lo, exec_lo, s10
	s_cbranch_execnz .LBB117_116
; %bb.117:                              ;   in Loop: Header=BB117_2 Depth=1
	s_or_b32 exec_lo, exec_lo, s10
.LBB117_118:                            ;   in Loop: Header=BB117_2 Depth=1
	s_wait_alu 0xfffe
	s_or_b32 exec_lo, exec_lo, s9
	v_add_nc_u32_e32 v60, v57, v9
	v_sub_nc_u32_e32 v62, v35, v57
	ds_load_u8 v57, v60
	ds_load_u8 v58, v62
	v_cmp_le_i32_e64 s8, v26, v60
	v_cmp_gt_i32_e64 s10, v27, v62
	s_wait_dscnt 0x1
	v_and_b32_e32 v59, 0xff, v57
	s_wait_dscnt 0x0
	v_and_b32_e32 v61, 0xff, v58
	s_delay_alu instid0(VALU_DEP_1)
	v_cmp_lt_u16_e64 s9, v61, v59
                                        ; implicit-def: $vgpr59
	s_or_b32 s8, s8, s9
	s_wait_alu 0xfffe
	s_and_b32 s8, s10, s8
	s_wait_alu 0xfffe
	s_xor_b32 s9, s8, -1
	s_wait_alu 0xfffe
	s_and_saveexec_b32 s10, s9
	s_wait_alu 0xfffe
	s_xor_b32 s9, exec_lo, s10
; %bb.119:                              ;   in Loop: Header=BB117_2 Depth=1
	ds_load_u8 v59, v60 offset:1
; %bb.120:                              ;   in Loop: Header=BB117_2 Depth=1
	s_wait_alu 0xfffe
	s_or_saveexec_b32 s9, s9
	v_mov_b32_e32 v61, v58
	s_wait_alu 0xfffe
	s_xor_b32 exec_lo, exec_lo, s9
	s_cbranch_execz .LBB117_122
; %bb.121:                              ;   in Loop: Header=BB117_2 Depth=1
	ds_load_u8 v61, v62 offset:1
	s_wait_dscnt 0x1
	v_mov_b32_e32 v59, v57
.LBB117_122:                            ;   in Loop: Header=BB117_2 Depth=1
	s_or_b32 exec_lo, exec_lo, s9
	v_add_nc_u32_e32 v63, 1, v60
	v_add_nc_u32_e32 v64, 1, v62
	s_wait_dscnt 0x0
	v_and_b32_e32 v67, 0xff, v59
	s_delay_alu instid0(VALU_DEP_3) | instskip(SKIP_2) | instid1(VALU_DEP_3)
	v_cndmask_b32_e64 v65, v63, v60, s8
	v_and_b32_e32 v63, 0xff, v61
	v_cndmask_b32_e64 v66, v62, v64, s8
	v_cmp_ge_i32_e64 s9, v65, v26
	s_delay_alu instid0(VALU_DEP_3) | instskip(NEXT) | instid1(VALU_DEP_3)
	v_cmp_lt_u16_e64 s10, v63, v67
	v_cmp_lt_i32_e64 s11, v66, v27
                                        ; implicit-def: $vgpr63
	s_or_b32 s9, s9, s10
	s_wait_alu 0xfffe
	s_and_b32 s9, s11, s9
	s_wait_alu 0xfffe
	s_xor_b32 s10, s9, -1
	s_wait_alu 0xfffe
	s_and_saveexec_b32 s11, s10
	s_wait_alu 0xfffe
	s_xor_b32 s10, exec_lo, s11
; %bb.123:                              ;   in Loop: Header=BB117_2 Depth=1
	ds_load_u8 v63, v65 offset:1
; %bb.124:                              ;   in Loop: Header=BB117_2 Depth=1
	s_wait_alu 0xfffe
	s_or_saveexec_b32 s10, s10
	v_mov_b32_e32 v64, v61
	s_wait_alu 0xfffe
	s_xor_b32 exec_lo, exec_lo, s10
	s_cbranch_execz .LBB117_126
; %bb.125:                              ;   in Loop: Header=BB117_2 Depth=1
	ds_load_u8 v64, v66 offset:1
	s_wait_dscnt 0x1
	v_mov_b32_e32 v63, v59
.LBB117_126:                            ;   in Loop: Header=BB117_2 Depth=1
	s_or_b32 exec_lo, exec_lo, s10
	v_add_nc_u32_e32 v67, 1, v65
	v_add_nc_u32_e32 v68, 1, v66
	s_wait_dscnt 0x0
	v_and_b32_e32 v70, 0xff, v63
	s_delay_alu instid0(VALU_DEP_3) | instskip(SKIP_2) | instid1(VALU_DEP_3)
	v_cndmask_b32_e64 v69, v67, v65, s9
	v_and_b32_e32 v67, 0xff, v64
	v_cndmask_b32_e64 v68, v66, v68, s9
	v_cmp_ge_i32_e64 s10, v69, v26
	s_delay_alu instid0(VALU_DEP_3) | instskip(NEXT) | instid1(VALU_DEP_3)
	v_cmp_lt_u16_e64 s11, v67, v70
	v_cmp_lt_i32_e64 s12, v68, v27
                                        ; implicit-def: $vgpr67
	s_or_b32 s10, s10, s11
	s_wait_alu 0xfffe
	s_and_b32 s10, s12, s10
	s_wait_alu 0xfffe
	s_xor_b32 s11, s10, -1
	s_wait_alu 0xfffe
	s_and_saveexec_b32 s12, s11
	s_wait_alu 0xfffe
	s_xor_b32 s11, exec_lo, s12
; %bb.127:                              ;   in Loop: Header=BB117_2 Depth=1
	ds_load_u8 v67, v69 offset:1
; %bb.128:                              ;   in Loop: Header=BB117_2 Depth=1
	s_wait_alu 0xfffe
	s_or_saveexec_b32 s11, s11
	v_mov_b32_e32 v70, v64
	s_wait_alu 0xfffe
	s_xor_b32 exec_lo, exec_lo, s11
	s_cbranch_execz .LBB117_130
; %bb.129:                              ;   in Loop: Header=BB117_2 Depth=1
	ds_load_u8 v70, v68 offset:1
	s_wait_dscnt 0x1
	v_mov_b32_e32 v67, v63
.LBB117_130:                            ;   in Loop: Header=BB117_2 Depth=1
	s_or_b32 exec_lo, exec_lo, s11
	v_add_nc_u32_e32 v71, 1, v69
	v_add_nc_u32_e32 v72, 1, v68
	v_cndmask_b32_e64 v73, v69, v68, s10
	s_wait_dscnt 0x0
	v_and_b32_e32 v74, 0xff, v67
	v_and_b32_e32 v75, 0xff, v70
	v_cndmask_b32_e64 v69, v71, v69, s10
	v_cndmask_b32_e64 v65, v65, v66, s9
	;; [unrolled: 1-line block ×4, first 2 shown]
	v_cmp_lt_u16_e64 s11, v75, v74
	v_cmp_ge_i32_e64 s12, v69, v26
	s_wait_loadcnt 0x0
	v_cmp_lt_i32_e64 s13, v66, v27
	s_barrier_signal -1
	s_barrier_wait -1
	s_or_b32 s11, s12, s11
	global_inv scope:SCOPE_SE
	s_wait_alu 0xfffe
	s_and_b32 s11, s13, s11
	ds_store_b8 v1, v53
	ds_store_b8 v1, v55 offset:1
	ds_store_b8 v1, v56 offset:2
	;; [unrolled: 1-line block ×3, first 2 shown]
	s_wait_alu 0xfffe
	v_cndmask_b32_e64 v66, v69, v66, s11
	s_wait_loadcnt_dscnt 0x0
	s_barrier_signal -1
	s_barrier_wait -1
	global_inv scope:SCOPE_SE
	ds_load_u8 v53, v60
	ds_load_u8 v54, v66
	;; [unrolled: 1-line block ×4, first 2 shown]
	v_cndmask_b32_e64 v57, v57, v58, s8
	v_cndmask_b32_e64 v59, v59, v61, s9
	;; [unrolled: 1-line block ×4, first 2 shown]
	s_wait_loadcnt_dscnt 0x0
	s_barrier_signal -1
	s_barrier_wait -1
	global_inv scope:SCOPE_SE
	ds_store_b8 v1, v57
	ds_store_b8 v1, v59 offset:1
	ds_store_b8 v1, v60 offset:2
	;; [unrolled: 1-line block ×3, first 2 shown]
	v_mov_b32_e32 v57, v10
	s_wait_loadcnt_dscnt 0x0
	s_barrier_signal -1
	s_barrier_wait -1
	global_inv scope:SCOPE_SE
	s_and_saveexec_b32 s9, vcc_lo
	s_cbranch_execz .LBB117_134
; %bb.131:                              ;   in Loop: Header=BB117_2 Depth=1
	v_dual_mov_b32 v57, v10 :: v_dual_mov_b32 v58, v11
	s_mov_b32 s10, 0
.LBB117_132:                            ;   Parent Loop BB117_2 Depth=1
                                        ; =>  This Inner Loop Header: Depth=2
	s_delay_alu instid0(VALU_DEP_1) | instskip(NEXT) | instid1(VALU_DEP_1)
	v_sub_nc_u32_e32 v59, v58, v57
	v_lshrrev_b32_e32 v59, 1, v59
	s_delay_alu instid0(VALU_DEP_1) | instskip(NEXT) | instid1(VALU_DEP_1)
	v_add_nc_u32_e32 v59, v59, v57
	v_xad_u32 v60, v59, -1, v52
	v_add_nc_u32_e32 v62, 1, v59
	ds_load_u8 v61, v59
	ds_load_u8 v60, v60
	s_wait_dscnt 0x0
	v_cmp_lt_u16_e64 s8, v60, v61
	s_wait_alu 0xf1ff
	s_delay_alu instid0(VALU_DEP_1) | instskip(SKIP_1) | instid1(VALU_DEP_1)
	v_cndmask_b32_e64 v58, v58, v59, s8
	v_cndmask_b32_e64 v57, v62, v57, s8
	v_cmp_ge_i32_e64 s8, v57, v58
	s_wait_alu 0xfffe
	s_or_b32 s10, s8, s10
	s_wait_alu 0xfffe
	s_and_not1_b32 exec_lo, exec_lo, s10
	s_cbranch_execnz .LBB117_132
; %bb.133:                              ;   in Loop: Header=BB117_2 Depth=1
	s_or_b32 exec_lo, exec_lo, s10
.LBB117_134:                            ;   in Loop: Header=BB117_2 Depth=1
	s_wait_alu 0xfffe
	s_or_b32 exec_lo, exec_lo, s9
	v_sub_nc_u32_e32 v62, v52, v57
	v_cmp_le_i32_e64 s8, 0x400, v57
	ds_load_u8 v58, v57
	ds_load_u8 v59, v62
	v_cmp_gt_i32_e64 s10, 0x800, v62
	s_wait_dscnt 0x1
	v_and_b32_e32 v60, 0xff, v58
	s_wait_dscnt 0x0
	v_and_b32_e32 v61, 0xff, v59
	s_delay_alu instid0(VALU_DEP_1)
	v_cmp_lt_u16_e64 s9, v61, v60
                                        ; implicit-def: $vgpr60
	s_or_b32 s8, s8, s9
	s_wait_alu 0xfffe
	s_and_b32 s8, s10, s8
	s_wait_alu 0xfffe
	s_xor_b32 s9, s8, -1
	s_wait_alu 0xfffe
	s_and_saveexec_b32 s10, s9
	s_wait_alu 0xfffe
	s_xor_b32 s9, exec_lo, s10
; %bb.135:                              ;   in Loop: Header=BB117_2 Depth=1
	ds_load_u8 v60, v57 offset:1
; %bb.136:                              ;   in Loop: Header=BB117_2 Depth=1
	s_wait_alu 0xfffe
	s_or_saveexec_b32 s9, s9
	v_mov_b32_e32 v61, v59
	s_wait_alu 0xfffe
	s_xor_b32 exec_lo, exec_lo, s9
	s_cbranch_execz .LBB117_138
; %bb.137:                              ;   in Loop: Header=BB117_2 Depth=1
	ds_load_u8 v61, v62 offset:1
	s_wait_dscnt 0x1
	v_mov_b32_e32 v60, v58
.LBB117_138:                            ;   in Loop: Header=BB117_2 Depth=1
	s_or_b32 exec_lo, exec_lo, s9
	v_add_nc_u32_e32 v63, 1, v57
	v_add_nc_u32_e32 v64, 1, v62
	s_wait_dscnt 0x0
	v_and_b32_e32 v67, 0xff, v60
	s_delay_alu instid0(VALU_DEP_3) | instskip(SKIP_2) | instid1(VALU_DEP_3)
	v_cndmask_b32_e64 v65, v63, v57, s8
	v_and_b32_e32 v63, 0xff, v61
	v_cndmask_b32_e64 v66, v62, v64, s8
	v_cmp_le_i32_e64 s9, 0x400, v65
	s_delay_alu instid0(VALU_DEP_3) | instskip(NEXT) | instid1(VALU_DEP_3)
	v_cmp_lt_u16_e64 s10, v63, v67
	v_cmp_gt_i32_e64 s11, 0x800, v66
                                        ; implicit-def: $vgpr63
	s_or_b32 s9, s9, s10
	s_wait_alu 0xfffe
	s_and_b32 s9, s11, s9
	s_wait_alu 0xfffe
	s_xor_b32 s10, s9, -1
	s_wait_alu 0xfffe
	s_and_saveexec_b32 s11, s10
	s_wait_alu 0xfffe
	s_xor_b32 s10, exec_lo, s11
; %bb.139:                              ;   in Loop: Header=BB117_2 Depth=1
	ds_load_u8 v63, v65 offset:1
; %bb.140:                              ;   in Loop: Header=BB117_2 Depth=1
	s_wait_alu 0xfffe
	s_or_saveexec_b32 s10, s10
	v_mov_b32_e32 v64, v61
	s_wait_alu 0xfffe
	s_xor_b32 exec_lo, exec_lo, s10
	s_cbranch_execz .LBB117_142
; %bb.141:                              ;   in Loop: Header=BB117_2 Depth=1
	ds_load_u8 v64, v66 offset:1
	s_wait_dscnt 0x1
	v_mov_b32_e32 v63, v60
.LBB117_142:                            ;   in Loop: Header=BB117_2 Depth=1
	s_or_b32 exec_lo, exec_lo, s10
	v_add_nc_u32_e32 v67, 1, v65
	v_add_nc_u32_e32 v68, 1, v66
	s_wait_dscnt 0x0
	v_and_b32_e32 v69, 0xff, v63
	v_and_b32_e32 v70, 0xff, v64
	v_cndmask_b32_e64 v72, v67, v65, s9
	v_cndmask_b32_e64 v67, v66, v68, s9
                                        ; implicit-def: $vgpr68
	s_delay_alu instid0(VALU_DEP_3) | instskip(NEXT) | instid1(VALU_DEP_3)
	v_cmp_lt_u16_e64 s11, v70, v69
                                        ; implicit-def: $vgpr69
	v_cmp_le_i32_e64 s10, 0x400, v72
	s_delay_alu instid0(VALU_DEP_3)
	v_cmp_gt_i32_e64 s12, 0x800, v67
	s_or_b32 s10, s10, s11
	s_wait_alu 0xfffe
	s_and_b32 s10, s12, s10
	s_wait_alu 0xfffe
	s_xor_b32 s11, s10, -1
	s_wait_alu 0xfffe
	s_and_saveexec_b32 s12, s11
	s_wait_alu 0xfffe
	s_xor_b32 s11, exec_lo, s12
; %bb.143:                              ;   in Loop: Header=BB117_2 Depth=1
	ds_load_u8 v69, v72 offset:1
	v_add_nc_u32_e32 v68, 1, v72
; %bb.144:                              ;   in Loop: Header=BB117_2 Depth=1
	s_wait_alu 0xfffe
	s_or_saveexec_b32 s11, s11
	v_dual_mov_b32 v70, v72 :: v_dual_mov_b32 v71, v64
	s_wait_alu 0xfffe
	s_xor_b32 exec_lo, exec_lo, s11
	s_cbranch_execz .LBB117_1
; %bb.145:                              ;   in Loop: Header=BB117_2 Depth=1
	ds_load_u8 v71, v67 offset:1
	s_wait_dscnt 0x1
	v_dual_mov_b32 v70, v67 :: v_dual_add_nc_u32 v69, 1, v67
	s_delay_alu instid0(VALU_DEP_1)
	v_dual_mov_b32 v68, v72 :: v_dual_mov_b32 v67, v69
	v_mov_b32_e32 v69, v63
	s_branch .LBB117_1
.LBB117_146:
	s_add_nc_u64 s[0:1], s[22:23], s[24:25]
	s_wait_dscnt 0x3
	v_add_nc_u16 v2, v59, v56
	s_wait_alu 0xfffe
	v_add_co_u32 v0, s0, s0, v0
	s_wait_alu 0xf1ff
	v_add_co_ci_u32_e64 v1, null, s1, 0, s0
	s_wait_dscnt 0x0
	v_add_nc_u16 v3, v58, v55
	v_add_nc_u16 v4, v60, v53
	;; [unrolled: 1-line block ×3, first 2 shown]
	s_clause 0x3
	global_store_b8 v[0:1], v2, off
	global_store_b8 v[0:1], v3, off offset:512
	global_store_b8 v[0:1], v4, off offset:1024
	;; [unrolled: 1-line block ×3, first 2 shown]
	s_endpgm
	.section	.rodata,"a",@progbits
	.p2align	6, 0x0
	.amdhsa_kernel _Z17sort_pairs_kernelIhLj512ELj4EN10test_utils4lessELj10EEvPKT_PS2_T2_
		.amdhsa_group_segment_fixed_size 2049
		.amdhsa_private_segment_fixed_size 0
		.amdhsa_kernarg_size 20
		.amdhsa_user_sgpr_count 2
		.amdhsa_user_sgpr_dispatch_ptr 0
		.amdhsa_user_sgpr_queue_ptr 0
		.amdhsa_user_sgpr_kernarg_segment_ptr 1
		.amdhsa_user_sgpr_dispatch_id 0
		.amdhsa_user_sgpr_private_segment_size 0
		.amdhsa_wavefront_size32 1
		.amdhsa_uses_dynamic_stack 0
		.amdhsa_enable_private_segment 0
		.amdhsa_system_sgpr_workgroup_id_x 1
		.amdhsa_system_sgpr_workgroup_id_y 0
		.amdhsa_system_sgpr_workgroup_id_z 0
		.amdhsa_system_sgpr_workgroup_info 0
		.amdhsa_system_vgpr_workitem_id 0
		.amdhsa_next_free_vgpr 76
		.amdhsa_next_free_sgpr 26
		.amdhsa_reserve_vcc 1
		.amdhsa_float_round_mode_32 0
		.amdhsa_float_round_mode_16_64 0
		.amdhsa_float_denorm_mode_32 3
		.amdhsa_float_denorm_mode_16_64 3
		.amdhsa_fp16_overflow 0
		.amdhsa_workgroup_processor_mode 1
		.amdhsa_memory_ordered 1
		.amdhsa_forward_progress 1
		.amdhsa_inst_pref_size 83
		.amdhsa_round_robin_scheduling 0
		.amdhsa_exception_fp_ieee_invalid_op 0
		.amdhsa_exception_fp_denorm_src 0
		.amdhsa_exception_fp_ieee_div_zero 0
		.amdhsa_exception_fp_ieee_overflow 0
		.amdhsa_exception_fp_ieee_underflow 0
		.amdhsa_exception_fp_ieee_inexact 0
		.amdhsa_exception_int_div_zero 0
	.end_amdhsa_kernel
	.section	.text._Z17sort_pairs_kernelIhLj512ELj4EN10test_utils4lessELj10EEvPKT_PS2_T2_,"axG",@progbits,_Z17sort_pairs_kernelIhLj512ELj4EN10test_utils4lessELj10EEvPKT_PS2_T2_,comdat
.Lfunc_end117:
	.size	_Z17sort_pairs_kernelIhLj512ELj4EN10test_utils4lessELj10EEvPKT_PS2_T2_, .Lfunc_end117-_Z17sort_pairs_kernelIhLj512ELj4EN10test_utils4lessELj10EEvPKT_PS2_T2_
                                        ; -- End function
	.set _Z17sort_pairs_kernelIhLj512ELj4EN10test_utils4lessELj10EEvPKT_PS2_T2_.num_vgpr, 76
	.set _Z17sort_pairs_kernelIhLj512ELj4EN10test_utils4lessELj10EEvPKT_PS2_T2_.num_agpr, 0
	.set _Z17sort_pairs_kernelIhLj512ELj4EN10test_utils4lessELj10EEvPKT_PS2_T2_.numbered_sgpr, 26
	.set _Z17sort_pairs_kernelIhLj512ELj4EN10test_utils4lessELj10EEvPKT_PS2_T2_.num_named_barrier, 0
	.set _Z17sort_pairs_kernelIhLj512ELj4EN10test_utils4lessELj10EEvPKT_PS2_T2_.private_seg_size, 0
	.set _Z17sort_pairs_kernelIhLj512ELj4EN10test_utils4lessELj10EEvPKT_PS2_T2_.uses_vcc, 1
	.set _Z17sort_pairs_kernelIhLj512ELj4EN10test_utils4lessELj10EEvPKT_PS2_T2_.uses_flat_scratch, 0
	.set _Z17sort_pairs_kernelIhLj512ELj4EN10test_utils4lessELj10EEvPKT_PS2_T2_.has_dyn_sized_stack, 0
	.set _Z17sort_pairs_kernelIhLj512ELj4EN10test_utils4lessELj10EEvPKT_PS2_T2_.has_recursion, 0
	.set _Z17sort_pairs_kernelIhLj512ELj4EN10test_utils4lessELj10EEvPKT_PS2_T2_.has_indirect_call, 0
	.section	.AMDGPU.csdata,"",@progbits
; Kernel info:
; codeLenInByte = 10524
; TotalNumSgprs: 28
; NumVgprs: 76
; ScratchSize: 0
; MemoryBound: 0
; FloatMode: 240
; IeeeMode: 1
; LDSByteSize: 2049 bytes/workgroup (compile time only)
; SGPRBlocks: 0
; VGPRBlocks: 9
; NumSGPRsForWavesPerEU: 28
; NumVGPRsForWavesPerEU: 76
; Occupancy: 16
; WaveLimiterHint : 1
; COMPUTE_PGM_RSRC2:SCRATCH_EN: 0
; COMPUTE_PGM_RSRC2:USER_SGPR: 2
; COMPUTE_PGM_RSRC2:TRAP_HANDLER: 0
; COMPUTE_PGM_RSRC2:TGID_X_EN: 1
; COMPUTE_PGM_RSRC2:TGID_Y_EN: 0
; COMPUTE_PGM_RSRC2:TGID_Z_EN: 0
; COMPUTE_PGM_RSRC2:TIDIG_COMP_CNT: 0
	.section	.text._Z16sort_keys_kernelIhLj512ELj8EN10test_utils4lessELj10EEvPKT_PS2_T2_,"axG",@progbits,_Z16sort_keys_kernelIhLj512ELj8EN10test_utils4lessELj10EEvPKT_PS2_T2_,comdat
	.protected	_Z16sort_keys_kernelIhLj512ELj8EN10test_utils4lessELj10EEvPKT_PS2_T2_ ; -- Begin function _Z16sort_keys_kernelIhLj512ELj8EN10test_utils4lessELj10EEvPKT_PS2_T2_
	.globl	_Z16sort_keys_kernelIhLj512ELj8EN10test_utils4lessELj10EEvPKT_PS2_T2_
	.p2align	8
	.type	_Z16sort_keys_kernelIhLj512ELj8EN10test_utils4lessELj10EEvPKT_PS2_T2_,@function
_Z16sort_keys_kernelIhLj512ELj8EN10test_utils4lessELj10EEvPKT_PS2_T2_: ; @_Z16sort_keys_kernelIhLj512ELj8EN10test_utils4lessELj10EEvPKT_PS2_T2_
; %bb.0:
	s_load_b128 s[16:19], s[0:1], 0x0
	s_lshl_b32 s20, ttmp9, 12
	s_mov_b32 s21, 0
	v_lshlrev_b32_e32 v1, 3, v0
	s_delay_alu instid0(VALU_DEP_1)
	v_and_b32_e32 v2, 0xff0, v1
	v_and_b32_e32 v3, 0xfe0, v1
	;; [unrolled: 1-line block ×5, first 2 shown]
	v_or_b32_e32 v13, 8, v2
	v_add_nc_u32_e32 v14, 16, v2
	v_or_b32_e32 v15, 16, v3
	v_add_nc_u32_e32 v16, 32, v3
	v_and_b32_e32 v5, 0xf80, v1
	v_or_b32_e32 v17, 32, v4
	v_sub_nc_u32_e32 v61, v14, v13
	s_wait_kmcnt 0x0
	s_add_nc_u64 s[0:1], s[16:17], s[20:21]
	v_add_nc_u32_e32 v18, 64, v4
	s_clause 0x7
	global_load_u8 v53, v0, s[0:1] offset:512
	global_load_u8 v54, v0, s[0:1] offset:3072
	;; [unrolled: 1-line block ×4, first 2 shown]
	global_load_u8 v57, v0, s[0:1]
	global_load_u8 v58, v0, s[0:1] offset:1536
	global_load_u8 v59, v0, s[0:1] offset:2560
	;; [unrolled: 1-line block ×3, first 2 shown]
	v_sub_nc_u32_e32 v37, v13, v2
	v_sub_nc_u32_e32 v62, v16, v15
	;; [unrolled: 1-line block ×3, first 2 shown]
	v_cmp_ge_i32_e64 s0, v45, v61
	v_and_b32_e32 v47, 56, v1
	v_and_b32_e32 v6, 0xf00, v1
	v_or_b32_e32 v19, 64, v5
	v_add_nc_u32_e32 v20, 0x80, v5
	v_add_nc_u32_e32 v29, v13, v45
	v_sub_nc_u32_e32 v38, v15, v3
	v_sub_nc_u32_e32 v63, v18, v17
	v_min_i32_e32 v37, v45, v37
	v_sub_nc_u32_e32 v70, v46, v62
	v_cndmask_b32_e64 v45, 0, v69, s0
	v_cmp_ge_i32_e64 s0, v46, v62
	v_and_b32_e32 v48, 0x78, v1
	v_and_b32_e32 v7, 0xe00, v1
	v_or_b32_e32 v21, 0x80, v6
	v_add_nc_u32_e32 v22, 0x100, v6
	v_add_nc_u32_e32 v30, v15, v46
	v_sub_nc_u32_e32 v39, v17, v4
	v_sub_nc_u32_e32 v64, v20, v19
	v_min_i32_e32 v38, v46, v38
	v_sub_nc_u32_e32 v71, v47, v63
	s_wait_alu 0xf1ff
	v_cndmask_b32_e64 v46, 0, v70, s0
	v_cmp_ge_i32_e64 s0, v47, v63
	v_and_b32_e32 v49, 0xf8, v1
	v_and_b32_e32 v8, 0xc00, v1
	v_or_b32_e32 v23, 0x100, v7
	v_add_nc_u32_e32 v24, 0x200, v7
	v_add_nc_u32_e32 v31, v17, v47
	v_sub_nc_u32_e32 v40, v19, v5
	v_sub_nc_u32_e32 v65, v22, v21
	v_min_i32_e32 v39, v47, v39
	v_sub_nc_u32_e32 v72, v48, v64
	s_wait_alu 0xf1ff
	;; [unrolled: 12-line block ×3, first 2 shown]
	v_cndmask_b32_e64 v48, 0, v72, s0
	v_cmp_ge_i32_e64 s0, v49, v65
	v_and_b32_e32 v51, 0x3f8, v1
	v_or_b32_e32 v27, 0x400, v9
	v_add_nc_u32_e32 v28, 0x800, v9
	v_add_nc_u32_e32 v33, v21, v49
	v_sub_nc_u32_e32 v42, v23, v7
	v_sub_nc_u32_e32 v67, v26, v25
	v_min_i32_e32 v41, v49, v41
	v_sub_nc_u32_e32 v74, v50, v66
	s_wait_alu 0xf1ff
	v_cndmask_b32_e64 v49, 0, v73, s0
	v_cmp_ge_i32_e64 s0, v50, v66
	v_and_b32_e32 v52, 0x7f8, v1
	v_add_nc_u32_e32 v34, v23, v50
	v_sub_nc_u32_e32 v43, v25, v8
	v_sub_nc_u32_e32 v68, v28, v27
	v_min_i32_e32 v42, v50, v42
	v_sub_nc_u32_e32 v75, v51, v67
	s_wait_alu 0xf1ff
	v_cndmask_b32_e64 v50, 0, v74, s0
	v_cmp_ge_i32_e64 s0, v51, v67
	v_add_nc_u32_e32 v35, v25, v51
	v_sub_nc_u32_e32 v44, v27, v9
	v_min_i32_e32 v43, v51, v43
	v_sub_nc_u32_e32 v76, v52, v68
	s_wait_alu 0xf1ff
	v_cndmask_b32_e64 v51, 0, v75, s0
	v_cmp_ge_i32_e64 s0, v52, v68
	v_add_nc_u32_e32 v36, v27, v52
	v_min_i32_e32 v44, v52, v44
	v_subrev_nc_u32_e64 v10, 0x800, v1 clamp
	v_min_i32_e32 v11, 0x800, v1
	s_wait_alu 0xf1ff
	v_cndmask_b32_e64 v52, 0, v76, s0
	v_add_nc_u32_e32 v12, 0x800, v1
	v_cmp_lt_i32_e64 s0, v45, v37
	v_cmp_lt_i32_e64 s1, v46, v38
	;; [unrolled: 1-line block ×8, first 2 shown]
	s_mov_b32 s17, s21
	v_cmp_lt_i32_e32 vcc_lo, v10, v11
	s_wait_loadcnt 0x3
	v_perm_b32 v53, v57, v53, 0xc0c0004
	s_wait_loadcnt 0x2
	v_perm_b32 v56, v56, v58, 0xc0c0004
	;; [unrolled: 2-line block ×4, first 2 shown]
	v_lshl_or_b32 v62, v56, 16, v53
	s_delay_alu instid0(VALU_DEP_2)
	v_lshl_or_b32 v53, v54, 16, v55
	s_branch .LBB118_2
.LBB118_1:                              ;   in Loop: Header=BB118_2 Depth=1
	s_or_b32 exec_lo, exec_lo, s15
	s_wait_dscnt 0x0
	v_and_b32_e32 v71, 0xff, v68
	v_and_b32_e32 v72, 0xff, v70
	v_cndmask_b32_e64 v54, v53, v54, s8
	v_cndmask_b32_e64 v55, v55, v56, s9
	v_cmp_le_i32_e64 s8, 0x800, v69
	v_cndmask_b32_e64 v56, v57, v58, s10
	v_cmp_lt_u16_e64 s9, v72, v71
	v_cmp_gt_i32_e64 s10, 0x1000, v67
	v_cndmask_b32_e64 v57, v59, v60, s11
	v_cndmask_b32_e64 v58, v61, v62, s12
	;; [unrolled: 1-line block ×3, first 2 shown]
	s_or_b32 s8, s8, s9
	v_cndmask_b32_e64 v60, v65, v66, s14
	s_wait_alu 0xfffe
	s_and_b32 s8, s10, s8
	v_lshlrev_b16 v53, 8, v55
	s_wait_alu 0xfffe
	v_cndmask_b32_e64 v61, v68, v70, s8
	v_and_b32_e32 v62, 0xff, v54
	v_lshlrev_b16 v63, 8, v57
	v_and_b32_e32 v64, 0xff, v56
	v_lshlrev_b16 v65, 8, v59
	v_and_b32_e32 v66, 0xff, v58
	v_and_b32_e32 v67, 0xff, v60
	v_lshlrev_b16 v68, 8, v61
	v_or_b32_e32 v53, v62, v53
	v_or_b32_e32 v62, v64, v63
	;; [unrolled: 1-line block ×3, first 2 shown]
	s_add_co_i32 s17, s17, 1
	v_or_b32_e32 v64, v67, v68
	v_and_b32_e32 v53, 0xffff, v53
	v_lshlrev_b32_e32 v62, 16, v62
	v_and_b32_e32 v63, 0xffff, v63
	s_cmp_eq_u32 s17, 10
	v_lshlrev_b32_e32 v64, 16, v64
	s_delay_alu instid0(VALU_DEP_3) | instskip(NEXT) | instid1(VALU_DEP_2)
	v_or_b32_e32 v62, v53, v62
	v_or_b32_e32 v53, v63, v64
	s_cbranch_scc1 .LBB118_290
.LBB118_2:                              ; =>This Loop Header: Depth=1
                                        ;     Child Loop BB118_4 Depth 2
                                        ;     Child Loop BB118_36 Depth 2
	;; [unrolled: 1-line block ×9, first 2 shown]
	s_delay_alu instid0(VALU_DEP_2) | instskip(SKIP_3) | instid1(VALU_DEP_4)
	v_lshrrev_b32_e32 v54, 8, v62
	v_and_b32_e32 v55, 0xff, v62
	v_perm_b32 v56, v62, v62, 0x7060405
	v_and_b32_e32 v64, 0xff, v53
	v_and_b32_e32 v54, 0xff, v54
	s_barrier_signal -1
	s_barrier_wait -1
	global_inv scope:SCOPE_SE
	v_cmp_lt_u16_e64 s8, v54, v55
	v_max_u16 v61, v54, v55
	v_min_u16 v54, v54, v55
	s_wait_alu 0xf1ff
	s_delay_alu instid0(VALU_DEP_3) | instskip(NEXT) | instid1(VALU_DEP_1)
	v_cndmask_b32_e64 v56, v62, v56, s8
	v_lshrrev_b32_e32 v57, 16, v56
	v_lshrrev_b32_e32 v59, 24, v56
	s_delay_alu instid0(VALU_DEP_2) | instskip(SKIP_1) | instid1(VALU_DEP_2)
	v_perm_b32 v58, 0, v57, 0xc0c0001
	v_and_b32_e32 v57, 0xff, v57
	v_lshlrev_b32_e32 v58, 16, v58
	s_delay_alu instid0(VALU_DEP_2) | instskip(NEXT) | instid1(VALU_DEP_2)
	v_cmp_lt_u16_e64 s8, v59, v57
	v_and_or_b32 v58, 0xffff, v56, v58
	s_wait_alu 0xf1ff
	s_delay_alu instid0(VALU_DEP_1) | instskip(SKIP_2) | instid1(VALU_DEP_3)
	v_cndmask_b32_e64 v56, v56, v58, s8
	v_min_u16 v58, v59, v57
	v_max_u16 v57, v59, v57
	v_lshrrev_b32_e32 v60, 16, v56
	s_delay_alu instid0(VALU_DEP_3) | instskip(SKIP_4) | instid1(VALU_DEP_4)
	v_lshlrev_b16 v62, 8, v58
	v_and_b32_e32 v63, 0xff, v56
	v_cmp_lt_u16_e64 s8, v58, v61
	v_cmp_lt_u16_e64 s9, v58, v54
	v_and_b32_e32 v60, 0xffffff00, v60
	v_or_b32_e32 v62, v63, v62
	v_lshrrev_b32_e32 v63, 8, v53
	s_delay_alu instid0(VALU_DEP_3) | instskip(NEXT) | instid1(VALU_DEP_3)
	v_or_b32_e32 v60, v61, v60
	v_and_b32_e32 v62, 0xffff, v62
	s_delay_alu instid0(VALU_DEP_2) | instskip(NEXT) | instid1(VALU_DEP_1)
	v_lshlrev_b32_e32 v60, 16, v60
	v_or_b32_e32 v60, v62, v60
	v_and_b32_e32 v62, 0xff, v63
	v_perm_b32 v63, v53, v53, 0x7060405
	s_wait_alu 0xf1ff
	s_delay_alu instid0(VALU_DEP_3) | instskip(NEXT) | instid1(VALU_DEP_3)
	v_cndmask_b32_e64 v56, v56, v60, s8
	v_cmp_lt_u16_e64 s8, v62, v64
	v_min_u16 v60, v62, v64
	s_wait_alu 0xf1ff
	s_delay_alu instid0(VALU_DEP_2) | instskip(SKIP_1) | instid1(VALU_DEP_3)
	v_cndmask_b32_e64 v53, v53, v63, s8
	v_lshrrev_b32_e32 v63, 16, v56
	v_lshlrev_b16 v67, 8, v60
	s_delay_alu instid0(VALU_DEP_3) | instskip(SKIP_1) | instid1(VALU_DEP_4)
	v_lshrrev_b32_e32 v65, 16, v53
	v_lshrrev_b32_e32 v66, 24, v53
	v_and_b32_e32 v63, 0xff, v63
	v_perm_b32 v68, v53, v53, 0x6070504
	s_delay_alu instid0(VALU_DEP_4) | instskip(NEXT) | instid1(VALU_DEP_3)
	v_and_b32_e32 v65, 0xff, v65
	v_or_b32_e32 v55, v63, v67
	v_lshlrev_b16 v63, 8, v54
	v_min_u16 v67, v58, v61
	s_delay_alu instid0(VALU_DEP_4) | instskip(SKIP_2) | instid1(VALU_DEP_4)
	v_cmp_lt_u16_e64 s8, v66, v65
	v_max_u16 v61, v58, v61
	v_lshlrev_b32_e32 v55, 16, v55
	v_or_b32_e32 v63, v67, v63
	s_wait_alu 0xf1ff
	v_cndmask_b32_e64 v53, v53, v68, s8
	v_cmp_lt_u16_e64 s8, v60, v57
	v_and_or_b32 v55, 0xffff, v56, v55
	v_min_u16 v68, v60, v57
	v_lshlrev_b16 v69, 8, v61
	v_and_b32_e32 v59, 0xffffff00, v53
	v_and_b32_e32 v63, 0xffff, v63
	s_wait_alu 0xf1ff
	v_cndmask_b32_e64 v55, v56, v55, s8
	v_max_u16 v56, v62, v64
	v_or_b32_e32 v62, v68, v69
	v_or_b32_e32 v59, v57, v59
	v_max_u16 v57, v60, v57
	v_and_or_b32 v63, 0xffff0000, v55, v63
	v_max_u16 v64, v66, v65
	v_lshlrev_b32_e32 v62, 16, v62
	v_and_b32_e32 v59, 0xffff, v59
	v_min_u16 v65, v66, v65
	v_cndmask_b32_e64 v55, v55, v63, s9
	v_min_u16 v66, v68, v61
	v_lshlrev_b16 v69, 8, v57
	v_and_or_b32 v59, 0xffff0000, v53, v59
	v_lshlrev_b16 v58, 8, v65
	v_and_or_b32 v60, 0xffff, v55, v62
	v_min_u16 v62, v65, v56
	v_lshlrev_b16 v70, 8, v66
	v_cndmask_b32_e64 v53, v53, v59, s8
	v_cmp_lt_u16_e64 s8, v68, v61
	v_max_u16 v59, v65, v56
	v_or_b32_e32 v69, v62, v69
	v_max_u16 v61, v68, v61
	v_lshrrev_b32_e32 v63, 16, v53
	s_wait_alu 0xf1ff
	v_cndmask_b32_e64 v55, v55, v60, s8
	v_and_b32_e32 v60, 0xff, v53
	v_cmp_lt_u16_e64 s8, v65, v56
	v_and_b32_e32 v63, 0xffffff00, v63
	s_delay_alu instid0(VALU_DEP_4) | instskip(NEXT) | instid1(VALU_DEP_4)
	v_lshrrev_b32_e32 v71, 16, v55
	v_or_b32_e32 v58, v60, v58
	v_and_b32_e32 v72, 0xff, v55
	s_delay_alu instid0(VALU_DEP_4)
	v_or_b32_e32 v60, v56, v63
	v_cndmask_b32_e64 v63, v67, v54, s9
	v_and_b32_e32 v71, 0xffffff00, v71
	v_and_b32_e32 v58, 0xffff, v58
	v_or_b32_e32 v70, v72, v70
	v_lshlrev_b32_e32 v60, 16, v60
	v_lshlrev_b16 v72, 8, v59
	v_or_b32_e32 v71, v63, v71
	v_cndmask_b32_e64 v54, v54, v67, s9
	s_delay_alu instid0(VALU_DEP_4)
	v_or_b32_e32 v58, v58, v60
	v_and_b32_e32 v60, 0xffff, v69
	v_and_b32_e32 v69, 0xffff, v70
	v_lshlrev_b32_e32 v70, 16, v71
	s_wait_alu 0xf1ff
	v_cndmask_b32_e64 v53, v53, v58, s8
	v_cmp_lt_u16_e64 s8, v66, v63
	v_or_b32_e32 v58, v64, v72
	v_or_b32_e32 v65, v69, v70
	s_delay_alu instid0(VALU_DEP_4) | instskip(NEXT) | instid1(VALU_DEP_3)
	v_and_or_b32 v60, 0xffff0000, v53, v60
	v_lshlrev_b32_e32 v58, 16, v58
	s_wait_alu 0xf1ff
	s_delay_alu instid0(VALU_DEP_3) | instskip(SKIP_1) | instid1(VALU_DEP_2)
	v_cndmask_b32_e64 v55, v55, v65, s8
	v_cmp_lt_u16_e64 s8, v62, v57
	v_lshrrev_b32_e32 v65, 16, v55
	s_wait_alu 0xf1ff
	s_delay_alu instid0(VALU_DEP_2)
	v_cndmask_b32_e64 v53, v53, v60, s8
	v_min_u16 v60, v62, v57
	v_cmp_gt_u16_e64 s8, v56, v64
	v_max_u16 v56, v62, v57
	v_and_b32_e32 v65, 0xff, v65
	v_and_or_b32 v58, 0xffff, v53, v58
	v_lshlrev_b16 v68, 8, v60
	v_cmp_lt_u16_e64 s9, v60, v61
	v_max_u16 v67, v60, v61
	s_wait_alu 0xf1ff
	v_cndmask_b32_e64 v53, v53, v58, s8
	v_or_b32_e32 v57, v65, v68
	v_min_u16 v58, v66, v63
	v_lshlrev_b16 v65, 8, v54
	v_max_u16 v63, v66, v63
	v_and_b32_e32 v62, 0xffffff00, v53
	v_lshlrev_b32_e32 v57, 16, v57
	v_min_u16 v66, v60, v61
	v_or_b32_e32 v65, v58, v65
	v_lshlrev_b16 v68, 8, v63
	v_or_b32_e32 v62, v61, v62
	v_and_or_b32 v57, 0xffff, v55, v57
	v_lshlrev_b16 v61, 8, v67
	v_and_b32_e32 v65, 0xffff, v65
	s_delay_alu instid0(VALU_DEP_4) | instskip(NEXT) | instid1(VALU_DEP_4)
	v_and_b32_e32 v62, 0xffff, v62
	v_cndmask_b32_e64 v55, v55, v57, s9
	v_or_b32_e32 v57, v66, v68
	s_delay_alu instid0(VALU_DEP_3) | instskip(NEXT) | instid1(VALU_DEP_3)
	v_and_or_b32 v60, 0xffff0000, v53, v62
	v_and_or_b32 v65, 0xffff0000, v55, v65
	s_delay_alu instid0(VALU_DEP_3) | instskip(SKIP_1) | instid1(VALU_DEP_4)
	v_lshlrev_b32_e32 v57, 16, v57
	v_min_u16 v62, v66, v63
	v_cndmask_b32_e64 v53, v53, v60, s9
	v_cmp_lt_u16_e64 s9, v58, v54
	v_cndmask_b32_e64 v60, v59, v64, s8
	v_cndmask_b32_e64 v59, v64, v59, s8
	v_cmp_lt_u16_e64 s8, v66, v63
	v_lshrrev_b32_e32 v68, 16, v53
	s_wait_alu 0xf1ff
	v_cndmask_b32_e64 v55, v55, v65, s9
	v_lshlrev_b16 v70, 8, v60
	v_and_b32_e32 v71, 0xff, v53
	v_max_u16 v65, v58, v54
	v_and_b32_e32 v68, 0xffffff00, v68
	v_and_or_b32 v57, 0xffff, v55, v57
	v_lshlrev_b16 v69, 8, v62
	v_min_u16 v54, v58, v54
	s_delay_alu instid0(VALU_DEP_4) | instskip(NEXT) | instid1(VALU_DEP_4)
	v_or_b32_e32 v64, v56, v68
	v_cndmask_b32_e64 v55, v55, v57, s8
	v_or_b32_e32 v57, v71, v70
	v_min_u16 v68, v60, v56
	v_cmp_lt_u16_e64 s8, v60, v56
	v_lshlrev_b32_e32 v64, 16, v64
	v_lshrrev_b32_e32 v71, 16, v55
	v_and_b32_e32 v57, 0xffff, v57
	v_or_b32_e32 v61, v68, v61
	v_and_b32_e32 v72, 0xff, v55
	v_max_u16 v70, v60, v56
	v_and_b32_e32 v71, 0xffffff00, v71
	v_or_b32_e32 v57, v57, v64
	v_and_b32_e32 v61, 0xffff, v61
	v_or_b32_e32 v64, v72, v69
	v_lshlrev_b16 v73, 8, v70
	v_or_b32_e32 v69, v65, v71
	s_wait_alu 0xf1ff
	v_cndmask_b32_e64 v53, v53, v57, s8
	v_cmp_lt_u16_e64 s8, v68, v67
	v_and_b32_e32 v57, 0xffff, v64
	v_or_b32_e32 v56, v59, v73
	v_lshlrev_b32_e32 v60, 16, v69
	v_and_or_b32 v61, 0xffff0000, v53, v61
	v_min_u16 v58, v68, v67
	s_delay_alu instid0(VALU_DEP_4) | instskip(NEXT) | instid1(VALU_DEP_4)
	v_lshlrev_b32_e32 v56, 16, v56
	v_or_b32_e32 v57, v57, v60
	s_wait_alu 0xf1ff
	v_cndmask_b32_e64 v53, v53, v61, s8
	v_cmp_lt_u16_e64 s8, v62, v65
	v_lshlrev_b16 v61, 8, v58
	s_delay_alu instid0(VALU_DEP_3) | instskip(SKIP_1) | instid1(VALU_DEP_3)
	v_and_or_b32 v56, 0xffff, v53, v56
	s_wait_alu 0xf1ff
	v_cndmask_b32_e64 v55, v55, v57, s8
	v_cmp_lt_u16_e64 s8, v59, v70
	v_max_u16 v57, v66, v63
	v_lshlrev_b16 v63, 8, v54
	v_max_u16 v66, v68, v67
	v_lshrrev_b32_e32 v60, 16, v55
	s_wait_alu 0xf1ff
	v_cndmask_b32_e64 v53, v53, v56, s8
	v_min_u16 v56, v62, v65
	v_max_u16 v65, v62, v65
	v_cmp_lt_u16_e64 s8, v58, v57
	v_and_b32_e32 v60, 0xff, v60
	v_and_b32_e32 v64, 0xffffff00, v53
	v_min_u16 v68, v58, v57
	v_max_u16 v67, v59, v70
	v_min_u16 v59, v59, v70
	v_or_b32_e32 v60, v60, v61
	v_or_b32_e32 v61, v56, v63
	;; [unrolled: 1-line block ×3, first 2 shown]
	v_lshlrev_b16 v64, 8, v65
	v_max_u16 v57, v58, v57
	v_lshlrev_b32_e32 v60, 16, v60
	v_and_b32_e32 v61, 0xffff, v61
	v_and_b32_e32 v63, 0xffff, v63
	v_or_b32_e32 v58, v68, v64
	v_cmp_lt_u16_e64 s9, v68, v65
	v_and_or_b32 v60, 0xffff, v55, v60
	v_lshlrev_b16 v69, 8, v57
	v_and_or_b32 v63, 0xffff0000, v53, v63
	v_lshlrev_b32_e32 v58, 16, v58
	v_min_u16 v70, v68, v65
	s_wait_alu 0xf1ff
	v_cndmask_b32_e64 v55, v55, v60, s8
	v_lshlrev_b16 v60, 8, v59
	v_cndmask_b32_e64 v53, v53, v63, s8
	v_cmp_lt_u16_e64 s8, v62, v54
	v_max_u16 v63, v59, v66
	v_and_or_b32 v61, 0xffff0000, v55, v61
	v_lshlrev_b16 v71, 8, v70
	v_lshrrev_b32_e32 v64, 16, v53
	v_and_b32_e32 v62, 0xff, v53
	s_wait_alu 0xf1ff
	v_cndmask_b32_e64 v54, v56, v54, s8
	v_cndmask_b32_e64 v55, v55, v61, s8
	v_min_u16 v61, v59, v66
	v_and_b32_e32 v64, 0xffffff00, v64
	v_or_b32_e32 v60, v62, v60
	v_cmp_lt_u16_e64 s8, v59, v66
	v_and_or_b32 v58, 0xffff, v55, v58
	s_delay_alu instid0(VALU_DEP_4) | instskip(NEXT) | instid1(VALU_DEP_4)
	v_or_b32_e32 v62, v66, v64
	v_and_b32_e32 v60, 0xffff, v60
	v_or_b32_e32 v64, v61, v69
	s_delay_alu instid0(VALU_DEP_4) | instskip(SKIP_2) | instid1(VALU_DEP_4)
	v_cndmask_b32_e64 v55, v55, v58, s9
	v_lshlrev_b16 v58, 8, v63
	v_lshlrev_b32_e32 v62, 16, v62
	v_and_b32_e32 v64, 0xffff, v64
	s_delay_alu instid0(VALU_DEP_4) | instskip(NEXT) | instid1(VALU_DEP_4)
	v_lshrrev_b32_e32 v69, 16, v55
	v_or_b32_e32 v58, v67, v58
	s_delay_alu instid0(VALU_DEP_4) | instskip(SKIP_1) | instid1(VALU_DEP_4)
	v_or_b32_e32 v56, v60, v62
	v_and_b32_e32 v60, 0xff, v55
	v_and_b32_e32 v62, 0xffffff00, v69
	s_delay_alu instid0(VALU_DEP_4)
	v_lshlrev_b32_e32 v58, 16, v58
	s_wait_alu 0xf1ff
	v_cndmask_b32_e64 v53, v53, v56, s8
	v_or_b32_e32 v56, v60, v71
	v_cmp_lt_u16_e64 s8, v61, v57
	v_or_b32_e32 v59, v54, v62
	s_delay_alu instid0(VALU_DEP_4) | instskip(NEXT) | instid1(VALU_DEP_4)
	v_and_or_b32 v60, 0xffff0000, v53, v64
	v_and_b32_e32 v56, 0xffff, v56
	s_delay_alu instid0(VALU_DEP_3) | instskip(SKIP_1) | instid1(VALU_DEP_3)
	v_lshlrev_b32_e32 v59, 16, v59
	s_wait_alu 0xf1ff
	v_cndmask_b32_e64 v53, v53, v60, s8
	v_cmp_lt_u16_e64 s8, v70, v54
	s_delay_alu instid0(VALU_DEP_3) | instskip(NEXT) | instid1(VALU_DEP_3)
	v_or_b32_e32 v56, v56, v59
	v_and_or_b32 v58, 0xffff, v53, v58
	s_wait_alu 0xf1ff
	s_delay_alu instid0(VALU_DEP_2) | instskip(SKIP_3) | instid1(VALU_DEP_4)
	v_cndmask_b32_e64 v54, v55, v56, s8
	v_cmp_gt_u16_e64 s8, v66, v67
	v_min_u16 v55, v61, v57
	v_max_u16 v57, v61, v57
	v_lshrrev_b32_e32 v56, 16, v54
	s_wait_alu 0xf1ff
	v_cndmask_b32_e64 v53, v53, v58, s8
	v_max_u16 v58, v68, v65
	v_lshlrev_b16 v59, 8, v55
	v_and_b32_e32 v56, 0xff, v56
	s_delay_alu instid0(VALU_DEP_4) | instskip(NEXT) | instid1(VALU_DEP_4)
	v_and_b32_e32 v60, 0xffffff00, v53
	v_cmp_lt_u16_e64 s9, v55, v58
	v_cndmask_b32_e64 v55, v63, v67, s8
	s_delay_alu instid0(VALU_DEP_4) | instskip(NEXT) | instid1(VALU_DEP_4)
	v_or_b32_e32 v56, v56, v59
	v_or_b32_e32 v60, v58, v60
	s_delay_alu instid0(VALU_DEP_3) | instskip(SKIP_1) | instid1(VALU_DEP_4)
	v_lshlrev_b16 v58, 8, v55
	v_cmp_lt_u16_e64 s8, v55, v57
	v_lshlrev_b32_e32 v56, 16, v56
	s_delay_alu instid0(VALU_DEP_4) | instskip(NEXT) | instid1(VALU_DEP_2)
	v_and_b32_e32 v59, 0xffff, v60
	v_and_or_b32 v56, 0xffff, v54, v56
	s_delay_alu instid0(VALU_DEP_2) | instskip(SKIP_1) | instid1(VALU_DEP_2)
	v_and_or_b32 v59, 0xffff0000, v53, v59
	s_wait_alu 0xf1ff
	v_cndmask_b32_e64 v54, v54, v56, s9
	s_delay_alu instid0(VALU_DEP_2) | instskip(NEXT) | instid1(VALU_DEP_1)
	v_cndmask_b32_e64 v53, v53, v59, s9
	v_lshrrev_b32_e32 v56, 16, v53
	v_and_b32_e32 v59, 0xff, v53
	s_delay_alu instid0(VALU_DEP_2) | instskip(NEXT) | instid1(VALU_DEP_2)
	v_and_b32_e32 v56, 0xffffff00, v56
	v_or_b32_e32 v58, v59, v58
	s_delay_alu instid0(VALU_DEP_2) | instskip(NEXT) | instid1(VALU_DEP_2)
	v_or_b32_e32 v56, v57, v56
	v_and_b32_e32 v58, 0xffff, v58
	s_delay_alu instid0(VALU_DEP_2) | instskip(NEXT) | instid1(VALU_DEP_1)
	v_lshlrev_b32_e32 v56, 16, v56
	v_or_b32_e32 v56, v58, v56
	s_delay_alu instid0(VALU_DEP_1)
	v_cndmask_b32_e64 v55, v53, v56, s8
	v_mov_b32_e32 v53, v45
	ds_store_b64 v1, v[54:55]
	s_wait_loadcnt_dscnt 0x0
	s_barrier_signal -1
	s_barrier_wait -1
	global_inv scope:SCOPE_SE
	s_and_saveexec_b32 s9, s0
	s_cbranch_execz .LBB118_6
; %bb.3:                                ;   in Loop: Header=BB118_2 Depth=1
	v_dual_mov_b32 v53, v45 :: v_dual_mov_b32 v54, v37
	s_mov_b32 s10, 0
.LBB118_4:                              ;   Parent Loop BB118_2 Depth=1
                                        ; =>  This Inner Loop Header: Depth=2
	s_delay_alu instid0(VALU_DEP_1) | instskip(NEXT) | instid1(VALU_DEP_1)
	v_sub_nc_u32_e32 v55, v54, v53
	v_lshrrev_b32_e32 v55, 1, v55
	s_delay_alu instid0(VALU_DEP_1) | instskip(NEXT) | instid1(VALU_DEP_1)
	v_add_nc_u32_e32 v55, v55, v53
	v_add_nc_u32_e32 v56, v2, v55
	v_xad_u32 v57, v55, -1, v29
	v_add_nc_u32_e32 v58, 1, v55
	ds_load_u8 v56, v56
	ds_load_u8 v57, v57
	s_wait_dscnt 0x0
	v_cmp_lt_u16_e64 s8, v57, v56
	s_wait_alu 0xf1ff
	s_delay_alu instid0(VALU_DEP_1) | instskip(SKIP_1) | instid1(VALU_DEP_1)
	v_cndmask_b32_e64 v54, v54, v55, s8
	v_cndmask_b32_e64 v53, v58, v53, s8
	v_cmp_ge_i32_e64 s8, v53, v54
	s_wait_alu 0xfffe
	s_or_b32 s10, s8, s10
	s_wait_alu 0xfffe
	s_and_not1_b32 exec_lo, exec_lo, s10
	s_cbranch_execnz .LBB118_4
; %bb.5:                                ;   in Loop: Header=BB118_2 Depth=1
	s_or_b32 exec_lo, exec_lo, s10
.LBB118_6:                              ;   in Loop: Header=BB118_2 Depth=1
	s_wait_alu 0xfffe
	s_or_b32 exec_lo, exec_lo, s9
	v_add_nc_u32_e32 v58, v53, v2
	v_sub_nc_u32_e32 v57, v29, v53
	ds_load_u8 v53, v58
	ds_load_u8 v54, v57
	v_cmp_le_i32_e64 s8, v13, v58
	v_cmp_gt_i32_e64 s10, v14, v57
	s_wait_dscnt 0x1
	v_and_b32_e32 v55, 0xff, v53
	s_wait_dscnt 0x0
	v_and_b32_e32 v56, 0xff, v54
	s_delay_alu instid0(VALU_DEP_1)
	v_cmp_lt_u16_e64 s9, v56, v55
                                        ; implicit-def: $vgpr55
	s_or_b32 s8, s8, s9
	s_wait_alu 0xfffe
	s_and_b32 s8, s10, s8
	s_wait_alu 0xfffe
	s_xor_b32 s9, s8, -1
	s_wait_alu 0xfffe
	s_and_saveexec_b32 s10, s9
	s_wait_alu 0xfffe
	s_xor_b32 s9, exec_lo, s10
; %bb.7:                                ;   in Loop: Header=BB118_2 Depth=1
	ds_load_u8 v55, v58 offset:1
; %bb.8:                                ;   in Loop: Header=BB118_2 Depth=1
	s_wait_alu 0xfffe
	s_or_saveexec_b32 s9, s9
	v_mov_b32_e32 v56, v54
	s_wait_alu 0xfffe
	s_xor_b32 exec_lo, exec_lo, s9
	s_cbranch_execz .LBB118_10
; %bb.9:                                ;   in Loop: Header=BB118_2 Depth=1
	ds_load_u8 v56, v57 offset:1
	s_wait_dscnt 0x1
	v_mov_b32_e32 v55, v53
.LBB118_10:                             ;   in Loop: Header=BB118_2 Depth=1
	s_or_b32 exec_lo, exec_lo, s9
	v_add_nc_u32_e32 v59, 1, v58
	v_add_nc_u32_e32 v61, 1, v57
	s_wait_dscnt 0x0
	v_and_b32_e32 v62, 0xff, v55
	s_delay_alu instid0(VALU_DEP_3) | instskip(SKIP_2) | instid1(VALU_DEP_3)
	v_cndmask_b32_e64 v60, v59, v58, s8
	v_and_b32_e32 v58, 0xff, v56
	v_cndmask_b32_e64 v59, v57, v61, s8
                                        ; implicit-def: $vgpr57
	v_cmp_ge_i32_e64 s9, v60, v13
	s_delay_alu instid0(VALU_DEP_3) | instskip(NEXT) | instid1(VALU_DEP_3)
	v_cmp_lt_u16_e64 s10, v58, v62
	v_cmp_lt_i32_e64 s11, v59, v14
	s_or_b32 s9, s9, s10
	s_wait_alu 0xfffe
	s_and_b32 s9, s11, s9
	s_wait_alu 0xfffe
	s_xor_b32 s10, s9, -1
	s_wait_alu 0xfffe
	s_and_saveexec_b32 s11, s10
	s_wait_alu 0xfffe
	s_xor_b32 s10, exec_lo, s11
; %bb.11:                               ;   in Loop: Header=BB118_2 Depth=1
	ds_load_u8 v57, v60 offset:1
; %bb.12:                               ;   in Loop: Header=BB118_2 Depth=1
	s_wait_alu 0xfffe
	s_or_saveexec_b32 s10, s10
	v_mov_b32_e32 v58, v56
	s_wait_alu 0xfffe
	s_xor_b32 exec_lo, exec_lo, s10
	s_cbranch_execz .LBB118_14
; %bb.13:                               ;   in Loop: Header=BB118_2 Depth=1
	ds_load_u8 v58, v59 offset:1
	s_wait_dscnt 0x1
	v_mov_b32_e32 v57, v55
.LBB118_14:                             ;   in Loop: Header=BB118_2 Depth=1
	s_or_b32 exec_lo, exec_lo, s10
	v_add_nc_u32_e32 v61, 1, v60
	v_add_nc_u32_e32 v63, 1, v59
	s_wait_dscnt 0x0
	v_and_b32_e32 v64, 0xff, v57
	s_delay_alu instid0(VALU_DEP_3) | instskip(SKIP_2) | instid1(VALU_DEP_3)
	v_cndmask_b32_e64 v62, v61, v60, s9
	v_and_b32_e32 v60, 0xff, v58
	v_cndmask_b32_e64 v61, v59, v63, s9
                                        ; implicit-def: $vgpr59
	v_cmp_ge_i32_e64 s10, v62, v13
	s_delay_alu instid0(VALU_DEP_3) | instskip(NEXT) | instid1(VALU_DEP_3)
	v_cmp_lt_u16_e64 s11, v60, v64
	v_cmp_lt_i32_e64 s12, v61, v14
	s_or_b32 s10, s10, s11
	s_wait_alu 0xfffe
	s_and_b32 s10, s12, s10
	s_wait_alu 0xfffe
	s_xor_b32 s11, s10, -1
	s_wait_alu 0xfffe
	s_and_saveexec_b32 s12, s11
	s_wait_alu 0xfffe
	s_xor_b32 s11, exec_lo, s12
; %bb.15:                               ;   in Loop: Header=BB118_2 Depth=1
	ds_load_u8 v59, v62 offset:1
; %bb.16:                               ;   in Loop: Header=BB118_2 Depth=1
	s_wait_alu 0xfffe
	s_or_saveexec_b32 s11, s11
	v_mov_b32_e32 v60, v58
	s_wait_alu 0xfffe
	s_xor_b32 exec_lo, exec_lo, s11
	s_cbranch_execz .LBB118_18
; %bb.17:                               ;   in Loop: Header=BB118_2 Depth=1
	ds_load_u8 v60, v61 offset:1
	s_wait_dscnt 0x1
	v_mov_b32_e32 v59, v57
.LBB118_18:                             ;   in Loop: Header=BB118_2 Depth=1
	s_or_b32 exec_lo, exec_lo, s11
	v_add_nc_u32_e32 v63, 1, v62
	v_add_nc_u32_e32 v65, 1, v61
	s_wait_dscnt 0x0
	v_and_b32_e32 v66, 0xff, v59
	s_delay_alu instid0(VALU_DEP_3) | instskip(SKIP_2) | instid1(VALU_DEP_3)
	v_cndmask_b32_e64 v64, v63, v62, s10
	v_and_b32_e32 v62, 0xff, v60
	v_cndmask_b32_e64 v63, v61, v65, s10
                                        ; implicit-def: $vgpr61
	v_cmp_ge_i32_e64 s11, v64, v13
	s_delay_alu instid0(VALU_DEP_3) | instskip(NEXT) | instid1(VALU_DEP_3)
	v_cmp_lt_u16_e64 s12, v62, v66
	v_cmp_lt_i32_e64 s13, v63, v14
	s_or_b32 s11, s11, s12
	s_wait_alu 0xfffe
	s_and_b32 s11, s13, s11
	s_wait_alu 0xfffe
	s_xor_b32 s12, s11, -1
	s_wait_alu 0xfffe
	s_and_saveexec_b32 s13, s12
	s_wait_alu 0xfffe
	s_xor_b32 s12, exec_lo, s13
; %bb.19:                               ;   in Loop: Header=BB118_2 Depth=1
	ds_load_u8 v61, v64 offset:1
; %bb.20:                               ;   in Loop: Header=BB118_2 Depth=1
	s_wait_alu 0xfffe
	s_or_saveexec_b32 s12, s12
	v_mov_b32_e32 v62, v60
	s_wait_alu 0xfffe
	s_xor_b32 exec_lo, exec_lo, s12
	s_cbranch_execz .LBB118_22
; %bb.21:                               ;   in Loop: Header=BB118_2 Depth=1
	ds_load_u8 v62, v63 offset:1
	s_wait_dscnt 0x1
	v_mov_b32_e32 v61, v59
.LBB118_22:                             ;   in Loop: Header=BB118_2 Depth=1
	s_or_b32 exec_lo, exec_lo, s12
	v_add_nc_u32_e32 v65, 1, v64
	v_add_nc_u32_e32 v67, 1, v63
	s_wait_dscnt 0x0
	v_and_b32_e32 v68, 0xff, v61
	s_delay_alu instid0(VALU_DEP_3) | instskip(SKIP_2) | instid1(VALU_DEP_3)
	v_cndmask_b32_e64 v66, v65, v64, s11
	v_and_b32_e32 v64, 0xff, v62
	v_cndmask_b32_e64 v65, v63, v67, s11
                                        ; implicit-def: $vgpr63
	v_cmp_ge_i32_e64 s12, v66, v13
	s_delay_alu instid0(VALU_DEP_3) | instskip(NEXT) | instid1(VALU_DEP_3)
	v_cmp_lt_u16_e64 s13, v64, v68
	v_cmp_lt_i32_e64 s14, v65, v14
	s_or_b32 s12, s12, s13
	s_wait_alu 0xfffe
	s_and_b32 s12, s14, s12
	s_wait_alu 0xfffe
	s_xor_b32 s13, s12, -1
	s_wait_alu 0xfffe
	s_and_saveexec_b32 s14, s13
	s_wait_alu 0xfffe
	s_xor_b32 s13, exec_lo, s14
; %bb.23:                               ;   in Loop: Header=BB118_2 Depth=1
	ds_load_u8 v63, v66 offset:1
; %bb.24:                               ;   in Loop: Header=BB118_2 Depth=1
	s_wait_alu 0xfffe
	s_or_saveexec_b32 s13, s13
	v_mov_b32_e32 v64, v62
	s_wait_alu 0xfffe
	s_xor_b32 exec_lo, exec_lo, s13
	s_cbranch_execz .LBB118_26
; %bb.25:                               ;   in Loop: Header=BB118_2 Depth=1
	ds_load_u8 v64, v65 offset:1
	s_wait_dscnt 0x1
	v_mov_b32_e32 v63, v61
.LBB118_26:                             ;   in Loop: Header=BB118_2 Depth=1
	s_or_b32 exec_lo, exec_lo, s13
	v_add_nc_u32_e32 v67, 1, v66
	v_add_nc_u32_e32 v69, 1, v65
	s_wait_dscnt 0x0
	v_and_b32_e32 v70, 0xff, v63
	s_delay_alu instid0(VALU_DEP_3) | instskip(SKIP_2) | instid1(VALU_DEP_3)
	v_cndmask_b32_e64 v68, v67, v66, s12
	v_and_b32_e32 v66, 0xff, v64
	v_cndmask_b32_e64 v67, v65, v69, s12
                                        ; implicit-def: $vgpr65
	v_cmp_ge_i32_e64 s13, v68, v13
	s_delay_alu instid0(VALU_DEP_3) | instskip(NEXT) | instid1(VALU_DEP_3)
	v_cmp_lt_u16_e64 s14, v66, v70
	v_cmp_lt_i32_e64 s15, v67, v14
	s_or_b32 s13, s13, s14
	s_wait_alu 0xfffe
	s_and_b32 s13, s15, s13
	s_wait_alu 0xfffe
	s_xor_b32 s14, s13, -1
	s_wait_alu 0xfffe
	s_and_saveexec_b32 s15, s14
	s_wait_alu 0xfffe
	s_xor_b32 s14, exec_lo, s15
; %bb.27:                               ;   in Loop: Header=BB118_2 Depth=1
	ds_load_u8 v65, v68 offset:1
; %bb.28:                               ;   in Loop: Header=BB118_2 Depth=1
	s_wait_alu 0xfffe
	s_or_saveexec_b32 s14, s14
	v_mov_b32_e32 v66, v64
	s_wait_alu 0xfffe
	s_xor_b32 exec_lo, exec_lo, s14
	s_cbranch_execz .LBB118_30
; %bb.29:                               ;   in Loop: Header=BB118_2 Depth=1
	ds_load_u8 v66, v67 offset:1
	s_wait_dscnt 0x1
	v_mov_b32_e32 v65, v63
.LBB118_30:                             ;   in Loop: Header=BB118_2 Depth=1
	s_or_b32 exec_lo, exec_lo, s14
	v_add_nc_u32_e32 v69, 1, v68
	v_add_nc_u32_e32 v70, 1, v67
	s_wait_dscnt 0x0
	v_and_b32_e32 v71, 0xff, v65
	v_and_b32_e32 v72, 0xff, v66
	v_cndmask_b32_e64 v69, v69, v68, s13
	v_cndmask_b32_e64 v68, v67, v70, s13
                                        ; implicit-def: $vgpr67
	s_delay_alu instid0(VALU_DEP_3) | instskip(NEXT) | instid1(VALU_DEP_3)
	v_cmp_lt_u16_e64 s15, v72, v71
	v_cmp_ge_i32_e64 s14, v69, v13
	s_delay_alu instid0(VALU_DEP_3)
	v_cmp_lt_i32_e64 s16, v68, v14
	s_or_b32 s14, s14, s15
	s_wait_alu 0xfffe
	s_and_b32 s14, s16, s14
	s_wait_alu 0xfffe
	s_xor_b32 s15, s14, -1
	s_wait_alu 0xfffe
	s_and_saveexec_b32 s16, s15
	s_delay_alu instid0(SALU_CYCLE_1)
	s_xor_b32 s15, exec_lo, s16
; %bb.31:                               ;   in Loop: Header=BB118_2 Depth=1
	ds_load_u8 v67, v69 offset:1
; %bb.32:                               ;   in Loop: Header=BB118_2 Depth=1
	s_wait_alu 0xfffe
	s_or_saveexec_b32 s15, s15
	v_mov_b32_e32 v70, v66
	s_wait_alu 0xfffe
	s_xor_b32 exec_lo, exec_lo, s15
	s_cbranch_execz .LBB118_34
; %bb.33:                               ;   in Loop: Header=BB118_2 Depth=1
	ds_load_u8 v70, v68 offset:1
	s_wait_dscnt 0x1
	v_mov_b32_e32 v67, v65
.LBB118_34:                             ;   in Loop: Header=BB118_2 Depth=1
	s_or_b32 exec_lo, exec_lo, s15
	v_cndmask_b32_e64 v59, v59, v60, s11
	v_cndmask_b32_e64 v55, v55, v56, s9
	;; [unrolled: 1-line block ×4, first 2 shown]
	v_add_nc_u32_e32 v71, 1, v69
	v_lshlrev_b16 v57, 8, v59
	v_lshlrev_b16 v55, 8, v55
	v_and_b32_e32 v53, 0xff, v53
	v_and_b32_e32 v54, 0xff, v54
	v_cndmask_b32_e64 v65, v65, v66, s14
	v_add_nc_u32_e32 v66, 1, v68
	s_wait_dscnt 0x0
	v_and_b32_e32 v72, 0xff, v67
	v_or_b32_e32 v53, v53, v55
	v_or_b32_e32 v54, v54, v57
	v_and_b32_e32 v73, 0xff, v70
	v_cndmask_b32_e64 v69, v71, v69, s14
	v_cndmask_b32_e64 v63, v63, v64, s13
	v_and_b32_e32 v53, 0xffff, v53
	v_lshlrev_b32_e32 v54, 16, v54
	v_cndmask_b32_e64 v61, v61, v62, s12
	v_cmp_lt_u16_e64 s12, v73, v72
	v_cmp_ge_i32_e64 s13, v69, v13
	v_lshlrev_b16 v58, 8, v63
	v_or_b32_e32 v54, v53, v54
	v_mov_b32_e32 v53, v46
	v_cndmask_b32_e64 v64, v68, v66, s14
	s_or_b32 s8, s13, s12
	v_and_b32_e32 v59, 0xff, v61
	v_and_b32_e32 v60, 0xff, v65
	s_wait_loadcnt 0x0
	v_cmp_lt_i32_e64 s11, v64, v14
	s_barrier_signal -1
	v_or_b32_e32 v55, v59, v58
	s_barrier_wait -1
	global_inv scope:SCOPE_SE
	s_wait_alu 0xfffe
	s_and_b32 s8, s11, s8
	s_wait_alu 0xfffe
	v_cndmask_b32_e64 v56, v67, v70, s8
	v_and_b32_e32 v55, 0xffff, v55
	s_delay_alu instid0(VALU_DEP_2) | instskip(NEXT) | instid1(VALU_DEP_1)
	v_lshlrev_b16 v56, 8, v56
	v_or_b32_e32 v56, v60, v56
	s_delay_alu instid0(VALU_DEP_1) | instskip(NEXT) | instid1(VALU_DEP_1)
	v_lshlrev_b32_e32 v56, 16, v56
	v_or_b32_e32 v55, v55, v56
	ds_store_b64 v1, v[54:55]
	s_wait_loadcnt_dscnt 0x0
	s_barrier_signal -1
	s_barrier_wait -1
	global_inv scope:SCOPE_SE
	s_and_saveexec_b32 s9, s1
	s_cbranch_execz .LBB118_38
; %bb.35:                               ;   in Loop: Header=BB118_2 Depth=1
	v_dual_mov_b32 v53, v46 :: v_dual_mov_b32 v54, v38
	s_mov_b32 s10, 0
.LBB118_36:                             ;   Parent Loop BB118_2 Depth=1
                                        ; =>  This Inner Loop Header: Depth=2
	s_delay_alu instid0(VALU_DEP_1) | instskip(NEXT) | instid1(VALU_DEP_1)
	v_sub_nc_u32_e32 v55, v54, v53
	v_lshrrev_b32_e32 v55, 1, v55
	s_delay_alu instid0(VALU_DEP_1) | instskip(NEXT) | instid1(VALU_DEP_1)
	v_add_nc_u32_e32 v55, v55, v53
	v_add_nc_u32_e32 v56, v3, v55
	v_xad_u32 v57, v55, -1, v30
	v_add_nc_u32_e32 v58, 1, v55
	ds_load_u8 v56, v56
	ds_load_u8 v57, v57
	s_wait_dscnt 0x0
	v_cmp_lt_u16_e64 s8, v57, v56
	s_wait_alu 0xf1ff
	s_delay_alu instid0(VALU_DEP_1) | instskip(SKIP_1) | instid1(VALU_DEP_1)
	v_cndmask_b32_e64 v54, v54, v55, s8
	v_cndmask_b32_e64 v53, v58, v53, s8
	v_cmp_ge_i32_e64 s8, v53, v54
	s_wait_alu 0xfffe
	s_or_b32 s10, s8, s10
	s_wait_alu 0xfffe
	s_and_not1_b32 exec_lo, exec_lo, s10
	s_cbranch_execnz .LBB118_36
; %bb.37:                               ;   in Loop: Header=BB118_2 Depth=1
	s_or_b32 exec_lo, exec_lo, s10
.LBB118_38:                             ;   in Loop: Header=BB118_2 Depth=1
	s_wait_alu 0xfffe
	s_or_b32 exec_lo, exec_lo, s9
	v_add_nc_u32_e32 v58, v53, v3
	v_sub_nc_u32_e32 v57, v30, v53
	ds_load_u8 v53, v58
	ds_load_u8 v54, v57
	v_cmp_le_i32_e64 s8, v15, v58
	v_cmp_gt_i32_e64 s10, v16, v57
	s_wait_dscnt 0x1
	v_and_b32_e32 v55, 0xff, v53
	s_wait_dscnt 0x0
	v_and_b32_e32 v56, 0xff, v54
	s_delay_alu instid0(VALU_DEP_1)
	v_cmp_lt_u16_e64 s9, v56, v55
                                        ; implicit-def: $vgpr55
	s_or_b32 s8, s8, s9
	s_wait_alu 0xfffe
	s_and_b32 s8, s10, s8
	s_wait_alu 0xfffe
	s_xor_b32 s9, s8, -1
	s_wait_alu 0xfffe
	s_and_saveexec_b32 s10, s9
	s_wait_alu 0xfffe
	s_xor_b32 s9, exec_lo, s10
; %bb.39:                               ;   in Loop: Header=BB118_2 Depth=1
	ds_load_u8 v55, v58 offset:1
; %bb.40:                               ;   in Loop: Header=BB118_2 Depth=1
	s_wait_alu 0xfffe
	s_or_saveexec_b32 s9, s9
	v_mov_b32_e32 v56, v54
	s_wait_alu 0xfffe
	s_xor_b32 exec_lo, exec_lo, s9
	s_cbranch_execz .LBB118_42
; %bb.41:                               ;   in Loop: Header=BB118_2 Depth=1
	ds_load_u8 v56, v57 offset:1
	s_wait_dscnt 0x1
	v_mov_b32_e32 v55, v53
.LBB118_42:                             ;   in Loop: Header=BB118_2 Depth=1
	s_or_b32 exec_lo, exec_lo, s9
	v_add_nc_u32_e32 v59, 1, v58
	v_add_nc_u32_e32 v61, 1, v57
	s_wait_dscnt 0x0
	v_and_b32_e32 v62, 0xff, v55
	s_delay_alu instid0(VALU_DEP_3) | instskip(SKIP_2) | instid1(VALU_DEP_3)
	v_cndmask_b32_e64 v60, v59, v58, s8
	v_and_b32_e32 v58, 0xff, v56
	v_cndmask_b32_e64 v59, v57, v61, s8
                                        ; implicit-def: $vgpr57
	v_cmp_ge_i32_e64 s9, v60, v15
	s_delay_alu instid0(VALU_DEP_3) | instskip(NEXT) | instid1(VALU_DEP_3)
	v_cmp_lt_u16_e64 s10, v58, v62
	v_cmp_lt_i32_e64 s11, v59, v16
	s_or_b32 s9, s9, s10
	s_wait_alu 0xfffe
	s_and_b32 s9, s11, s9
	s_wait_alu 0xfffe
	s_xor_b32 s10, s9, -1
	s_wait_alu 0xfffe
	s_and_saveexec_b32 s11, s10
	s_wait_alu 0xfffe
	s_xor_b32 s10, exec_lo, s11
; %bb.43:                               ;   in Loop: Header=BB118_2 Depth=1
	ds_load_u8 v57, v60 offset:1
; %bb.44:                               ;   in Loop: Header=BB118_2 Depth=1
	s_wait_alu 0xfffe
	s_or_saveexec_b32 s10, s10
	v_mov_b32_e32 v58, v56
	s_wait_alu 0xfffe
	s_xor_b32 exec_lo, exec_lo, s10
	s_cbranch_execz .LBB118_46
; %bb.45:                               ;   in Loop: Header=BB118_2 Depth=1
	ds_load_u8 v58, v59 offset:1
	s_wait_dscnt 0x1
	v_mov_b32_e32 v57, v55
.LBB118_46:                             ;   in Loop: Header=BB118_2 Depth=1
	s_or_b32 exec_lo, exec_lo, s10
	v_add_nc_u32_e32 v61, 1, v60
	v_add_nc_u32_e32 v63, 1, v59
	s_wait_dscnt 0x0
	v_and_b32_e32 v64, 0xff, v57
	s_delay_alu instid0(VALU_DEP_3) | instskip(SKIP_2) | instid1(VALU_DEP_3)
	v_cndmask_b32_e64 v62, v61, v60, s9
	v_and_b32_e32 v60, 0xff, v58
	v_cndmask_b32_e64 v61, v59, v63, s9
                                        ; implicit-def: $vgpr59
	v_cmp_ge_i32_e64 s10, v62, v15
	s_delay_alu instid0(VALU_DEP_3) | instskip(NEXT) | instid1(VALU_DEP_3)
	v_cmp_lt_u16_e64 s11, v60, v64
	v_cmp_lt_i32_e64 s12, v61, v16
	s_or_b32 s10, s10, s11
	s_wait_alu 0xfffe
	s_and_b32 s10, s12, s10
	s_wait_alu 0xfffe
	s_xor_b32 s11, s10, -1
	s_wait_alu 0xfffe
	s_and_saveexec_b32 s12, s11
	s_wait_alu 0xfffe
	s_xor_b32 s11, exec_lo, s12
; %bb.47:                               ;   in Loop: Header=BB118_2 Depth=1
	ds_load_u8 v59, v62 offset:1
; %bb.48:                               ;   in Loop: Header=BB118_2 Depth=1
	s_wait_alu 0xfffe
	s_or_saveexec_b32 s11, s11
	v_mov_b32_e32 v60, v58
	s_wait_alu 0xfffe
	s_xor_b32 exec_lo, exec_lo, s11
	s_cbranch_execz .LBB118_50
; %bb.49:                               ;   in Loop: Header=BB118_2 Depth=1
	ds_load_u8 v60, v61 offset:1
	s_wait_dscnt 0x1
	v_mov_b32_e32 v59, v57
.LBB118_50:                             ;   in Loop: Header=BB118_2 Depth=1
	s_or_b32 exec_lo, exec_lo, s11
	v_add_nc_u32_e32 v63, 1, v62
	v_add_nc_u32_e32 v65, 1, v61
	s_wait_dscnt 0x0
	v_and_b32_e32 v66, 0xff, v59
	s_delay_alu instid0(VALU_DEP_3) | instskip(SKIP_2) | instid1(VALU_DEP_3)
	v_cndmask_b32_e64 v64, v63, v62, s10
	v_and_b32_e32 v62, 0xff, v60
	v_cndmask_b32_e64 v63, v61, v65, s10
                                        ; implicit-def: $vgpr61
	v_cmp_ge_i32_e64 s11, v64, v15
	s_delay_alu instid0(VALU_DEP_3) | instskip(NEXT) | instid1(VALU_DEP_3)
	v_cmp_lt_u16_e64 s12, v62, v66
	v_cmp_lt_i32_e64 s13, v63, v16
	s_or_b32 s11, s11, s12
	s_wait_alu 0xfffe
	s_and_b32 s11, s13, s11
	s_wait_alu 0xfffe
	s_xor_b32 s12, s11, -1
	s_wait_alu 0xfffe
	s_and_saveexec_b32 s13, s12
	s_wait_alu 0xfffe
	s_xor_b32 s12, exec_lo, s13
; %bb.51:                               ;   in Loop: Header=BB118_2 Depth=1
	ds_load_u8 v61, v64 offset:1
; %bb.52:                               ;   in Loop: Header=BB118_2 Depth=1
	s_wait_alu 0xfffe
	s_or_saveexec_b32 s12, s12
	v_mov_b32_e32 v62, v60
	s_wait_alu 0xfffe
	s_xor_b32 exec_lo, exec_lo, s12
	s_cbranch_execz .LBB118_54
; %bb.53:                               ;   in Loop: Header=BB118_2 Depth=1
	ds_load_u8 v62, v63 offset:1
	s_wait_dscnt 0x1
	v_mov_b32_e32 v61, v59
.LBB118_54:                             ;   in Loop: Header=BB118_2 Depth=1
	s_or_b32 exec_lo, exec_lo, s12
	v_add_nc_u32_e32 v65, 1, v64
	v_add_nc_u32_e32 v67, 1, v63
	s_wait_dscnt 0x0
	v_and_b32_e32 v68, 0xff, v61
	s_delay_alu instid0(VALU_DEP_3) | instskip(SKIP_2) | instid1(VALU_DEP_3)
	v_cndmask_b32_e64 v66, v65, v64, s11
	v_and_b32_e32 v64, 0xff, v62
	v_cndmask_b32_e64 v65, v63, v67, s11
                                        ; implicit-def: $vgpr63
	v_cmp_ge_i32_e64 s12, v66, v15
	s_delay_alu instid0(VALU_DEP_3) | instskip(NEXT) | instid1(VALU_DEP_3)
	v_cmp_lt_u16_e64 s13, v64, v68
	v_cmp_lt_i32_e64 s14, v65, v16
	s_or_b32 s12, s12, s13
	s_wait_alu 0xfffe
	s_and_b32 s12, s14, s12
	s_wait_alu 0xfffe
	s_xor_b32 s13, s12, -1
	s_wait_alu 0xfffe
	s_and_saveexec_b32 s14, s13
	s_wait_alu 0xfffe
	s_xor_b32 s13, exec_lo, s14
; %bb.55:                               ;   in Loop: Header=BB118_2 Depth=1
	ds_load_u8 v63, v66 offset:1
; %bb.56:                               ;   in Loop: Header=BB118_2 Depth=1
	s_wait_alu 0xfffe
	s_or_saveexec_b32 s13, s13
	v_mov_b32_e32 v64, v62
	s_wait_alu 0xfffe
	s_xor_b32 exec_lo, exec_lo, s13
	s_cbranch_execz .LBB118_58
; %bb.57:                               ;   in Loop: Header=BB118_2 Depth=1
	ds_load_u8 v64, v65 offset:1
	s_wait_dscnt 0x1
	v_mov_b32_e32 v63, v61
.LBB118_58:                             ;   in Loop: Header=BB118_2 Depth=1
	s_or_b32 exec_lo, exec_lo, s13
	v_add_nc_u32_e32 v67, 1, v66
	v_add_nc_u32_e32 v69, 1, v65
	s_wait_dscnt 0x0
	v_and_b32_e32 v70, 0xff, v63
	s_delay_alu instid0(VALU_DEP_3) | instskip(SKIP_2) | instid1(VALU_DEP_3)
	v_cndmask_b32_e64 v68, v67, v66, s12
	v_and_b32_e32 v66, 0xff, v64
	v_cndmask_b32_e64 v67, v65, v69, s12
                                        ; implicit-def: $vgpr65
	v_cmp_ge_i32_e64 s13, v68, v15
	s_delay_alu instid0(VALU_DEP_3) | instskip(NEXT) | instid1(VALU_DEP_3)
	v_cmp_lt_u16_e64 s14, v66, v70
	v_cmp_lt_i32_e64 s15, v67, v16
	s_or_b32 s13, s13, s14
	s_wait_alu 0xfffe
	s_and_b32 s13, s15, s13
	s_wait_alu 0xfffe
	s_xor_b32 s14, s13, -1
	s_wait_alu 0xfffe
	s_and_saveexec_b32 s15, s14
	s_wait_alu 0xfffe
	s_xor_b32 s14, exec_lo, s15
; %bb.59:                               ;   in Loop: Header=BB118_2 Depth=1
	ds_load_u8 v65, v68 offset:1
; %bb.60:                               ;   in Loop: Header=BB118_2 Depth=1
	s_wait_alu 0xfffe
	s_or_saveexec_b32 s14, s14
	v_mov_b32_e32 v66, v64
	s_wait_alu 0xfffe
	s_xor_b32 exec_lo, exec_lo, s14
	s_cbranch_execz .LBB118_62
; %bb.61:                               ;   in Loop: Header=BB118_2 Depth=1
	ds_load_u8 v66, v67 offset:1
	s_wait_dscnt 0x1
	v_mov_b32_e32 v65, v63
.LBB118_62:                             ;   in Loop: Header=BB118_2 Depth=1
	s_or_b32 exec_lo, exec_lo, s14
	v_add_nc_u32_e32 v69, 1, v68
	v_add_nc_u32_e32 v70, 1, v67
	s_wait_dscnt 0x0
	v_and_b32_e32 v71, 0xff, v65
	v_and_b32_e32 v72, 0xff, v66
	v_cndmask_b32_e64 v69, v69, v68, s13
	v_cndmask_b32_e64 v68, v67, v70, s13
                                        ; implicit-def: $vgpr67
	s_delay_alu instid0(VALU_DEP_3) | instskip(NEXT) | instid1(VALU_DEP_3)
	v_cmp_lt_u16_e64 s15, v72, v71
	v_cmp_ge_i32_e64 s14, v69, v15
	s_delay_alu instid0(VALU_DEP_3)
	v_cmp_lt_i32_e64 s16, v68, v16
	s_or_b32 s14, s14, s15
	s_wait_alu 0xfffe
	s_and_b32 s14, s16, s14
	s_wait_alu 0xfffe
	s_xor_b32 s15, s14, -1
	s_wait_alu 0xfffe
	s_and_saveexec_b32 s16, s15
	s_delay_alu instid0(SALU_CYCLE_1)
	s_xor_b32 s15, exec_lo, s16
; %bb.63:                               ;   in Loop: Header=BB118_2 Depth=1
	ds_load_u8 v67, v69 offset:1
; %bb.64:                               ;   in Loop: Header=BB118_2 Depth=1
	s_wait_alu 0xfffe
	s_or_saveexec_b32 s15, s15
	v_mov_b32_e32 v70, v66
	s_wait_alu 0xfffe
	s_xor_b32 exec_lo, exec_lo, s15
	s_cbranch_execz .LBB118_66
; %bb.65:                               ;   in Loop: Header=BB118_2 Depth=1
	ds_load_u8 v70, v68 offset:1
	s_wait_dscnt 0x1
	v_mov_b32_e32 v67, v65
.LBB118_66:                             ;   in Loop: Header=BB118_2 Depth=1
	s_or_b32 exec_lo, exec_lo, s15
	v_cndmask_b32_e64 v59, v59, v60, s11
	v_cndmask_b32_e64 v55, v55, v56, s9
	;; [unrolled: 1-line block ×4, first 2 shown]
	v_add_nc_u32_e32 v71, 1, v69
	v_lshlrev_b16 v57, 8, v59
	v_lshlrev_b16 v55, 8, v55
	v_and_b32_e32 v53, 0xff, v53
	v_and_b32_e32 v54, 0xff, v54
	v_cndmask_b32_e64 v65, v65, v66, s14
	v_add_nc_u32_e32 v66, 1, v68
	s_wait_dscnt 0x0
	v_and_b32_e32 v72, 0xff, v67
	v_or_b32_e32 v53, v53, v55
	v_or_b32_e32 v54, v54, v57
	v_and_b32_e32 v73, 0xff, v70
	v_cndmask_b32_e64 v69, v71, v69, s14
	v_cndmask_b32_e64 v63, v63, v64, s13
	v_and_b32_e32 v53, 0xffff, v53
	v_lshlrev_b32_e32 v54, 16, v54
	v_cndmask_b32_e64 v61, v61, v62, s12
	v_cmp_lt_u16_e64 s12, v73, v72
	v_cmp_ge_i32_e64 s13, v69, v15
	v_lshlrev_b16 v58, 8, v63
	v_or_b32_e32 v54, v53, v54
	v_mov_b32_e32 v53, v47
	v_cndmask_b32_e64 v64, v68, v66, s14
	s_or_b32 s8, s13, s12
	v_and_b32_e32 v59, 0xff, v61
	v_and_b32_e32 v60, 0xff, v65
	s_wait_loadcnt 0x0
	v_cmp_lt_i32_e64 s11, v64, v16
	s_barrier_signal -1
	v_or_b32_e32 v55, v59, v58
	s_barrier_wait -1
	global_inv scope:SCOPE_SE
	s_wait_alu 0xfffe
	s_and_b32 s8, s11, s8
	s_wait_alu 0xfffe
	v_cndmask_b32_e64 v56, v67, v70, s8
	v_and_b32_e32 v55, 0xffff, v55
	s_delay_alu instid0(VALU_DEP_2) | instskip(NEXT) | instid1(VALU_DEP_1)
	v_lshlrev_b16 v56, 8, v56
	v_or_b32_e32 v56, v60, v56
	s_delay_alu instid0(VALU_DEP_1) | instskip(NEXT) | instid1(VALU_DEP_1)
	v_lshlrev_b32_e32 v56, 16, v56
	v_or_b32_e32 v55, v55, v56
	ds_store_b64 v1, v[54:55]
	s_wait_loadcnt_dscnt 0x0
	s_barrier_signal -1
	s_barrier_wait -1
	global_inv scope:SCOPE_SE
	s_and_saveexec_b32 s9, s2
	s_cbranch_execz .LBB118_70
; %bb.67:                               ;   in Loop: Header=BB118_2 Depth=1
	v_dual_mov_b32 v53, v47 :: v_dual_mov_b32 v54, v39
	s_mov_b32 s10, 0
.LBB118_68:                             ;   Parent Loop BB118_2 Depth=1
                                        ; =>  This Inner Loop Header: Depth=2
	s_delay_alu instid0(VALU_DEP_1) | instskip(NEXT) | instid1(VALU_DEP_1)
	v_sub_nc_u32_e32 v55, v54, v53
	v_lshrrev_b32_e32 v55, 1, v55
	s_delay_alu instid0(VALU_DEP_1) | instskip(NEXT) | instid1(VALU_DEP_1)
	v_add_nc_u32_e32 v55, v55, v53
	v_add_nc_u32_e32 v56, v4, v55
	v_xad_u32 v57, v55, -1, v31
	v_add_nc_u32_e32 v58, 1, v55
	ds_load_u8 v56, v56
	ds_load_u8 v57, v57
	s_wait_dscnt 0x0
	v_cmp_lt_u16_e64 s8, v57, v56
	s_wait_alu 0xf1ff
	s_delay_alu instid0(VALU_DEP_1) | instskip(SKIP_1) | instid1(VALU_DEP_1)
	v_cndmask_b32_e64 v54, v54, v55, s8
	v_cndmask_b32_e64 v53, v58, v53, s8
	v_cmp_ge_i32_e64 s8, v53, v54
	s_wait_alu 0xfffe
	s_or_b32 s10, s8, s10
	s_wait_alu 0xfffe
	s_and_not1_b32 exec_lo, exec_lo, s10
	s_cbranch_execnz .LBB118_68
; %bb.69:                               ;   in Loop: Header=BB118_2 Depth=1
	s_or_b32 exec_lo, exec_lo, s10
.LBB118_70:                             ;   in Loop: Header=BB118_2 Depth=1
	s_wait_alu 0xfffe
	s_or_b32 exec_lo, exec_lo, s9
	v_add_nc_u32_e32 v58, v53, v4
	v_sub_nc_u32_e32 v57, v31, v53
	ds_load_u8 v53, v58
	ds_load_u8 v54, v57
	v_cmp_le_i32_e64 s8, v17, v58
	v_cmp_gt_i32_e64 s10, v18, v57
	s_wait_dscnt 0x1
	v_and_b32_e32 v55, 0xff, v53
	s_wait_dscnt 0x0
	v_and_b32_e32 v56, 0xff, v54
	s_delay_alu instid0(VALU_DEP_1)
	v_cmp_lt_u16_e64 s9, v56, v55
                                        ; implicit-def: $vgpr55
	s_or_b32 s8, s8, s9
	s_wait_alu 0xfffe
	s_and_b32 s8, s10, s8
	s_wait_alu 0xfffe
	s_xor_b32 s9, s8, -1
	s_wait_alu 0xfffe
	s_and_saveexec_b32 s10, s9
	s_wait_alu 0xfffe
	s_xor_b32 s9, exec_lo, s10
; %bb.71:                               ;   in Loop: Header=BB118_2 Depth=1
	ds_load_u8 v55, v58 offset:1
; %bb.72:                               ;   in Loop: Header=BB118_2 Depth=1
	s_wait_alu 0xfffe
	s_or_saveexec_b32 s9, s9
	v_mov_b32_e32 v56, v54
	s_wait_alu 0xfffe
	s_xor_b32 exec_lo, exec_lo, s9
	s_cbranch_execz .LBB118_74
; %bb.73:                               ;   in Loop: Header=BB118_2 Depth=1
	ds_load_u8 v56, v57 offset:1
	s_wait_dscnt 0x1
	v_mov_b32_e32 v55, v53
.LBB118_74:                             ;   in Loop: Header=BB118_2 Depth=1
	s_or_b32 exec_lo, exec_lo, s9
	v_add_nc_u32_e32 v59, 1, v58
	v_add_nc_u32_e32 v61, 1, v57
	s_wait_dscnt 0x0
	v_and_b32_e32 v62, 0xff, v55
	s_delay_alu instid0(VALU_DEP_3) | instskip(SKIP_2) | instid1(VALU_DEP_3)
	v_cndmask_b32_e64 v60, v59, v58, s8
	v_and_b32_e32 v58, 0xff, v56
	v_cndmask_b32_e64 v59, v57, v61, s8
                                        ; implicit-def: $vgpr57
	v_cmp_ge_i32_e64 s9, v60, v17
	s_delay_alu instid0(VALU_DEP_3) | instskip(NEXT) | instid1(VALU_DEP_3)
	v_cmp_lt_u16_e64 s10, v58, v62
	v_cmp_lt_i32_e64 s11, v59, v18
	s_or_b32 s9, s9, s10
	s_wait_alu 0xfffe
	s_and_b32 s9, s11, s9
	s_wait_alu 0xfffe
	s_xor_b32 s10, s9, -1
	s_wait_alu 0xfffe
	s_and_saveexec_b32 s11, s10
	s_wait_alu 0xfffe
	s_xor_b32 s10, exec_lo, s11
; %bb.75:                               ;   in Loop: Header=BB118_2 Depth=1
	ds_load_u8 v57, v60 offset:1
; %bb.76:                               ;   in Loop: Header=BB118_2 Depth=1
	s_wait_alu 0xfffe
	s_or_saveexec_b32 s10, s10
	v_mov_b32_e32 v58, v56
	s_wait_alu 0xfffe
	s_xor_b32 exec_lo, exec_lo, s10
	s_cbranch_execz .LBB118_78
; %bb.77:                               ;   in Loop: Header=BB118_2 Depth=1
	ds_load_u8 v58, v59 offset:1
	s_wait_dscnt 0x1
	v_mov_b32_e32 v57, v55
.LBB118_78:                             ;   in Loop: Header=BB118_2 Depth=1
	s_or_b32 exec_lo, exec_lo, s10
	v_add_nc_u32_e32 v61, 1, v60
	v_add_nc_u32_e32 v63, 1, v59
	s_wait_dscnt 0x0
	v_and_b32_e32 v64, 0xff, v57
	s_delay_alu instid0(VALU_DEP_3) | instskip(SKIP_2) | instid1(VALU_DEP_3)
	v_cndmask_b32_e64 v62, v61, v60, s9
	v_and_b32_e32 v60, 0xff, v58
	v_cndmask_b32_e64 v61, v59, v63, s9
                                        ; implicit-def: $vgpr59
	v_cmp_ge_i32_e64 s10, v62, v17
	s_delay_alu instid0(VALU_DEP_3) | instskip(NEXT) | instid1(VALU_DEP_3)
	v_cmp_lt_u16_e64 s11, v60, v64
	v_cmp_lt_i32_e64 s12, v61, v18
	s_or_b32 s10, s10, s11
	s_wait_alu 0xfffe
	s_and_b32 s10, s12, s10
	s_wait_alu 0xfffe
	s_xor_b32 s11, s10, -1
	s_wait_alu 0xfffe
	s_and_saveexec_b32 s12, s11
	s_wait_alu 0xfffe
	s_xor_b32 s11, exec_lo, s12
; %bb.79:                               ;   in Loop: Header=BB118_2 Depth=1
	ds_load_u8 v59, v62 offset:1
; %bb.80:                               ;   in Loop: Header=BB118_2 Depth=1
	s_wait_alu 0xfffe
	s_or_saveexec_b32 s11, s11
	v_mov_b32_e32 v60, v58
	s_wait_alu 0xfffe
	s_xor_b32 exec_lo, exec_lo, s11
	s_cbranch_execz .LBB118_82
; %bb.81:                               ;   in Loop: Header=BB118_2 Depth=1
	ds_load_u8 v60, v61 offset:1
	s_wait_dscnt 0x1
	v_mov_b32_e32 v59, v57
.LBB118_82:                             ;   in Loop: Header=BB118_2 Depth=1
	s_or_b32 exec_lo, exec_lo, s11
	v_add_nc_u32_e32 v63, 1, v62
	v_add_nc_u32_e32 v65, 1, v61
	s_wait_dscnt 0x0
	v_and_b32_e32 v66, 0xff, v59
	s_delay_alu instid0(VALU_DEP_3) | instskip(SKIP_2) | instid1(VALU_DEP_3)
	v_cndmask_b32_e64 v64, v63, v62, s10
	v_and_b32_e32 v62, 0xff, v60
	v_cndmask_b32_e64 v63, v61, v65, s10
                                        ; implicit-def: $vgpr61
	v_cmp_ge_i32_e64 s11, v64, v17
	s_delay_alu instid0(VALU_DEP_3) | instskip(NEXT) | instid1(VALU_DEP_3)
	v_cmp_lt_u16_e64 s12, v62, v66
	v_cmp_lt_i32_e64 s13, v63, v18
	s_or_b32 s11, s11, s12
	s_wait_alu 0xfffe
	s_and_b32 s11, s13, s11
	s_wait_alu 0xfffe
	s_xor_b32 s12, s11, -1
	s_wait_alu 0xfffe
	s_and_saveexec_b32 s13, s12
	s_wait_alu 0xfffe
	s_xor_b32 s12, exec_lo, s13
; %bb.83:                               ;   in Loop: Header=BB118_2 Depth=1
	ds_load_u8 v61, v64 offset:1
; %bb.84:                               ;   in Loop: Header=BB118_2 Depth=1
	s_wait_alu 0xfffe
	s_or_saveexec_b32 s12, s12
	v_mov_b32_e32 v62, v60
	s_wait_alu 0xfffe
	s_xor_b32 exec_lo, exec_lo, s12
	s_cbranch_execz .LBB118_86
; %bb.85:                               ;   in Loop: Header=BB118_2 Depth=1
	ds_load_u8 v62, v63 offset:1
	s_wait_dscnt 0x1
	v_mov_b32_e32 v61, v59
.LBB118_86:                             ;   in Loop: Header=BB118_2 Depth=1
	s_or_b32 exec_lo, exec_lo, s12
	v_add_nc_u32_e32 v65, 1, v64
	v_add_nc_u32_e32 v67, 1, v63
	s_wait_dscnt 0x0
	v_and_b32_e32 v68, 0xff, v61
	s_delay_alu instid0(VALU_DEP_3) | instskip(SKIP_2) | instid1(VALU_DEP_3)
	v_cndmask_b32_e64 v66, v65, v64, s11
	v_and_b32_e32 v64, 0xff, v62
	v_cndmask_b32_e64 v65, v63, v67, s11
                                        ; implicit-def: $vgpr63
	v_cmp_ge_i32_e64 s12, v66, v17
	s_delay_alu instid0(VALU_DEP_3) | instskip(NEXT) | instid1(VALU_DEP_3)
	v_cmp_lt_u16_e64 s13, v64, v68
	v_cmp_lt_i32_e64 s14, v65, v18
	s_or_b32 s12, s12, s13
	s_wait_alu 0xfffe
	s_and_b32 s12, s14, s12
	s_wait_alu 0xfffe
	s_xor_b32 s13, s12, -1
	s_wait_alu 0xfffe
	s_and_saveexec_b32 s14, s13
	s_wait_alu 0xfffe
	s_xor_b32 s13, exec_lo, s14
; %bb.87:                               ;   in Loop: Header=BB118_2 Depth=1
	ds_load_u8 v63, v66 offset:1
; %bb.88:                               ;   in Loop: Header=BB118_2 Depth=1
	s_wait_alu 0xfffe
	s_or_saveexec_b32 s13, s13
	v_mov_b32_e32 v64, v62
	s_wait_alu 0xfffe
	s_xor_b32 exec_lo, exec_lo, s13
	s_cbranch_execz .LBB118_90
; %bb.89:                               ;   in Loop: Header=BB118_2 Depth=1
	ds_load_u8 v64, v65 offset:1
	s_wait_dscnt 0x1
	v_mov_b32_e32 v63, v61
.LBB118_90:                             ;   in Loop: Header=BB118_2 Depth=1
	s_or_b32 exec_lo, exec_lo, s13
	v_add_nc_u32_e32 v67, 1, v66
	v_add_nc_u32_e32 v69, 1, v65
	s_wait_dscnt 0x0
	v_and_b32_e32 v70, 0xff, v63
	s_delay_alu instid0(VALU_DEP_3) | instskip(SKIP_2) | instid1(VALU_DEP_3)
	v_cndmask_b32_e64 v68, v67, v66, s12
	v_and_b32_e32 v66, 0xff, v64
	v_cndmask_b32_e64 v67, v65, v69, s12
                                        ; implicit-def: $vgpr65
	v_cmp_ge_i32_e64 s13, v68, v17
	s_delay_alu instid0(VALU_DEP_3) | instskip(NEXT) | instid1(VALU_DEP_3)
	v_cmp_lt_u16_e64 s14, v66, v70
	v_cmp_lt_i32_e64 s15, v67, v18
	s_or_b32 s13, s13, s14
	s_wait_alu 0xfffe
	s_and_b32 s13, s15, s13
	s_wait_alu 0xfffe
	s_xor_b32 s14, s13, -1
	s_wait_alu 0xfffe
	s_and_saveexec_b32 s15, s14
	s_wait_alu 0xfffe
	s_xor_b32 s14, exec_lo, s15
; %bb.91:                               ;   in Loop: Header=BB118_2 Depth=1
	ds_load_u8 v65, v68 offset:1
; %bb.92:                               ;   in Loop: Header=BB118_2 Depth=1
	s_wait_alu 0xfffe
	s_or_saveexec_b32 s14, s14
	v_mov_b32_e32 v66, v64
	s_wait_alu 0xfffe
	s_xor_b32 exec_lo, exec_lo, s14
	s_cbranch_execz .LBB118_94
; %bb.93:                               ;   in Loop: Header=BB118_2 Depth=1
	ds_load_u8 v66, v67 offset:1
	s_wait_dscnt 0x1
	v_mov_b32_e32 v65, v63
.LBB118_94:                             ;   in Loop: Header=BB118_2 Depth=1
	s_or_b32 exec_lo, exec_lo, s14
	v_add_nc_u32_e32 v69, 1, v68
	v_add_nc_u32_e32 v70, 1, v67
	s_wait_dscnt 0x0
	v_and_b32_e32 v71, 0xff, v65
	v_and_b32_e32 v72, 0xff, v66
	v_cndmask_b32_e64 v69, v69, v68, s13
	v_cndmask_b32_e64 v68, v67, v70, s13
                                        ; implicit-def: $vgpr67
	s_delay_alu instid0(VALU_DEP_3) | instskip(NEXT) | instid1(VALU_DEP_3)
	v_cmp_lt_u16_e64 s15, v72, v71
	v_cmp_ge_i32_e64 s14, v69, v17
	s_delay_alu instid0(VALU_DEP_3)
	v_cmp_lt_i32_e64 s16, v68, v18
	s_or_b32 s14, s14, s15
	s_wait_alu 0xfffe
	s_and_b32 s14, s16, s14
	s_wait_alu 0xfffe
	s_xor_b32 s15, s14, -1
	s_wait_alu 0xfffe
	s_and_saveexec_b32 s16, s15
	s_delay_alu instid0(SALU_CYCLE_1)
	s_xor_b32 s15, exec_lo, s16
; %bb.95:                               ;   in Loop: Header=BB118_2 Depth=1
	ds_load_u8 v67, v69 offset:1
; %bb.96:                               ;   in Loop: Header=BB118_2 Depth=1
	s_wait_alu 0xfffe
	s_or_saveexec_b32 s15, s15
	v_mov_b32_e32 v70, v66
	s_wait_alu 0xfffe
	s_xor_b32 exec_lo, exec_lo, s15
	s_cbranch_execz .LBB118_98
; %bb.97:                               ;   in Loop: Header=BB118_2 Depth=1
	ds_load_u8 v70, v68 offset:1
	s_wait_dscnt 0x1
	v_mov_b32_e32 v67, v65
.LBB118_98:                             ;   in Loop: Header=BB118_2 Depth=1
	s_or_b32 exec_lo, exec_lo, s15
	v_cndmask_b32_e64 v59, v59, v60, s11
	v_cndmask_b32_e64 v55, v55, v56, s9
	;; [unrolled: 1-line block ×4, first 2 shown]
	v_add_nc_u32_e32 v71, 1, v69
	v_lshlrev_b16 v57, 8, v59
	v_lshlrev_b16 v55, 8, v55
	v_and_b32_e32 v53, 0xff, v53
	v_and_b32_e32 v54, 0xff, v54
	v_cndmask_b32_e64 v65, v65, v66, s14
	v_add_nc_u32_e32 v66, 1, v68
	s_wait_dscnt 0x0
	v_and_b32_e32 v72, 0xff, v67
	v_or_b32_e32 v53, v53, v55
	v_or_b32_e32 v54, v54, v57
	v_and_b32_e32 v73, 0xff, v70
	v_cndmask_b32_e64 v69, v71, v69, s14
	v_cndmask_b32_e64 v63, v63, v64, s13
	v_and_b32_e32 v53, 0xffff, v53
	v_lshlrev_b32_e32 v54, 16, v54
	v_cndmask_b32_e64 v61, v61, v62, s12
	v_cmp_lt_u16_e64 s12, v73, v72
	v_cmp_ge_i32_e64 s13, v69, v17
	v_lshlrev_b16 v58, 8, v63
	v_or_b32_e32 v54, v53, v54
	v_mov_b32_e32 v53, v48
	v_cndmask_b32_e64 v64, v68, v66, s14
	s_or_b32 s8, s13, s12
	v_and_b32_e32 v59, 0xff, v61
	v_and_b32_e32 v60, 0xff, v65
	s_wait_loadcnt 0x0
	v_cmp_lt_i32_e64 s11, v64, v18
	s_barrier_signal -1
	v_or_b32_e32 v55, v59, v58
	s_barrier_wait -1
	global_inv scope:SCOPE_SE
	s_wait_alu 0xfffe
	s_and_b32 s8, s11, s8
	s_wait_alu 0xfffe
	v_cndmask_b32_e64 v56, v67, v70, s8
	v_and_b32_e32 v55, 0xffff, v55
	s_delay_alu instid0(VALU_DEP_2) | instskip(NEXT) | instid1(VALU_DEP_1)
	v_lshlrev_b16 v56, 8, v56
	v_or_b32_e32 v56, v60, v56
	s_delay_alu instid0(VALU_DEP_1) | instskip(NEXT) | instid1(VALU_DEP_1)
	v_lshlrev_b32_e32 v56, 16, v56
	v_or_b32_e32 v55, v55, v56
	ds_store_b64 v1, v[54:55]
	s_wait_loadcnt_dscnt 0x0
	s_barrier_signal -1
	s_barrier_wait -1
	global_inv scope:SCOPE_SE
	s_and_saveexec_b32 s9, s3
	s_cbranch_execz .LBB118_102
; %bb.99:                               ;   in Loop: Header=BB118_2 Depth=1
	v_dual_mov_b32 v53, v48 :: v_dual_mov_b32 v54, v40
	s_mov_b32 s10, 0
.LBB118_100:                            ;   Parent Loop BB118_2 Depth=1
                                        ; =>  This Inner Loop Header: Depth=2
	s_delay_alu instid0(VALU_DEP_1) | instskip(NEXT) | instid1(VALU_DEP_1)
	v_sub_nc_u32_e32 v55, v54, v53
	v_lshrrev_b32_e32 v55, 1, v55
	s_delay_alu instid0(VALU_DEP_1) | instskip(NEXT) | instid1(VALU_DEP_1)
	v_add_nc_u32_e32 v55, v55, v53
	v_add_nc_u32_e32 v56, v5, v55
	v_xad_u32 v57, v55, -1, v32
	v_add_nc_u32_e32 v58, 1, v55
	ds_load_u8 v56, v56
	ds_load_u8 v57, v57
	s_wait_dscnt 0x0
	v_cmp_lt_u16_e64 s8, v57, v56
	s_wait_alu 0xf1ff
	s_delay_alu instid0(VALU_DEP_1) | instskip(SKIP_1) | instid1(VALU_DEP_1)
	v_cndmask_b32_e64 v54, v54, v55, s8
	v_cndmask_b32_e64 v53, v58, v53, s8
	v_cmp_ge_i32_e64 s8, v53, v54
	s_wait_alu 0xfffe
	s_or_b32 s10, s8, s10
	s_wait_alu 0xfffe
	s_and_not1_b32 exec_lo, exec_lo, s10
	s_cbranch_execnz .LBB118_100
; %bb.101:                              ;   in Loop: Header=BB118_2 Depth=1
	s_or_b32 exec_lo, exec_lo, s10
.LBB118_102:                            ;   in Loop: Header=BB118_2 Depth=1
	s_wait_alu 0xfffe
	s_or_b32 exec_lo, exec_lo, s9
	v_add_nc_u32_e32 v58, v53, v5
	v_sub_nc_u32_e32 v57, v32, v53
	ds_load_u8 v53, v58
	ds_load_u8 v54, v57
	v_cmp_le_i32_e64 s8, v19, v58
	v_cmp_gt_i32_e64 s10, v20, v57
	s_wait_dscnt 0x1
	v_and_b32_e32 v55, 0xff, v53
	s_wait_dscnt 0x0
	v_and_b32_e32 v56, 0xff, v54
	s_delay_alu instid0(VALU_DEP_1)
	v_cmp_lt_u16_e64 s9, v56, v55
                                        ; implicit-def: $vgpr55
	s_or_b32 s8, s8, s9
	s_wait_alu 0xfffe
	s_and_b32 s8, s10, s8
	s_wait_alu 0xfffe
	s_xor_b32 s9, s8, -1
	s_wait_alu 0xfffe
	s_and_saveexec_b32 s10, s9
	s_wait_alu 0xfffe
	s_xor_b32 s9, exec_lo, s10
; %bb.103:                              ;   in Loop: Header=BB118_2 Depth=1
	ds_load_u8 v55, v58 offset:1
; %bb.104:                              ;   in Loop: Header=BB118_2 Depth=1
	s_wait_alu 0xfffe
	s_or_saveexec_b32 s9, s9
	v_mov_b32_e32 v56, v54
	s_wait_alu 0xfffe
	s_xor_b32 exec_lo, exec_lo, s9
	s_cbranch_execz .LBB118_106
; %bb.105:                              ;   in Loop: Header=BB118_2 Depth=1
	ds_load_u8 v56, v57 offset:1
	s_wait_dscnt 0x1
	v_mov_b32_e32 v55, v53
.LBB118_106:                            ;   in Loop: Header=BB118_2 Depth=1
	s_or_b32 exec_lo, exec_lo, s9
	v_add_nc_u32_e32 v59, 1, v58
	v_add_nc_u32_e32 v61, 1, v57
	s_wait_dscnt 0x0
	v_and_b32_e32 v62, 0xff, v55
	s_delay_alu instid0(VALU_DEP_3) | instskip(SKIP_2) | instid1(VALU_DEP_3)
	v_cndmask_b32_e64 v60, v59, v58, s8
	v_and_b32_e32 v58, 0xff, v56
	v_cndmask_b32_e64 v59, v57, v61, s8
                                        ; implicit-def: $vgpr57
	v_cmp_ge_i32_e64 s9, v60, v19
	s_delay_alu instid0(VALU_DEP_3) | instskip(NEXT) | instid1(VALU_DEP_3)
	v_cmp_lt_u16_e64 s10, v58, v62
	v_cmp_lt_i32_e64 s11, v59, v20
	s_or_b32 s9, s9, s10
	s_wait_alu 0xfffe
	s_and_b32 s9, s11, s9
	s_wait_alu 0xfffe
	s_xor_b32 s10, s9, -1
	s_wait_alu 0xfffe
	s_and_saveexec_b32 s11, s10
	s_wait_alu 0xfffe
	s_xor_b32 s10, exec_lo, s11
; %bb.107:                              ;   in Loop: Header=BB118_2 Depth=1
	ds_load_u8 v57, v60 offset:1
; %bb.108:                              ;   in Loop: Header=BB118_2 Depth=1
	s_wait_alu 0xfffe
	s_or_saveexec_b32 s10, s10
	v_mov_b32_e32 v58, v56
	s_wait_alu 0xfffe
	s_xor_b32 exec_lo, exec_lo, s10
	s_cbranch_execz .LBB118_110
; %bb.109:                              ;   in Loop: Header=BB118_2 Depth=1
	ds_load_u8 v58, v59 offset:1
	s_wait_dscnt 0x1
	v_mov_b32_e32 v57, v55
.LBB118_110:                            ;   in Loop: Header=BB118_2 Depth=1
	s_or_b32 exec_lo, exec_lo, s10
	v_add_nc_u32_e32 v61, 1, v60
	v_add_nc_u32_e32 v63, 1, v59
	s_wait_dscnt 0x0
	v_and_b32_e32 v64, 0xff, v57
	s_delay_alu instid0(VALU_DEP_3) | instskip(SKIP_2) | instid1(VALU_DEP_3)
	v_cndmask_b32_e64 v62, v61, v60, s9
	v_and_b32_e32 v60, 0xff, v58
	v_cndmask_b32_e64 v61, v59, v63, s9
                                        ; implicit-def: $vgpr59
	v_cmp_ge_i32_e64 s10, v62, v19
	s_delay_alu instid0(VALU_DEP_3) | instskip(NEXT) | instid1(VALU_DEP_3)
	v_cmp_lt_u16_e64 s11, v60, v64
	v_cmp_lt_i32_e64 s12, v61, v20
	s_or_b32 s10, s10, s11
	s_wait_alu 0xfffe
	s_and_b32 s10, s12, s10
	s_wait_alu 0xfffe
	s_xor_b32 s11, s10, -1
	s_wait_alu 0xfffe
	s_and_saveexec_b32 s12, s11
	s_wait_alu 0xfffe
	s_xor_b32 s11, exec_lo, s12
; %bb.111:                              ;   in Loop: Header=BB118_2 Depth=1
	ds_load_u8 v59, v62 offset:1
; %bb.112:                              ;   in Loop: Header=BB118_2 Depth=1
	s_wait_alu 0xfffe
	s_or_saveexec_b32 s11, s11
	v_mov_b32_e32 v60, v58
	s_wait_alu 0xfffe
	s_xor_b32 exec_lo, exec_lo, s11
	s_cbranch_execz .LBB118_114
; %bb.113:                              ;   in Loop: Header=BB118_2 Depth=1
	ds_load_u8 v60, v61 offset:1
	s_wait_dscnt 0x1
	v_mov_b32_e32 v59, v57
.LBB118_114:                            ;   in Loop: Header=BB118_2 Depth=1
	s_or_b32 exec_lo, exec_lo, s11
	v_add_nc_u32_e32 v63, 1, v62
	v_add_nc_u32_e32 v65, 1, v61
	s_wait_dscnt 0x0
	v_and_b32_e32 v66, 0xff, v59
	s_delay_alu instid0(VALU_DEP_3) | instskip(SKIP_2) | instid1(VALU_DEP_3)
	v_cndmask_b32_e64 v64, v63, v62, s10
	v_and_b32_e32 v62, 0xff, v60
	v_cndmask_b32_e64 v63, v61, v65, s10
                                        ; implicit-def: $vgpr61
	v_cmp_ge_i32_e64 s11, v64, v19
	s_delay_alu instid0(VALU_DEP_3) | instskip(NEXT) | instid1(VALU_DEP_3)
	v_cmp_lt_u16_e64 s12, v62, v66
	v_cmp_lt_i32_e64 s13, v63, v20
	s_or_b32 s11, s11, s12
	s_wait_alu 0xfffe
	s_and_b32 s11, s13, s11
	s_wait_alu 0xfffe
	s_xor_b32 s12, s11, -1
	s_wait_alu 0xfffe
	s_and_saveexec_b32 s13, s12
	s_wait_alu 0xfffe
	s_xor_b32 s12, exec_lo, s13
; %bb.115:                              ;   in Loop: Header=BB118_2 Depth=1
	ds_load_u8 v61, v64 offset:1
; %bb.116:                              ;   in Loop: Header=BB118_2 Depth=1
	s_wait_alu 0xfffe
	s_or_saveexec_b32 s12, s12
	v_mov_b32_e32 v62, v60
	s_wait_alu 0xfffe
	s_xor_b32 exec_lo, exec_lo, s12
	s_cbranch_execz .LBB118_118
; %bb.117:                              ;   in Loop: Header=BB118_2 Depth=1
	ds_load_u8 v62, v63 offset:1
	s_wait_dscnt 0x1
	v_mov_b32_e32 v61, v59
.LBB118_118:                            ;   in Loop: Header=BB118_2 Depth=1
	s_or_b32 exec_lo, exec_lo, s12
	v_add_nc_u32_e32 v65, 1, v64
	v_add_nc_u32_e32 v67, 1, v63
	s_wait_dscnt 0x0
	v_and_b32_e32 v68, 0xff, v61
	s_delay_alu instid0(VALU_DEP_3) | instskip(SKIP_2) | instid1(VALU_DEP_3)
	v_cndmask_b32_e64 v66, v65, v64, s11
	v_and_b32_e32 v64, 0xff, v62
	v_cndmask_b32_e64 v65, v63, v67, s11
                                        ; implicit-def: $vgpr63
	v_cmp_ge_i32_e64 s12, v66, v19
	s_delay_alu instid0(VALU_DEP_3) | instskip(NEXT) | instid1(VALU_DEP_3)
	v_cmp_lt_u16_e64 s13, v64, v68
	v_cmp_lt_i32_e64 s14, v65, v20
	s_or_b32 s12, s12, s13
	s_wait_alu 0xfffe
	s_and_b32 s12, s14, s12
	s_wait_alu 0xfffe
	s_xor_b32 s13, s12, -1
	s_wait_alu 0xfffe
	s_and_saveexec_b32 s14, s13
	s_wait_alu 0xfffe
	s_xor_b32 s13, exec_lo, s14
; %bb.119:                              ;   in Loop: Header=BB118_2 Depth=1
	ds_load_u8 v63, v66 offset:1
; %bb.120:                              ;   in Loop: Header=BB118_2 Depth=1
	s_wait_alu 0xfffe
	s_or_saveexec_b32 s13, s13
	v_mov_b32_e32 v64, v62
	s_wait_alu 0xfffe
	s_xor_b32 exec_lo, exec_lo, s13
	s_cbranch_execz .LBB118_122
; %bb.121:                              ;   in Loop: Header=BB118_2 Depth=1
	ds_load_u8 v64, v65 offset:1
	s_wait_dscnt 0x1
	v_mov_b32_e32 v63, v61
.LBB118_122:                            ;   in Loop: Header=BB118_2 Depth=1
	s_or_b32 exec_lo, exec_lo, s13
	v_add_nc_u32_e32 v67, 1, v66
	v_add_nc_u32_e32 v69, 1, v65
	s_wait_dscnt 0x0
	v_and_b32_e32 v70, 0xff, v63
	s_delay_alu instid0(VALU_DEP_3) | instskip(SKIP_2) | instid1(VALU_DEP_3)
	v_cndmask_b32_e64 v68, v67, v66, s12
	v_and_b32_e32 v66, 0xff, v64
	v_cndmask_b32_e64 v67, v65, v69, s12
                                        ; implicit-def: $vgpr65
	v_cmp_ge_i32_e64 s13, v68, v19
	s_delay_alu instid0(VALU_DEP_3) | instskip(NEXT) | instid1(VALU_DEP_3)
	v_cmp_lt_u16_e64 s14, v66, v70
	v_cmp_lt_i32_e64 s15, v67, v20
	s_or_b32 s13, s13, s14
	s_wait_alu 0xfffe
	s_and_b32 s13, s15, s13
	s_wait_alu 0xfffe
	s_xor_b32 s14, s13, -1
	s_wait_alu 0xfffe
	s_and_saveexec_b32 s15, s14
	s_wait_alu 0xfffe
	s_xor_b32 s14, exec_lo, s15
; %bb.123:                              ;   in Loop: Header=BB118_2 Depth=1
	ds_load_u8 v65, v68 offset:1
; %bb.124:                              ;   in Loop: Header=BB118_2 Depth=1
	s_wait_alu 0xfffe
	s_or_saveexec_b32 s14, s14
	v_mov_b32_e32 v66, v64
	s_wait_alu 0xfffe
	s_xor_b32 exec_lo, exec_lo, s14
	s_cbranch_execz .LBB118_126
; %bb.125:                              ;   in Loop: Header=BB118_2 Depth=1
	ds_load_u8 v66, v67 offset:1
	s_wait_dscnt 0x1
	v_mov_b32_e32 v65, v63
.LBB118_126:                            ;   in Loop: Header=BB118_2 Depth=1
	s_or_b32 exec_lo, exec_lo, s14
	v_add_nc_u32_e32 v69, 1, v68
	v_add_nc_u32_e32 v70, 1, v67
	s_wait_dscnt 0x0
	v_and_b32_e32 v71, 0xff, v65
	v_and_b32_e32 v72, 0xff, v66
	v_cndmask_b32_e64 v69, v69, v68, s13
	v_cndmask_b32_e64 v68, v67, v70, s13
                                        ; implicit-def: $vgpr67
	s_delay_alu instid0(VALU_DEP_3) | instskip(NEXT) | instid1(VALU_DEP_3)
	v_cmp_lt_u16_e64 s15, v72, v71
	v_cmp_ge_i32_e64 s14, v69, v19
	s_delay_alu instid0(VALU_DEP_3)
	v_cmp_lt_i32_e64 s16, v68, v20
	s_or_b32 s14, s14, s15
	s_wait_alu 0xfffe
	s_and_b32 s14, s16, s14
	s_wait_alu 0xfffe
	s_xor_b32 s15, s14, -1
	s_wait_alu 0xfffe
	s_and_saveexec_b32 s16, s15
	s_delay_alu instid0(SALU_CYCLE_1)
	s_xor_b32 s15, exec_lo, s16
; %bb.127:                              ;   in Loop: Header=BB118_2 Depth=1
	ds_load_u8 v67, v69 offset:1
; %bb.128:                              ;   in Loop: Header=BB118_2 Depth=1
	s_wait_alu 0xfffe
	s_or_saveexec_b32 s15, s15
	v_mov_b32_e32 v70, v66
	s_wait_alu 0xfffe
	s_xor_b32 exec_lo, exec_lo, s15
	s_cbranch_execz .LBB118_130
; %bb.129:                              ;   in Loop: Header=BB118_2 Depth=1
	ds_load_u8 v70, v68 offset:1
	s_wait_dscnt 0x1
	v_mov_b32_e32 v67, v65
.LBB118_130:                            ;   in Loop: Header=BB118_2 Depth=1
	s_or_b32 exec_lo, exec_lo, s15
	v_cndmask_b32_e64 v59, v59, v60, s11
	v_cndmask_b32_e64 v55, v55, v56, s9
	;; [unrolled: 1-line block ×4, first 2 shown]
	v_add_nc_u32_e32 v71, 1, v69
	v_lshlrev_b16 v57, 8, v59
	v_lshlrev_b16 v55, 8, v55
	v_and_b32_e32 v53, 0xff, v53
	v_and_b32_e32 v54, 0xff, v54
	v_cndmask_b32_e64 v65, v65, v66, s14
	v_add_nc_u32_e32 v66, 1, v68
	s_wait_dscnt 0x0
	v_and_b32_e32 v72, 0xff, v67
	v_or_b32_e32 v53, v53, v55
	v_or_b32_e32 v54, v54, v57
	v_and_b32_e32 v73, 0xff, v70
	v_cndmask_b32_e64 v69, v71, v69, s14
	v_cndmask_b32_e64 v63, v63, v64, s13
	v_and_b32_e32 v53, 0xffff, v53
	v_lshlrev_b32_e32 v54, 16, v54
	v_cndmask_b32_e64 v61, v61, v62, s12
	v_cmp_lt_u16_e64 s12, v73, v72
	v_cmp_ge_i32_e64 s13, v69, v19
	v_lshlrev_b16 v58, 8, v63
	v_or_b32_e32 v54, v53, v54
	v_mov_b32_e32 v53, v49
	v_cndmask_b32_e64 v64, v68, v66, s14
	s_or_b32 s8, s13, s12
	v_and_b32_e32 v59, 0xff, v61
	v_and_b32_e32 v60, 0xff, v65
	s_wait_loadcnt 0x0
	v_cmp_lt_i32_e64 s11, v64, v20
	s_barrier_signal -1
	v_or_b32_e32 v55, v59, v58
	s_barrier_wait -1
	global_inv scope:SCOPE_SE
	s_wait_alu 0xfffe
	s_and_b32 s8, s11, s8
	s_wait_alu 0xfffe
	v_cndmask_b32_e64 v56, v67, v70, s8
	v_and_b32_e32 v55, 0xffff, v55
	s_delay_alu instid0(VALU_DEP_2) | instskip(NEXT) | instid1(VALU_DEP_1)
	v_lshlrev_b16 v56, 8, v56
	v_or_b32_e32 v56, v60, v56
	s_delay_alu instid0(VALU_DEP_1) | instskip(NEXT) | instid1(VALU_DEP_1)
	v_lshlrev_b32_e32 v56, 16, v56
	v_or_b32_e32 v55, v55, v56
	ds_store_b64 v1, v[54:55]
	s_wait_loadcnt_dscnt 0x0
	s_barrier_signal -1
	s_barrier_wait -1
	global_inv scope:SCOPE_SE
	s_and_saveexec_b32 s9, s4
	s_cbranch_execz .LBB118_134
; %bb.131:                              ;   in Loop: Header=BB118_2 Depth=1
	v_dual_mov_b32 v53, v49 :: v_dual_mov_b32 v54, v41
	s_mov_b32 s10, 0
.LBB118_132:                            ;   Parent Loop BB118_2 Depth=1
                                        ; =>  This Inner Loop Header: Depth=2
	s_delay_alu instid0(VALU_DEP_1) | instskip(NEXT) | instid1(VALU_DEP_1)
	v_sub_nc_u32_e32 v55, v54, v53
	v_lshrrev_b32_e32 v55, 1, v55
	s_delay_alu instid0(VALU_DEP_1) | instskip(NEXT) | instid1(VALU_DEP_1)
	v_add_nc_u32_e32 v55, v55, v53
	v_add_nc_u32_e32 v56, v6, v55
	v_xad_u32 v57, v55, -1, v33
	v_add_nc_u32_e32 v58, 1, v55
	ds_load_u8 v56, v56
	ds_load_u8 v57, v57
	s_wait_dscnt 0x0
	v_cmp_lt_u16_e64 s8, v57, v56
	s_wait_alu 0xf1ff
	s_delay_alu instid0(VALU_DEP_1) | instskip(SKIP_1) | instid1(VALU_DEP_1)
	v_cndmask_b32_e64 v54, v54, v55, s8
	v_cndmask_b32_e64 v53, v58, v53, s8
	v_cmp_ge_i32_e64 s8, v53, v54
	s_wait_alu 0xfffe
	s_or_b32 s10, s8, s10
	s_wait_alu 0xfffe
	s_and_not1_b32 exec_lo, exec_lo, s10
	s_cbranch_execnz .LBB118_132
; %bb.133:                              ;   in Loop: Header=BB118_2 Depth=1
	s_or_b32 exec_lo, exec_lo, s10
.LBB118_134:                            ;   in Loop: Header=BB118_2 Depth=1
	s_wait_alu 0xfffe
	s_or_b32 exec_lo, exec_lo, s9
	v_add_nc_u32_e32 v58, v53, v6
	v_sub_nc_u32_e32 v57, v33, v53
	ds_load_u8 v53, v58
	ds_load_u8 v54, v57
	v_cmp_le_i32_e64 s8, v21, v58
	v_cmp_gt_i32_e64 s10, v22, v57
	s_wait_dscnt 0x1
	v_and_b32_e32 v55, 0xff, v53
	s_wait_dscnt 0x0
	v_and_b32_e32 v56, 0xff, v54
	s_delay_alu instid0(VALU_DEP_1)
	v_cmp_lt_u16_e64 s9, v56, v55
                                        ; implicit-def: $vgpr55
	s_or_b32 s8, s8, s9
	s_wait_alu 0xfffe
	s_and_b32 s8, s10, s8
	s_wait_alu 0xfffe
	s_xor_b32 s9, s8, -1
	s_wait_alu 0xfffe
	s_and_saveexec_b32 s10, s9
	s_wait_alu 0xfffe
	s_xor_b32 s9, exec_lo, s10
; %bb.135:                              ;   in Loop: Header=BB118_2 Depth=1
	ds_load_u8 v55, v58 offset:1
; %bb.136:                              ;   in Loop: Header=BB118_2 Depth=1
	s_wait_alu 0xfffe
	s_or_saveexec_b32 s9, s9
	v_mov_b32_e32 v56, v54
	s_wait_alu 0xfffe
	s_xor_b32 exec_lo, exec_lo, s9
	s_cbranch_execz .LBB118_138
; %bb.137:                              ;   in Loop: Header=BB118_2 Depth=1
	ds_load_u8 v56, v57 offset:1
	s_wait_dscnt 0x1
	v_mov_b32_e32 v55, v53
.LBB118_138:                            ;   in Loop: Header=BB118_2 Depth=1
	s_or_b32 exec_lo, exec_lo, s9
	v_add_nc_u32_e32 v59, 1, v58
	v_add_nc_u32_e32 v61, 1, v57
	s_wait_dscnt 0x0
	v_and_b32_e32 v62, 0xff, v55
	s_delay_alu instid0(VALU_DEP_3) | instskip(SKIP_2) | instid1(VALU_DEP_3)
	v_cndmask_b32_e64 v60, v59, v58, s8
	v_and_b32_e32 v58, 0xff, v56
	v_cndmask_b32_e64 v59, v57, v61, s8
                                        ; implicit-def: $vgpr57
	v_cmp_ge_i32_e64 s9, v60, v21
	s_delay_alu instid0(VALU_DEP_3) | instskip(NEXT) | instid1(VALU_DEP_3)
	v_cmp_lt_u16_e64 s10, v58, v62
	v_cmp_lt_i32_e64 s11, v59, v22
	s_or_b32 s9, s9, s10
	s_wait_alu 0xfffe
	s_and_b32 s9, s11, s9
	s_wait_alu 0xfffe
	s_xor_b32 s10, s9, -1
	s_wait_alu 0xfffe
	s_and_saveexec_b32 s11, s10
	s_wait_alu 0xfffe
	s_xor_b32 s10, exec_lo, s11
; %bb.139:                              ;   in Loop: Header=BB118_2 Depth=1
	ds_load_u8 v57, v60 offset:1
; %bb.140:                              ;   in Loop: Header=BB118_2 Depth=1
	s_wait_alu 0xfffe
	s_or_saveexec_b32 s10, s10
	v_mov_b32_e32 v58, v56
	s_wait_alu 0xfffe
	s_xor_b32 exec_lo, exec_lo, s10
	s_cbranch_execz .LBB118_142
; %bb.141:                              ;   in Loop: Header=BB118_2 Depth=1
	ds_load_u8 v58, v59 offset:1
	s_wait_dscnt 0x1
	v_mov_b32_e32 v57, v55
.LBB118_142:                            ;   in Loop: Header=BB118_2 Depth=1
	s_or_b32 exec_lo, exec_lo, s10
	v_add_nc_u32_e32 v61, 1, v60
	v_add_nc_u32_e32 v63, 1, v59
	s_wait_dscnt 0x0
	v_and_b32_e32 v64, 0xff, v57
	s_delay_alu instid0(VALU_DEP_3) | instskip(SKIP_2) | instid1(VALU_DEP_3)
	v_cndmask_b32_e64 v62, v61, v60, s9
	v_and_b32_e32 v60, 0xff, v58
	v_cndmask_b32_e64 v61, v59, v63, s9
                                        ; implicit-def: $vgpr59
	v_cmp_ge_i32_e64 s10, v62, v21
	s_delay_alu instid0(VALU_DEP_3) | instskip(NEXT) | instid1(VALU_DEP_3)
	v_cmp_lt_u16_e64 s11, v60, v64
	v_cmp_lt_i32_e64 s12, v61, v22
	s_or_b32 s10, s10, s11
	s_wait_alu 0xfffe
	s_and_b32 s10, s12, s10
	s_wait_alu 0xfffe
	s_xor_b32 s11, s10, -1
	s_wait_alu 0xfffe
	s_and_saveexec_b32 s12, s11
	s_wait_alu 0xfffe
	s_xor_b32 s11, exec_lo, s12
; %bb.143:                              ;   in Loop: Header=BB118_2 Depth=1
	ds_load_u8 v59, v62 offset:1
; %bb.144:                              ;   in Loop: Header=BB118_2 Depth=1
	s_wait_alu 0xfffe
	s_or_saveexec_b32 s11, s11
	v_mov_b32_e32 v60, v58
	s_wait_alu 0xfffe
	s_xor_b32 exec_lo, exec_lo, s11
	s_cbranch_execz .LBB118_146
; %bb.145:                              ;   in Loop: Header=BB118_2 Depth=1
	ds_load_u8 v60, v61 offset:1
	s_wait_dscnt 0x1
	v_mov_b32_e32 v59, v57
.LBB118_146:                            ;   in Loop: Header=BB118_2 Depth=1
	s_or_b32 exec_lo, exec_lo, s11
	v_add_nc_u32_e32 v63, 1, v62
	v_add_nc_u32_e32 v65, 1, v61
	s_wait_dscnt 0x0
	v_and_b32_e32 v66, 0xff, v59
	s_delay_alu instid0(VALU_DEP_3) | instskip(SKIP_2) | instid1(VALU_DEP_3)
	v_cndmask_b32_e64 v64, v63, v62, s10
	v_and_b32_e32 v62, 0xff, v60
	v_cndmask_b32_e64 v63, v61, v65, s10
                                        ; implicit-def: $vgpr61
	v_cmp_ge_i32_e64 s11, v64, v21
	s_delay_alu instid0(VALU_DEP_3) | instskip(NEXT) | instid1(VALU_DEP_3)
	v_cmp_lt_u16_e64 s12, v62, v66
	v_cmp_lt_i32_e64 s13, v63, v22
	s_or_b32 s11, s11, s12
	s_wait_alu 0xfffe
	s_and_b32 s11, s13, s11
	s_wait_alu 0xfffe
	s_xor_b32 s12, s11, -1
	s_wait_alu 0xfffe
	s_and_saveexec_b32 s13, s12
	s_wait_alu 0xfffe
	s_xor_b32 s12, exec_lo, s13
; %bb.147:                              ;   in Loop: Header=BB118_2 Depth=1
	ds_load_u8 v61, v64 offset:1
; %bb.148:                              ;   in Loop: Header=BB118_2 Depth=1
	s_wait_alu 0xfffe
	s_or_saveexec_b32 s12, s12
	v_mov_b32_e32 v62, v60
	s_wait_alu 0xfffe
	s_xor_b32 exec_lo, exec_lo, s12
	s_cbranch_execz .LBB118_150
; %bb.149:                              ;   in Loop: Header=BB118_2 Depth=1
	ds_load_u8 v62, v63 offset:1
	s_wait_dscnt 0x1
	v_mov_b32_e32 v61, v59
.LBB118_150:                            ;   in Loop: Header=BB118_2 Depth=1
	s_or_b32 exec_lo, exec_lo, s12
	v_add_nc_u32_e32 v65, 1, v64
	v_add_nc_u32_e32 v67, 1, v63
	s_wait_dscnt 0x0
	v_and_b32_e32 v68, 0xff, v61
	s_delay_alu instid0(VALU_DEP_3) | instskip(SKIP_2) | instid1(VALU_DEP_3)
	v_cndmask_b32_e64 v66, v65, v64, s11
	v_and_b32_e32 v64, 0xff, v62
	v_cndmask_b32_e64 v65, v63, v67, s11
                                        ; implicit-def: $vgpr63
	v_cmp_ge_i32_e64 s12, v66, v21
	s_delay_alu instid0(VALU_DEP_3) | instskip(NEXT) | instid1(VALU_DEP_3)
	v_cmp_lt_u16_e64 s13, v64, v68
	v_cmp_lt_i32_e64 s14, v65, v22
	s_or_b32 s12, s12, s13
	s_wait_alu 0xfffe
	s_and_b32 s12, s14, s12
	s_wait_alu 0xfffe
	s_xor_b32 s13, s12, -1
	s_wait_alu 0xfffe
	s_and_saveexec_b32 s14, s13
	s_wait_alu 0xfffe
	s_xor_b32 s13, exec_lo, s14
; %bb.151:                              ;   in Loop: Header=BB118_2 Depth=1
	ds_load_u8 v63, v66 offset:1
; %bb.152:                              ;   in Loop: Header=BB118_2 Depth=1
	s_wait_alu 0xfffe
	s_or_saveexec_b32 s13, s13
	v_mov_b32_e32 v64, v62
	s_wait_alu 0xfffe
	s_xor_b32 exec_lo, exec_lo, s13
	s_cbranch_execz .LBB118_154
; %bb.153:                              ;   in Loop: Header=BB118_2 Depth=1
	ds_load_u8 v64, v65 offset:1
	s_wait_dscnt 0x1
	v_mov_b32_e32 v63, v61
.LBB118_154:                            ;   in Loop: Header=BB118_2 Depth=1
	s_or_b32 exec_lo, exec_lo, s13
	v_add_nc_u32_e32 v67, 1, v66
	v_add_nc_u32_e32 v69, 1, v65
	s_wait_dscnt 0x0
	v_and_b32_e32 v70, 0xff, v63
	s_delay_alu instid0(VALU_DEP_3) | instskip(SKIP_2) | instid1(VALU_DEP_3)
	v_cndmask_b32_e64 v68, v67, v66, s12
	v_and_b32_e32 v66, 0xff, v64
	v_cndmask_b32_e64 v67, v65, v69, s12
                                        ; implicit-def: $vgpr65
	v_cmp_ge_i32_e64 s13, v68, v21
	s_delay_alu instid0(VALU_DEP_3) | instskip(NEXT) | instid1(VALU_DEP_3)
	v_cmp_lt_u16_e64 s14, v66, v70
	v_cmp_lt_i32_e64 s15, v67, v22
	s_or_b32 s13, s13, s14
	s_wait_alu 0xfffe
	s_and_b32 s13, s15, s13
	s_wait_alu 0xfffe
	s_xor_b32 s14, s13, -1
	s_wait_alu 0xfffe
	s_and_saveexec_b32 s15, s14
	s_wait_alu 0xfffe
	s_xor_b32 s14, exec_lo, s15
; %bb.155:                              ;   in Loop: Header=BB118_2 Depth=1
	ds_load_u8 v65, v68 offset:1
; %bb.156:                              ;   in Loop: Header=BB118_2 Depth=1
	s_wait_alu 0xfffe
	s_or_saveexec_b32 s14, s14
	v_mov_b32_e32 v66, v64
	s_wait_alu 0xfffe
	s_xor_b32 exec_lo, exec_lo, s14
	s_cbranch_execz .LBB118_158
; %bb.157:                              ;   in Loop: Header=BB118_2 Depth=1
	ds_load_u8 v66, v67 offset:1
	s_wait_dscnt 0x1
	v_mov_b32_e32 v65, v63
.LBB118_158:                            ;   in Loop: Header=BB118_2 Depth=1
	s_or_b32 exec_lo, exec_lo, s14
	v_add_nc_u32_e32 v69, 1, v68
	v_add_nc_u32_e32 v70, 1, v67
	s_wait_dscnt 0x0
	v_and_b32_e32 v71, 0xff, v65
	v_and_b32_e32 v72, 0xff, v66
	v_cndmask_b32_e64 v69, v69, v68, s13
	v_cndmask_b32_e64 v68, v67, v70, s13
                                        ; implicit-def: $vgpr67
	s_delay_alu instid0(VALU_DEP_3) | instskip(NEXT) | instid1(VALU_DEP_3)
	v_cmp_lt_u16_e64 s15, v72, v71
	v_cmp_ge_i32_e64 s14, v69, v21
	s_delay_alu instid0(VALU_DEP_3)
	v_cmp_lt_i32_e64 s16, v68, v22
	s_or_b32 s14, s14, s15
	s_wait_alu 0xfffe
	s_and_b32 s14, s16, s14
	s_wait_alu 0xfffe
	s_xor_b32 s15, s14, -1
	s_wait_alu 0xfffe
	s_and_saveexec_b32 s16, s15
	s_delay_alu instid0(SALU_CYCLE_1)
	s_xor_b32 s15, exec_lo, s16
; %bb.159:                              ;   in Loop: Header=BB118_2 Depth=1
	ds_load_u8 v67, v69 offset:1
; %bb.160:                              ;   in Loop: Header=BB118_2 Depth=1
	s_wait_alu 0xfffe
	s_or_saveexec_b32 s15, s15
	v_mov_b32_e32 v70, v66
	s_wait_alu 0xfffe
	s_xor_b32 exec_lo, exec_lo, s15
	s_cbranch_execz .LBB118_162
; %bb.161:                              ;   in Loop: Header=BB118_2 Depth=1
	ds_load_u8 v70, v68 offset:1
	s_wait_dscnt 0x1
	v_mov_b32_e32 v67, v65
.LBB118_162:                            ;   in Loop: Header=BB118_2 Depth=1
	s_or_b32 exec_lo, exec_lo, s15
	v_cndmask_b32_e64 v59, v59, v60, s11
	v_cndmask_b32_e64 v55, v55, v56, s9
	;; [unrolled: 1-line block ×4, first 2 shown]
	v_add_nc_u32_e32 v71, 1, v69
	v_lshlrev_b16 v57, 8, v59
	v_lshlrev_b16 v55, 8, v55
	v_and_b32_e32 v53, 0xff, v53
	v_and_b32_e32 v54, 0xff, v54
	v_cndmask_b32_e64 v65, v65, v66, s14
	v_add_nc_u32_e32 v66, 1, v68
	s_wait_dscnt 0x0
	v_and_b32_e32 v72, 0xff, v67
	v_or_b32_e32 v53, v53, v55
	v_or_b32_e32 v54, v54, v57
	v_and_b32_e32 v73, 0xff, v70
	v_cndmask_b32_e64 v69, v71, v69, s14
	v_cndmask_b32_e64 v63, v63, v64, s13
	v_and_b32_e32 v53, 0xffff, v53
	v_lshlrev_b32_e32 v54, 16, v54
	v_cndmask_b32_e64 v61, v61, v62, s12
	v_cmp_lt_u16_e64 s12, v73, v72
	v_cmp_ge_i32_e64 s13, v69, v21
	v_lshlrev_b16 v58, 8, v63
	v_or_b32_e32 v54, v53, v54
	v_mov_b32_e32 v53, v50
	v_cndmask_b32_e64 v64, v68, v66, s14
	s_or_b32 s8, s13, s12
	v_and_b32_e32 v59, 0xff, v61
	v_and_b32_e32 v60, 0xff, v65
	s_wait_loadcnt 0x0
	v_cmp_lt_i32_e64 s11, v64, v22
	s_barrier_signal -1
	v_or_b32_e32 v55, v59, v58
	s_barrier_wait -1
	global_inv scope:SCOPE_SE
	s_wait_alu 0xfffe
	s_and_b32 s8, s11, s8
	s_wait_alu 0xfffe
	v_cndmask_b32_e64 v56, v67, v70, s8
	v_and_b32_e32 v55, 0xffff, v55
	s_delay_alu instid0(VALU_DEP_2) | instskip(NEXT) | instid1(VALU_DEP_1)
	v_lshlrev_b16 v56, 8, v56
	v_or_b32_e32 v56, v60, v56
	s_delay_alu instid0(VALU_DEP_1) | instskip(NEXT) | instid1(VALU_DEP_1)
	v_lshlrev_b32_e32 v56, 16, v56
	v_or_b32_e32 v55, v55, v56
	ds_store_b64 v1, v[54:55]
	s_wait_loadcnt_dscnt 0x0
	s_barrier_signal -1
	s_barrier_wait -1
	global_inv scope:SCOPE_SE
	s_and_saveexec_b32 s9, s5
	s_cbranch_execz .LBB118_166
; %bb.163:                              ;   in Loop: Header=BB118_2 Depth=1
	v_dual_mov_b32 v53, v50 :: v_dual_mov_b32 v54, v42
	s_mov_b32 s10, 0
.LBB118_164:                            ;   Parent Loop BB118_2 Depth=1
                                        ; =>  This Inner Loop Header: Depth=2
	s_delay_alu instid0(VALU_DEP_1) | instskip(NEXT) | instid1(VALU_DEP_1)
	v_sub_nc_u32_e32 v55, v54, v53
	v_lshrrev_b32_e32 v55, 1, v55
	s_delay_alu instid0(VALU_DEP_1) | instskip(NEXT) | instid1(VALU_DEP_1)
	v_add_nc_u32_e32 v55, v55, v53
	v_add_nc_u32_e32 v56, v7, v55
	v_xad_u32 v57, v55, -1, v34
	v_add_nc_u32_e32 v58, 1, v55
	ds_load_u8 v56, v56
	ds_load_u8 v57, v57
	s_wait_dscnt 0x0
	v_cmp_lt_u16_e64 s8, v57, v56
	s_wait_alu 0xf1ff
	s_delay_alu instid0(VALU_DEP_1) | instskip(SKIP_1) | instid1(VALU_DEP_1)
	v_cndmask_b32_e64 v54, v54, v55, s8
	v_cndmask_b32_e64 v53, v58, v53, s8
	v_cmp_ge_i32_e64 s8, v53, v54
	s_wait_alu 0xfffe
	s_or_b32 s10, s8, s10
	s_wait_alu 0xfffe
	s_and_not1_b32 exec_lo, exec_lo, s10
	s_cbranch_execnz .LBB118_164
; %bb.165:                              ;   in Loop: Header=BB118_2 Depth=1
	s_or_b32 exec_lo, exec_lo, s10
.LBB118_166:                            ;   in Loop: Header=BB118_2 Depth=1
	s_wait_alu 0xfffe
	s_or_b32 exec_lo, exec_lo, s9
	v_add_nc_u32_e32 v58, v53, v7
	v_sub_nc_u32_e32 v57, v34, v53
	ds_load_u8 v53, v58
	ds_load_u8 v54, v57
	v_cmp_le_i32_e64 s8, v23, v58
	v_cmp_gt_i32_e64 s10, v24, v57
	s_wait_dscnt 0x1
	v_and_b32_e32 v55, 0xff, v53
	s_wait_dscnt 0x0
	v_and_b32_e32 v56, 0xff, v54
	s_delay_alu instid0(VALU_DEP_1)
	v_cmp_lt_u16_e64 s9, v56, v55
                                        ; implicit-def: $vgpr55
	s_or_b32 s8, s8, s9
	s_wait_alu 0xfffe
	s_and_b32 s8, s10, s8
	s_wait_alu 0xfffe
	s_xor_b32 s9, s8, -1
	s_wait_alu 0xfffe
	s_and_saveexec_b32 s10, s9
	s_wait_alu 0xfffe
	s_xor_b32 s9, exec_lo, s10
; %bb.167:                              ;   in Loop: Header=BB118_2 Depth=1
	ds_load_u8 v55, v58 offset:1
; %bb.168:                              ;   in Loop: Header=BB118_2 Depth=1
	s_wait_alu 0xfffe
	s_or_saveexec_b32 s9, s9
	v_mov_b32_e32 v56, v54
	s_wait_alu 0xfffe
	s_xor_b32 exec_lo, exec_lo, s9
	s_cbranch_execz .LBB118_170
; %bb.169:                              ;   in Loop: Header=BB118_2 Depth=1
	ds_load_u8 v56, v57 offset:1
	s_wait_dscnt 0x1
	v_mov_b32_e32 v55, v53
.LBB118_170:                            ;   in Loop: Header=BB118_2 Depth=1
	s_or_b32 exec_lo, exec_lo, s9
	v_add_nc_u32_e32 v59, 1, v58
	v_add_nc_u32_e32 v61, 1, v57
	s_wait_dscnt 0x0
	v_and_b32_e32 v62, 0xff, v55
	s_delay_alu instid0(VALU_DEP_3) | instskip(SKIP_2) | instid1(VALU_DEP_3)
	v_cndmask_b32_e64 v60, v59, v58, s8
	v_and_b32_e32 v58, 0xff, v56
	v_cndmask_b32_e64 v59, v57, v61, s8
                                        ; implicit-def: $vgpr57
	v_cmp_ge_i32_e64 s9, v60, v23
	s_delay_alu instid0(VALU_DEP_3) | instskip(NEXT) | instid1(VALU_DEP_3)
	v_cmp_lt_u16_e64 s10, v58, v62
	v_cmp_lt_i32_e64 s11, v59, v24
	s_or_b32 s9, s9, s10
	s_wait_alu 0xfffe
	s_and_b32 s9, s11, s9
	s_wait_alu 0xfffe
	s_xor_b32 s10, s9, -1
	s_wait_alu 0xfffe
	s_and_saveexec_b32 s11, s10
	s_wait_alu 0xfffe
	s_xor_b32 s10, exec_lo, s11
; %bb.171:                              ;   in Loop: Header=BB118_2 Depth=1
	ds_load_u8 v57, v60 offset:1
; %bb.172:                              ;   in Loop: Header=BB118_2 Depth=1
	s_wait_alu 0xfffe
	s_or_saveexec_b32 s10, s10
	v_mov_b32_e32 v58, v56
	s_wait_alu 0xfffe
	s_xor_b32 exec_lo, exec_lo, s10
	s_cbranch_execz .LBB118_174
; %bb.173:                              ;   in Loop: Header=BB118_2 Depth=1
	ds_load_u8 v58, v59 offset:1
	s_wait_dscnt 0x1
	v_mov_b32_e32 v57, v55
.LBB118_174:                            ;   in Loop: Header=BB118_2 Depth=1
	s_or_b32 exec_lo, exec_lo, s10
	v_add_nc_u32_e32 v61, 1, v60
	v_add_nc_u32_e32 v63, 1, v59
	s_wait_dscnt 0x0
	v_and_b32_e32 v64, 0xff, v57
	s_delay_alu instid0(VALU_DEP_3) | instskip(SKIP_2) | instid1(VALU_DEP_3)
	v_cndmask_b32_e64 v62, v61, v60, s9
	v_and_b32_e32 v60, 0xff, v58
	v_cndmask_b32_e64 v61, v59, v63, s9
                                        ; implicit-def: $vgpr59
	v_cmp_ge_i32_e64 s10, v62, v23
	s_delay_alu instid0(VALU_DEP_3) | instskip(NEXT) | instid1(VALU_DEP_3)
	v_cmp_lt_u16_e64 s11, v60, v64
	v_cmp_lt_i32_e64 s12, v61, v24
	s_or_b32 s10, s10, s11
	s_wait_alu 0xfffe
	s_and_b32 s10, s12, s10
	s_wait_alu 0xfffe
	s_xor_b32 s11, s10, -1
	s_wait_alu 0xfffe
	s_and_saveexec_b32 s12, s11
	s_wait_alu 0xfffe
	s_xor_b32 s11, exec_lo, s12
; %bb.175:                              ;   in Loop: Header=BB118_2 Depth=1
	ds_load_u8 v59, v62 offset:1
; %bb.176:                              ;   in Loop: Header=BB118_2 Depth=1
	s_wait_alu 0xfffe
	s_or_saveexec_b32 s11, s11
	v_mov_b32_e32 v60, v58
	s_wait_alu 0xfffe
	s_xor_b32 exec_lo, exec_lo, s11
	s_cbranch_execz .LBB118_178
; %bb.177:                              ;   in Loop: Header=BB118_2 Depth=1
	ds_load_u8 v60, v61 offset:1
	s_wait_dscnt 0x1
	v_mov_b32_e32 v59, v57
.LBB118_178:                            ;   in Loop: Header=BB118_2 Depth=1
	s_or_b32 exec_lo, exec_lo, s11
	v_add_nc_u32_e32 v63, 1, v62
	v_add_nc_u32_e32 v65, 1, v61
	s_wait_dscnt 0x0
	v_and_b32_e32 v66, 0xff, v59
	s_delay_alu instid0(VALU_DEP_3) | instskip(SKIP_2) | instid1(VALU_DEP_3)
	v_cndmask_b32_e64 v64, v63, v62, s10
	v_and_b32_e32 v62, 0xff, v60
	v_cndmask_b32_e64 v63, v61, v65, s10
                                        ; implicit-def: $vgpr61
	v_cmp_ge_i32_e64 s11, v64, v23
	s_delay_alu instid0(VALU_DEP_3) | instskip(NEXT) | instid1(VALU_DEP_3)
	v_cmp_lt_u16_e64 s12, v62, v66
	v_cmp_lt_i32_e64 s13, v63, v24
	s_or_b32 s11, s11, s12
	s_wait_alu 0xfffe
	s_and_b32 s11, s13, s11
	s_wait_alu 0xfffe
	s_xor_b32 s12, s11, -1
	s_wait_alu 0xfffe
	s_and_saveexec_b32 s13, s12
	s_wait_alu 0xfffe
	s_xor_b32 s12, exec_lo, s13
; %bb.179:                              ;   in Loop: Header=BB118_2 Depth=1
	ds_load_u8 v61, v64 offset:1
; %bb.180:                              ;   in Loop: Header=BB118_2 Depth=1
	s_wait_alu 0xfffe
	s_or_saveexec_b32 s12, s12
	v_mov_b32_e32 v62, v60
	s_wait_alu 0xfffe
	s_xor_b32 exec_lo, exec_lo, s12
	s_cbranch_execz .LBB118_182
; %bb.181:                              ;   in Loop: Header=BB118_2 Depth=1
	ds_load_u8 v62, v63 offset:1
	s_wait_dscnt 0x1
	v_mov_b32_e32 v61, v59
.LBB118_182:                            ;   in Loop: Header=BB118_2 Depth=1
	s_or_b32 exec_lo, exec_lo, s12
	v_add_nc_u32_e32 v65, 1, v64
	v_add_nc_u32_e32 v67, 1, v63
	s_wait_dscnt 0x0
	v_and_b32_e32 v68, 0xff, v61
	s_delay_alu instid0(VALU_DEP_3) | instskip(SKIP_2) | instid1(VALU_DEP_3)
	v_cndmask_b32_e64 v66, v65, v64, s11
	v_and_b32_e32 v64, 0xff, v62
	v_cndmask_b32_e64 v65, v63, v67, s11
                                        ; implicit-def: $vgpr63
	v_cmp_ge_i32_e64 s12, v66, v23
	s_delay_alu instid0(VALU_DEP_3) | instskip(NEXT) | instid1(VALU_DEP_3)
	v_cmp_lt_u16_e64 s13, v64, v68
	v_cmp_lt_i32_e64 s14, v65, v24
	s_or_b32 s12, s12, s13
	s_wait_alu 0xfffe
	s_and_b32 s12, s14, s12
	s_wait_alu 0xfffe
	s_xor_b32 s13, s12, -1
	s_wait_alu 0xfffe
	s_and_saveexec_b32 s14, s13
	s_wait_alu 0xfffe
	s_xor_b32 s13, exec_lo, s14
; %bb.183:                              ;   in Loop: Header=BB118_2 Depth=1
	ds_load_u8 v63, v66 offset:1
; %bb.184:                              ;   in Loop: Header=BB118_2 Depth=1
	s_wait_alu 0xfffe
	s_or_saveexec_b32 s13, s13
	v_mov_b32_e32 v64, v62
	s_wait_alu 0xfffe
	s_xor_b32 exec_lo, exec_lo, s13
	s_cbranch_execz .LBB118_186
; %bb.185:                              ;   in Loop: Header=BB118_2 Depth=1
	ds_load_u8 v64, v65 offset:1
	s_wait_dscnt 0x1
	v_mov_b32_e32 v63, v61
.LBB118_186:                            ;   in Loop: Header=BB118_2 Depth=1
	s_or_b32 exec_lo, exec_lo, s13
	v_add_nc_u32_e32 v67, 1, v66
	v_add_nc_u32_e32 v69, 1, v65
	s_wait_dscnt 0x0
	v_and_b32_e32 v70, 0xff, v63
	s_delay_alu instid0(VALU_DEP_3) | instskip(SKIP_2) | instid1(VALU_DEP_3)
	v_cndmask_b32_e64 v68, v67, v66, s12
	v_and_b32_e32 v66, 0xff, v64
	v_cndmask_b32_e64 v67, v65, v69, s12
                                        ; implicit-def: $vgpr65
	v_cmp_ge_i32_e64 s13, v68, v23
	s_delay_alu instid0(VALU_DEP_3) | instskip(NEXT) | instid1(VALU_DEP_3)
	v_cmp_lt_u16_e64 s14, v66, v70
	v_cmp_lt_i32_e64 s15, v67, v24
	s_or_b32 s13, s13, s14
	s_wait_alu 0xfffe
	s_and_b32 s13, s15, s13
	s_wait_alu 0xfffe
	s_xor_b32 s14, s13, -1
	s_wait_alu 0xfffe
	s_and_saveexec_b32 s15, s14
	s_wait_alu 0xfffe
	s_xor_b32 s14, exec_lo, s15
; %bb.187:                              ;   in Loop: Header=BB118_2 Depth=1
	ds_load_u8 v65, v68 offset:1
; %bb.188:                              ;   in Loop: Header=BB118_2 Depth=1
	s_wait_alu 0xfffe
	s_or_saveexec_b32 s14, s14
	v_mov_b32_e32 v66, v64
	s_wait_alu 0xfffe
	s_xor_b32 exec_lo, exec_lo, s14
	s_cbranch_execz .LBB118_190
; %bb.189:                              ;   in Loop: Header=BB118_2 Depth=1
	ds_load_u8 v66, v67 offset:1
	s_wait_dscnt 0x1
	v_mov_b32_e32 v65, v63
.LBB118_190:                            ;   in Loop: Header=BB118_2 Depth=1
	s_or_b32 exec_lo, exec_lo, s14
	v_add_nc_u32_e32 v69, 1, v68
	v_add_nc_u32_e32 v70, 1, v67
	s_wait_dscnt 0x0
	v_and_b32_e32 v71, 0xff, v65
	v_and_b32_e32 v72, 0xff, v66
	v_cndmask_b32_e64 v69, v69, v68, s13
	v_cndmask_b32_e64 v68, v67, v70, s13
                                        ; implicit-def: $vgpr67
	s_delay_alu instid0(VALU_DEP_3) | instskip(NEXT) | instid1(VALU_DEP_3)
	v_cmp_lt_u16_e64 s15, v72, v71
	v_cmp_ge_i32_e64 s14, v69, v23
	s_delay_alu instid0(VALU_DEP_3)
	v_cmp_lt_i32_e64 s16, v68, v24
	s_or_b32 s14, s14, s15
	s_wait_alu 0xfffe
	s_and_b32 s14, s16, s14
	s_wait_alu 0xfffe
	s_xor_b32 s15, s14, -1
	s_wait_alu 0xfffe
	s_and_saveexec_b32 s16, s15
	s_delay_alu instid0(SALU_CYCLE_1)
	s_xor_b32 s15, exec_lo, s16
; %bb.191:                              ;   in Loop: Header=BB118_2 Depth=1
	ds_load_u8 v67, v69 offset:1
; %bb.192:                              ;   in Loop: Header=BB118_2 Depth=1
	s_wait_alu 0xfffe
	s_or_saveexec_b32 s15, s15
	v_mov_b32_e32 v70, v66
	s_wait_alu 0xfffe
	s_xor_b32 exec_lo, exec_lo, s15
	s_cbranch_execz .LBB118_194
; %bb.193:                              ;   in Loop: Header=BB118_2 Depth=1
	ds_load_u8 v70, v68 offset:1
	s_wait_dscnt 0x1
	v_mov_b32_e32 v67, v65
.LBB118_194:                            ;   in Loop: Header=BB118_2 Depth=1
	s_or_b32 exec_lo, exec_lo, s15
	v_cndmask_b32_e64 v59, v59, v60, s11
	v_cndmask_b32_e64 v55, v55, v56, s9
	;; [unrolled: 1-line block ×4, first 2 shown]
	v_add_nc_u32_e32 v71, 1, v69
	v_lshlrev_b16 v57, 8, v59
	v_lshlrev_b16 v55, 8, v55
	v_and_b32_e32 v53, 0xff, v53
	v_and_b32_e32 v54, 0xff, v54
	v_cndmask_b32_e64 v65, v65, v66, s14
	v_add_nc_u32_e32 v66, 1, v68
	s_wait_dscnt 0x0
	v_and_b32_e32 v72, 0xff, v67
	v_or_b32_e32 v53, v53, v55
	v_or_b32_e32 v54, v54, v57
	v_and_b32_e32 v73, 0xff, v70
	v_cndmask_b32_e64 v69, v71, v69, s14
	v_cndmask_b32_e64 v63, v63, v64, s13
	v_and_b32_e32 v53, 0xffff, v53
	v_lshlrev_b32_e32 v54, 16, v54
	v_cndmask_b32_e64 v61, v61, v62, s12
	v_cmp_lt_u16_e64 s12, v73, v72
	v_cmp_ge_i32_e64 s13, v69, v23
	v_lshlrev_b16 v58, 8, v63
	v_or_b32_e32 v54, v53, v54
	v_mov_b32_e32 v53, v51
	v_cndmask_b32_e64 v64, v68, v66, s14
	s_or_b32 s8, s13, s12
	v_and_b32_e32 v59, 0xff, v61
	v_and_b32_e32 v60, 0xff, v65
	s_wait_loadcnt 0x0
	v_cmp_lt_i32_e64 s11, v64, v24
	s_barrier_signal -1
	v_or_b32_e32 v55, v59, v58
	s_barrier_wait -1
	global_inv scope:SCOPE_SE
	s_wait_alu 0xfffe
	s_and_b32 s8, s11, s8
	s_wait_alu 0xfffe
	v_cndmask_b32_e64 v56, v67, v70, s8
	v_and_b32_e32 v55, 0xffff, v55
	s_delay_alu instid0(VALU_DEP_2) | instskip(NEXT) | instid1(VALU_DEP_1)
	v_lshlrev_b16 v56, 8, v56
	v_or_b32_e32 v56, v60, v56
	s_delay_alu instid0(VALU_DEP_1) | instskip(NEXT) | instid1(VALU_DEP_1)
	v_lshlrev_b32_e32 v56, 16, v56
	v_or_b32_e32 v55, v55, v56
	ds_store_b64 v1, v[54:55]
	s_wait_loadcnt_dscnt 0x0
	s_barrier_signal -1
	s_barrier_wait -1
	global_inv scope:SCOPE_SE
	s_and_saveexec_b32 s9, s6
	s_cbranch_execz .LBB118_198
; %bb.195:                              ;   in Loop: Header=BB118_2 Depth=1
	v_dual_mov_b32 v53, v51 :: v_dual_mov_b32 v54, v43
	s_mov_b32 s10, 0
.LBB118_196:                            ;   Parent Loop BB118_2 Depth=1
                                        ; =>  This Inner Loop Header: Depth=2
	s_delay_alu instid0(VALU_DEP_1) | instskip(NEXT) | instid1(VALU_DEP_1)
	v_sub_nc_u32_e32 v55, v54, v53
	v_lshrrev_b32_e32 v55, 1, v55
	s_delay_alu instid0(VALU_DEP_1) | instskip(NEXT) | instid1(VALU_DEP_1)
	v_add_nc_u32_e32 v55, v55, v53
	v_add_nc_u32_e32 v56, v8, v55
	v_xad_u32 v57, v55, -1, v35
	v_add_nc_u32_e32 v58, 1, v55
	ds_load_u8 v56, v56
	ds_load_u8 v57, v57
	s_wait_dscnt 0x0
	v_cmp_lt_u16_e64 s8, v57, v56
	s_wait_alu 0xf1ff
	s_delay_alu instid0(VALU_DEP_1) | instskip(SKIP_1) | instid1(VALU_DEP_1)
	v_cndmask_b32_e64 v54, v54, v55, s8
	v_cndmask_b32_e64 v53, v58, v53, s8
	v_cmp_ge_i32_e64 s8, v53, v54
	s_wait_alu 0xfffe
	s_or_b32 s10, s8, s10
	s_wait_alu 0xfffe
	s_and_not1_b32 exec_lo, exec_lo, s10
	s_cbranch_execnz .LBB118_196
; %bb.197:                              ;   in Loop: Header=BB118_2 Depth=1
	s_or_b32 exec_lo, exec_lo, s10
.LBB118_198:                            ;   in Loop: Header=BB118_2 Depth=1
	s_wait_alu 0xfffe
	s_or_b32 exec_lo, exec_lo, s9
	v_add_nc_u32_e32 v58, v53, v8
	v_sub_nc_u32_e32 v57, v35, v53
	ds_load_u8 v53, v58
	ds_load_u8 v54, v57
	v_cmp_le_i32_e64 s8, v25, v58
	v_cmp_gt_i32_e64 s10, v26, v57
	s_wait_dscnt 0x1
	v_and_b32_e32 v55, 0xff, v53
	s_wait_dscnt 0x0
	v_and_b32_e32 v56, 0xff, v54
	s_delay_alu instid0(VALU_DEP_1)
	v_cmp_lt_u16_e64 s9, v56, v55
                                        ; implicit-def: $vgpr55
	s_or_b32 s8, s8, s9
	s_wait_alu 0xfffe
	s_and_b32 s8, s10, s8
	s_wait_alu 0xfffe
	s_xor_b32 s9, s8, -1
	s_wait_alu 0xfffe
	s_and_saveexec_b32 s10, s9
	s_wait_alu 0xfffe
	s_xor_b32 s9, exec_lo, s10
; %bb.199:                              ;   in Loop: Header=BB118_2 Depth=1
	ds_load_u8 v55, v58 offset:1
; %bb.200:                              ;   in Loop: Header=BB118_2 Depth=1
	s_wait_alu 0xfffe
	s_or_saveexec_b32 s9, s9
	v_mov_b32_e32 v56, v54
	s_wait_alu 0xfffe
	s_xor_b32 exec_lo, exec_lo, s9
	s_cbranch_execz .LBB118_202
; %bb.201:                              ;   in Loop: Header=BB118_2 Depth=1
	ds_load_u8 v56, v57 offset:1
	s_wait_dscnt 0x1
	v_mov_b32_e32 v55, v53
.LBB118_202:                            ;   in Loop: Header=BB118_2 Depth=1
	s_or_b32 exec_lo, exec_lo, s9
	v_add_nc_u32_e32 v59, 1, v58
	v_add_nc_u32_e32 v61, 1, v57
	s_wait_dscnt 0x0
	v_and_b32_e32 v62, 0xff, v55
	s_delay_alu instid0(VALU_DEP_3) | instskip(SKIP_2) | instid1(VALU_DEP_3)
	v_cndmask_b32_e64 v60, v59, v58, s8
	v_and_b32_e32 v58, 0xff, v56
	v_cndmask_b32_e64 v59, v57, v61, s8
                                        ; implicit-def: $vgpr57
	v_cmp_ge_i32_e64 s9, v60, v25
	s_delay_alu instid0(VALU_DEP_3) | instskip(NEXT) | instid1(VALU_DEP_3)
	v_cmp_lt_u16_e64 s10, v58, v62
	v_cmp_lt_i32_e64 s11, v59, v26
	s_or_b32 s9, s9, s10
	s_wait_alu 0xfffe
	s_and_b32 s9, s11, s9
	s_wait_alu 0xfffe
	s_xor_b32 s10, s9, -1
	s_wait_alu 0xfffe
	s_and_saveexec_b32 s11, s10
	s_wait_alu 0xfffe
	s_xor_b32 s10, exec_lo, s11
; %bb.203:                              ;   in Loop: Header=BB118_2 Depth=1
	ds_load_u8 v57, v60 offset:1
; %bb.204:                              ;   in Loop: Header=BB118_2 Depth=1
	s_wait_alu 0xfffe
	s_or_saveexec_b32 s10, s10
	v_mov_b32_e32 v58, v56
	s_wait_alu 0xfffe
	s_xor_b32 exec_lo, exec_lo, s10
	s_cbranch_execz .LBB118_206
; %bb.205:                              ;   in Loop: Header=BB118_2 Depth=1
	ds_load_u8 v58, v59 offset:1
	s_wait_dscnt 0x1
	v_mov_b32_e32 v57, v55
.LBB118_206:                            ;   in Loop: Header=BB118_2 Depth=1
	s_or_b32 exec_lo, exec_lo, s10
	v_add_nc_u32_e32 v61, 1, v60
	v_add_nc_u32_e32 v63, 1, v59
	s_wait_dscnt 0x0
	v_and_b32_e32 v64, 0xff, v57
	s_delay_alu instid0(VALU_DEP_3) | instskip(SKIP_2) | instid1(VALU_DEP_3)
	v_cndmask_b32_e64 v62, v61, v60, s9
	v_and_b32_e32 v60, 0xff, v58
	v_cndmask_b32_e64 v61, v59, v63, s9
                                        ; implicit-def: $vgpr59
	v_cmp_ge_i32_e64 s10, v62, v25
	s_delay_alu instid0(VALU_DEP_3) | instskip(NEXT) | instid1(VALU_DEP_3)
	v_cmp_lt_u16_e64 s11, v60, v64
	v_cmp_lt_i32_e64 s12, v61, v26
	s_or_b32 s10, s10, s11
	s_wait_alu 0xfffe
	s_and_b32 s10, s12, s10
	s_wait_alu 0xfffe
	s_xor_b32 s11, s10, -1
	s_wait_alu 0xfffe
	s_and_saveexec_b32 s12, s11
	s_wait_alu 0xfffe
	s_xor_b32 s11, exec_lo, s12
; %bb.207:                              ;   in Loop: Header=BB118_2 Depth=1
	ds_load_u8 v59, v62 offset:1
; %bb.208:                              ;   in Loop: Header=BB118_2 Depth=1
	s_wait_alu 0xfffe
	s_or_saveexec_b32 s11, s11
	v_mov_b32_e32 v60, v58
	s_wait_alu 0xfffe
	s_xor_b32 exec_lo, exec_lo, s11
	s_cbranch_execz .LBB118_210
; %bb.209:                              ;   in Loop: Header=BB118_2 Depth=1
	ds_load_u8 v60, v61 offset:1
	s_wait_dscnt 0x1
	v_mov_b32_e32 v59, v57
.LBB118_210:                            ;   in Loop: Header=BB118_2 Depth=1
	s_or_b32 exec_lo, exec_lo, s11
	v_add_nc_u32_e32 v63, 1, v62
	v_add_nc_u32_e32 v65, 1, v61
	s_wait_dscnt 0x0
	v_and_b32_e32 v66, 0xff, v59
	s_delay_alu instid0(VALU_DEP_3) | instskip(SKIP_2) | instid1(VALU_DEP_3)
	v_cndmask_b32_e64 v64, v63, v62, s10
	v_and_b32_e32 v62, 0xff, v60
	v_cndmask_b32_e64 v63, v61, v65, s10
                                        ; implicit-def: $vgpr61
	v_cmp_ge_i32_e64 s11, v64, v25
	s_delay_alu instid0(VALU_DEP_3) | instskip(NEXT) | instid1(VALU_DEP_3)
	v_cmp_lt_u16_e64 s12, v62, v66
	v_cmp_lt_i32_e64 s13, v63, v26
	s_or_b32 s11, s11, s12
	s_wait_alu 0xfffe
	s_and_b32 s11, s13, s11
	s_wait_alu 0xfffe
	s_xor_b32 s12, s11, -1
	s_wait_alu 0xfffe
	s_and_saveexec_b32 s13, s12
	s_wait_alu 0xfffe
	s_xor_b32 s12, exec_lo, s13
; %bb.211:                              ;   in Loop: Header=BB118_2 Depth=1
	ds_load_u8 v61, v64 offset:1
; %bb.212:                              ;   in Loop: Header=BB118_2 Depth=1
	s_wait_alu 0xfffe
	s_or_saveexec_b32 s12, s12
	v_mov_b32_e32 v62, v60
	s_wait_alu 0xfffe
	s_xor_b32 exec_lo, exec_lo, s12
	s_cbranch_execz .LBB118_214
; %bb.213:                              ;   in Loop: Header=BB118_2 Depth=1
	ds_load_u8 v62, v63 offset:1
	s_wait_dscnt 0x1
	v_mov_b32_e32 v61, v59
.LBB118_214:                            ;   in Loop: Header=BB118_2 Depth=1
	s_or_b32 exec_lo, exec_lo, s12
	v_add_nc_u32_e32 v65, 1, v64
	v_add_nc_u32_e32 v67, 1, v63
	s_wait_dscnt 0x0
	v_and_b32_e32 v68, 0xff, v61
	s_delay_alu instid0(VALU_DEP_3) | instskip(SKIP_2) | instid1(VALU_DEP_3)
	v_cndmask_b32_e64 v66, v65, v64, s11
	v_and_b32_e32 v64, 0xff, v62
	v_cndmask_b32_e64 v65, v63, v67, s11
                                        ; implicit-def: $vgpr63
	v_cmp_ge_i32_e64 s12, v66, v25
	s_delay_alu instid0(VALU_DEP_3) | instskip(NEXT) | instid1(VALU_DEP_3)
	v_cmp_lt_u16_e64 s13, v64, v68
	v_cmp_lt_i32_e64 s14, v65, v26
	s_or_b32 s12, s12, s13
	s_wait_alu 0xfffe
	s_and_b32 s12, s14, s12
	s_wait_alu 0xfffe
	s_xor_b32 s13, s12, -1
	s_wait_alu 0xfffe
	s_and_saveexec_b32 s14, s13
	s_wait_alu 0xfffe
	s_xor_b32 s13, exec_lo, s14
; %bb.215:                              ;   in Loop: Header=BB118_2 Depth=1
	ds_load_u8 v63, v66 offset:1
; %bb.216:                              ;   in Loop: Header=BB118_2 Depth=1
	s_wait_alu 0xfffe
	s_or_saveexec_b32 s13, s13
	v_mov_b32_e32 v64, v62
	s_wait_alu 0xfffe
	s_xor_b32 exec_lo, exec_lo, s13
	s_cbranch_execz .LBB118_218
; %bb.217:                              ;   in Loop: Header=BB118_2 Depth=1
	ds_load_u8 v64, v65 offset:1
	s_wait_dscnt 0x1
	v_mov_b32_e32 v63, v61
.LBB118_218:                            ;   in Loop: Header=BB118_2 Depth=1
	s_or_b32 exec_lo, exec_lo, s13
	v_add_nc_u32_e32 v67, 1, v66
	v_add_nc_u32_e32 v69, 1, v65
	s_wait_dscnt 0x0
	v_and_b32_e32 v70, 0xff, v63
	s_delay_alu instid0(VALU_DEP_3) | instskip(SKIP_2) | instid1(VALU_DEP_3)
	v_cndmask_b32_e64 v68, v67, v66, s12
	v_and_b32_e32 v66, 0xff, v64
	v_cndmask_b32_e64 v67, v65, v69, s12
                                        ; implicit-def: $vgpr65
	v_cmp_ge_i32_e64 s13, v68, v25
	s_delay_alu instid0(VALU_DEP_3) | instskip(NEXT) | instid1(VALU_DEP_3)
	v_cmp_lt_u16_e64 s14, v66, v70
	v_cmp_lt_i32_e64 s15, v67, v26
	s_or_b32 s13, s13, s14
	s_wait_alu 0xfffe
	s_and_b32 s13, s15, s13
	s_wait_alu 0xfffe
	s_xor_b32 s14, s13, -1
	s_wait_alu 0xfffe
	s_and_saveexec_b32 s15, s14
	s_wait_alu 0xfffe
	s_xor_b32 s14, exec_lo, s15
; %bb.219:                              ;   in Loop: Header=BB118_2 Depth=1
	ds_load_u8 v65, v68 offset:1
; %bb.220:                              ;   in Loop: Header=BB118_2 Depth=1
	s_wait_alu 0xfffe
	s_or_saveexec_b32 s14, s14
	v_mov_b32_e32 v66, v64
	s_wait_alu 0xfffe
	s_xor_b32 exec_lo, exec_lo, s14
	s_cbranch_execz .LBB118_222
; %bb.221:                              ;   in Loop: Header=BB118_2 Depth=1
	ds_load_u8 v66, v67 offset:1
	s_wait_dscnt 0x1
	v_mov_b32_e32 v65, v63
.LBB118_222:                            ;   in Loop: Header=BB118_2 Depth=1
	s_or_b32 exec_lo, exec_lo, s14
	v_add_nc_u32_e32 v69, 1, v68
	v_add_nc_u32_e32 v70, 1, v67
	s_wait_dscnt 0x0
	v_and_b32_e32 v71, 0xff, v65
	v_and_b32_e32 v72, 0xff, v66
	v_cndmask_b32_e64 v69, v69, v68, s13
	v_cndmask_b32_e64 v68, v67, v70, s13
                                        ; implicit-def: $vgpr67
	s_delay_alu instid0(VALU_DEP_3) | instskip(NEXT) | instid1(VALU_DEP_3)
	v_cmp_lt_u16_e64 s15, v72, v71
	v_cmp_ge_i32_e64 s14, v69, v25
	s_delay_alu instid0(VALU_DEP_3)
	v_cmp_lt_i32_e64 s16, v68, v26
	s_or_b32 s14, s14, s15
	s_wait_alu 0xfffe
	s_and_b32 s14, s16, s14
	s_wait_alu 0xfffe
	s_xor_b32 s15, s14, -1
	s_wait_alu 0xfffe
	s_and_saveexec_b32 s16, s15
	s_delay_alu instid0(SALU_CYCLE_1)
	s_xor_b32 s15, exec_lo, s16
; %bb.223:                              ;   in Loop: Header=BB118_2 Depth=1
	ds_load_u8 v67, v69 offset:1
; %bb.224:                              ;   in Loop: Header=BB118_2 Depth=1
	s_wait_alu 0xfffe
	s_or_saveexec_b32 s15, s15
	v_mov_b32_e32 v70, v66
	s_wait_alu 0xfffe
	s_xor_b32 exec_lo, exec_lo, s15
	s_cbranch_execz .LBB118_226
; %bb.225:                              ;   in Loop: Header=BB118_2 Depth=1
	ds_load_u8 v70, v68 offset:1
	s_wait_dscnt 0x1
	v_mov_b32_e32 v67, v65
.LBB118_226:                            ;   in Loop: Header=BB118_2 Depth=1
	s_or_b32 exec_lo, exec_lo, s15
	v_cndmask_b32_e64 v59, v59, v60, s11
	v_cndmask_b32_e64 v55, v55, v56, s9
	;; [unrolled: 1-line block ×4, first 2 shown]
	v_add_nc_u32_e32 v71, 1, v69
	v_lshlrev_b16 v57, 8, v59
	v_lshlrev_b16 v55, 8, v55
	v_and_b32_e32 v53, 0xff, v53
	v_and_b32_e32 v54, 0xff, v54
	v_cndmask_b32_e64 v65, v65, v66, s14
	v_add_nc_u32_e32 v66, 1, v68
	s_wait_dscnt 0x0
	v_and_b32_e32 v72, 0xff, v67
	v_or_b32_e32 v53, v53, v55
	v_or_b32_e32 v54, v54, v57
	v_and_b32_e32 v73, 0xff, v70
	v_cndmask_b32_e64 v69, v71, v69, s14
	v_cndmask_b32_e64 v63, v63, v64, s13
	v_and_b32_e32 v53, 0xffff, v53
	v_lshlrev_b32_e32 v54, 16, v54
	v_cndmask_b32_e64 v61, v61, v62, s12
	v_cmp_lt_u16_e64 s12, v73, v72
	v_cmp_ge_i32_e64 s13, v69, v25
	v_lshlrev_b16 v58, 8, v63
	v_or_b32_e32 v54, v53, v54
	v_mov_b32_e32 v53, v52
	v_cndmask_b32_e64 v64, v68, v66, s14
	s_or_b32 s8, s13, s12
	v_and_b32_e32 v59, 0xff, v61
	v_and_b32_e32 v60, 0xff, v65
	s_wait_loadcnt 0x0
	v_cmp_lt_i32_e64 s11, v64, v26
	s_barrier_signal -1
	v_or_b32_e32 v55, v59, v58
	s_barrier_wait -1
	global_inv scope:SCOPE_SE
	s_wait_alu 0xfffe
	s_and_b32 s8, s11, s8
	s_wait_alu 0xfffe
	v_cndmask_b32_e64 v56, v67, v70, s8
	v_and_b32_e32 v55, 0xffff, v55
	s_delay_alu instid0(VALU_DEP_2) | instskip(NEXT) | instid1(VALU_DEP_1)
	v_lshlrev_b16 v56, 8, v56
	v_or_b32_e32 v56, v60, v56
	s_delay_alu instid0(VALU_DEP_1) | instskip(NEXT) | instid1(VALU_DEP_1)
	v_lshlrev_b32_e32 v56, 16, v56
	v_or_b32_e32 v55, v55, v56
	ds_store_b64 v1, v[54:55]
	s_wait_loadcnt_dscnt 0x0
	s_barrier_signal -1
	s_barrier_wait -1
	global_inv scope:SCOPE_SE
	s_and_saveexec_b32 s9, s7
	s_cbranch_execz .LBB118_230
; %bb.227:                              ;   in Loop: Header=BB118_2 Depth=1
	v_dual_mov_b32 v53, v52 :: v_dual_mov_b32 v54, v44
	s_mov_b32 s10, 0
.LBB118_228:                            ;   Parent Loop BB118_2 Depth=1
                                        ; =>  This Inner Loop Header: Depth=2
	s_delay_alu instid0(VALU_DEP_1) | instskip(NEXT) | instid1(VALU_DEP_1)
	v_sub_nc_u32_e32 v55, v54, v53
	v_lshrrev_b32_e32 v55, 1, v55
	s_delay_alu instid0(VALU_DEP_1) | instskip(NEXT) | instid1(VALU_DEP_1)
	v_add_nc_u32_e32 v55, v55, v53
	v_add_nc_u32_e32 v56, v9, v55
	v_xad_u32 v57, v55, -1, v36
	v_add_nc_u32_e32 v58, 1, v55
	ds_load_u8 v56, v56
	ds_load_u8 v57, v57
	s_wait_dscnt 0x0
	v_cmp_lt_u16_e64 s8, v57, v56
	s_wait_alu 0xf1ff
	s_delay_alu instid0(VALU_DEP_1) | instskip(SKIP_1) | instid1(VALU_DEP_1)
	v_cndmask_b32_e64 v54, v54, v55, s8
	v_cndmask_b32_e64 v53, v58, v53, s8
	v_cmp_ge_i32_e64 s8, v53, v54
	s_wait_alu 0xfffe
	s_or_b32 s10, s8, s10
	s_wait_alu 0xfffe
	s_and_not1_b32 exec_lo, exec_lo, s10
	s_cbranch_execnz .LBB118_228
; %bb.229:                              ;   in Loop: Header=BB118_2 Depth=1
	s_or_b32 exec_lo, exec_lo, s10
.LBB118_230:                            ;   in Loop: Header=BB118_2 Depth=1
	s_wait_alu 0xfffe
	s_or_b32 exec_lo, exec_lo, s9
	v_add_nc_u32_e32 v58, v53, v9
	v_sub_nc_u32_e32 v57, v36, v53
	ds_load_u8 v53, v58
	ds_load_u8 v54, v57
	v_cmp_le_i32_e64 s8, v27, v58
	v_cmp_gt_i32_e64 s10, v28, v57
	s_wait_dscnt 0x1
	v_and_b32_e32 v55, 0xff, v53
	s_wait_dscnt 0x0
	v_and_b32_e32 v56, 0xff, v54
	s_delay_alu instid0(VALU_DEP_1)
	v_cmp_lt_u16_e64 s9, v56, v55
                                        ; implicit-def: $vgpr55
	s_or_b32 s8, s8, s9
	s_wait_alu 0xfffe
	s_and_b32 s8, s10, s8
	s_wait_alu 0xfffe
	s_xor_b32 s9, s8, -1
	s_wait_alu 0xfffe
	s_and_saveexec_b32 s10, s9
	s_wait_alu 0xfffe
	s_xor_b32 s9, exec_lo, s10
; %bb.231:                              ;   in Loop: Header=BB118_2 Depth=1
	ds_load_u8 v55, v58 offset:1
; %bb.232:                              ;   in Loop: Header=BB118_2 Depth=1
	s_wait_alu 0xfffe
	s_or_saveexec_b32 s9, s9
	v_mov_b32_e32 v56, v54
	s_wait_alu 0xfffe
	s_xor_b32 exec_lo, exec_lo, s9
	s_cbranch_execz .LBB118_234
; %bb.233:                              ;   in Loop: Header=BB118_2 Depth=1
	ds_load_u8 v56, v57 offset:1
	s_wait_dscnt 0x1
	v_mov_b32_e32 v55, v53
.LBB118_234:                            ;   in Loop: Header=BB118_2 Depth=1
	s_or_b32 exec_lo, exec_lo, s9
	v_add_nc_u32_e32 v59, 1, v58
	v_add_nc_u32_e32 v61, 1, v57
	s_wait_dscnt 0x0
	v_and_b32_e32 v62, 0xff, v55
	s_delay_alu instid0(VALU_DEP_3) | instskip(SKIP_2) | instid1(VALU_DEP_3)
	v_cndmask_b32_e64 v60, v59, v58, s8
	v_and_b32_e32 v58, 0xff, v56
	v_cndmask_b32_e64 v59, v57, v61, s8
                                        ; implicit-def: $vgpr57
	v_cmp_ge_i32_e64 s9, v60, v27
	s_delay_alu instid0(VALU_DEP_3) | instskip(NEXT) | instid1(VALU_DEP_3)
	v_cmp_lt_u16_e64 s10, v58, v62
	v_cmp_lt_i32_e64 s11, v59, v28
	s_or_b32 s9, s9, s10
	s_wait_alu 0xfffe
	s_and_b32 s9, s11, s9
	s_wait_alu 0xfffe
	s_xor_b32 s10, s9, -1
	s_wait_alu 0xfffe
	s_and_saveexec_b32 s11, s10
	s_wait_alu 0xfffe
	s_xor_b32 s10, exec_lo, s11
; %bb.235:                              ;   in Loop: Header=BB118_2 Depth=1
	ds_load_u8 v57, v60 offset:1
; %bb.236:                              ;   in Loop: Header=BB118_2 Depth=1
	s_wait_alu 0xfffe
	s_or_saveexec_b32 s10, s10
	v_mov_b32_e32 v58, v56
	s_wait_alu 0xfffe
	s_xor_b32 exec_lo, exec_lo, s10
	s_cbranch_execz .LBB118_238
; %bb.237:                              ;   in Loop: Header=BB118_2 Depth=1
	ds_load_u8 v58, v59 offset:1
	s_wait_dscnt 0x1
	v_mov_b32_e32 v57, v55
.LBB118_238:                            ;   in Loop: Header=BB118_2 Depth=1
	s_or_b32 exec_lo, exec_lo, s10
	v_add_nc_u32_e32 v61, 1, v60
	v_add_nc_u32_e32 v63, 1, v59
	s_wait_dscnt 0x0
	v_and_b32_e32 v64, 0xff, v57
	s_delay_alu instid0(VALU_DEP_3) | instskip(SKIP_2) | instid1(VALU_DEP_3)
	v_cndmask_b32_e64 v62, v61, v60, s9
	v_and_b32_e32 v60, 0xff, v58
	v_cndmask_b32_e64 v61, v59, v63, s9
                                        ; implicit-def: $vgpr59
	v_cmp_ge_i32_e64 s10, v62, v27
	s_delay_alu instid0(VALU_DEP_3) | instskip(NEXT) | instid1(VALU_DEP_3)
	v_cmp_lt_u16_e64 s11, v60, v64
	v_cmp_lt_i32_e64 s12, v61, v28
	s_or_b32 s10, s10, s11
	s_wait_alu 0xfffe
	s_and_b32 s10, s12, s10
	s_wait_alu 0xfffe
	s_xor_b32 s11, s10, -1
	s_wait_alu 0xfffe
	s_and_saveexec_b32 s12, s11
	s_wait_alu 0xfffe
	s_xor_b32 s11, exec_lo, s12
; %bb.239:                              ;   in Loop: Header=BB118_2 Depth=1
	ds_load_u8 v59, v62 offset:1
; %bb.240:                              ;   in Loop: Header=BB118_2 Depth=1
	s_wait_alu 0xfffe
	s_or_saveexec_b32 s11, s11
	v_mov_b32_e32 v60, v58
	s_wait_alu 0xfffe
	s_xor_b32 exec_lo, exec_lo, s11
	s_cbranch_execz .LBB118_242
; %bb.241:                              ;   in Loop: Header=BB118_2 Depth=1
	ds_load_u8 v60, v61 offset:1
	s_wait_dscnt 0x1
	v_mov_b32_e32 v59, v57
.LBB118_242:                            ;   in Loop: Header=BB118_2 Depth=1
	s_or_b32 exec_lo, exec_lo, s11
	v_add_nc_u32_e32 v63, 1, v62
	v_add_nc_u32_e32 v65, 1, v61
	s_wait_dscnt 0x0
	v_and_b32_e32 v66, 0xff, v59
	s_delay_alu instid0(VALU_DEP_3) | instskip(SKIP_2) | instid1(VALU_DEP_3)
	v_cndmask_b32_e64 v64, v63, v62, s10
	v_and_b32_e32 v62, 0xff, v60
	v_cndmask_b32_e64 v63, v61, v65, s10
                                        ; implicit-def: $vgpr61
	v_cmp_ge_i32_e64 s11, v64, v27
	s_delay_alu instid0(VALU_DEP_3) | instskip(NEXT) | instid1(VALU_DEP_3)
	v_cmp_lt_u16_e64 s12, v62, v66
	v_cmp_lt_i32_e64 s13, v63, v28
	s_or_b32 s11, s11, s12
	s_wait_alu 0xfffe
	s_and_b32 s11, s13, s11
	s_wait_alu 0xfffe
	s_xor_b32 s12, s11, -1
	s_wait_alu 0xfffe
	s_and_saveexec_b32 s13, s12
	s_wait_alu 0xfffe
	s_xor_b32 s12, exec_lo, s13
; %bb.243:                              ;   in Loop: Header=BB118_2 Depth=1
	ds_load_u8 v61, v64 offset:1
; %bb.244:                              ;   in Loop: Header=BB118_2 Depth=1
	s_wait_alu 0xfffe
	s_or_saveexec_b32 s12, s12
	v_mov_b32_e32 v62, v60
	s_wait_alu 0xfffe
	s_xor_b32 exec_lo, exec_lo, s12
	s_cbranch_execz .LBB118_246
; %bb.245:                              ;   in Loop: Header=BB118_2 Depth=1
	ds_load_u8 v62, v63 offset:1
	s_wait_dscnt 0x1
	v_mov_b32_e32 v61, v59
.LBB118_246:                            ;   in Loop: Header=BB118_2 Depth=1
	s_or_b32 exec_lo, exec_lo, s12
	v_add_nc_u32_e32 v65, 1, v64
	v_add_nc_u32_e32 v67, 1, v63
	s_wait_dscnt 0x0
	v_and_b32_e32 v68, 0xff, v61
	s_delay_alu instid0(VALU_DEP_3) | instskip(SKIP_2) | instid1(VALU_DEP_3)
	v_cndmask_b32_e64 v66, v65, v64, s11
	v_and_b32_e32 v64, 0xff, v62
	v_cndmask_b32_e64 v65, v63, v67, s11
                                        ; implicit-def: $vgpr63
	v_cmp_ge_i32_e64 s12, v66, v27
	s_delay_alu instid0(VALU_DEP_3) | instskip(NEXT) | instid1(VALU_DEP_3)
	v_cmp_lt_u16_e64 s13, v64, v68
	v_cmp_lt_i32_e64 s14, v65, v28
	s_or_b32 s12, s12, s13
	s_wait_alu 0xfffe
	s_and_b32 s12, s14, s12
	s_wait_alu 0xfffe
	s_xor_b32 s13, s12, -1
	s_wait_alu 0xfffe
	s_and_saveexec_b32 s14, s13
	s_wait_alu 0xfffe
	s_xor_b32 s13, exec_lo, s14
; %bb.247:                              ;   in Loop: Header=BB118_2 Depth=1
	ds_load_u8 v63, v66 offset:1
; %bb.248:                              ;   in Loop: Header=BB118_2 Depth=1
	s_wait_alu 0xfffe
	s_or_saveexec_b32 s13, s13
	v_mov_b32_e32 v64, v62
	s_wait_alu 0xfffe
	s_xor_b32 exec_lo, exec_lo, s13
	s_cbranch_execz .LBB118_250
; %bb.249:                              ;   in Loop: Header=BB118_2 Depth=1
	ds_load_u8 v64, v65 offset:1
	s_wait_dscnt 0x1
	v_mov_b32_e32 v63, v61
.LBB118_250:                            ;   in Loop: Header=BB118_2 Depth=1
	s_or_b32 exec_lo, exec_lo, s13
	v_add_nc_u32_e32 v67, 1, v66
	v_add_nc_u32_e32 v69, 1, v65
	s_wait_dscnt 0x0
	v_and_b32_e32 v70, 0xff, v63
	s_delay_alu instid0(VALU_DEP_3) | instskip(SKIP_2) | instid1(VALU_DEP_3)
	v_cndmask_b32_e64 v68, v67, v66, s12
	v_and_b32_e32 v66, 0xff, v64
	v_cndmask_b32_e64 v67, v65, v69, s12
                                        ; implicit-def: $vgpr65
	v_cmp_ge_i32_e64 s13, v68, v27
	s_delay_alu instid0(VALU_DEP_3) | instskip(NEXT) | instid1(VALU_DEP_3)
	v_cmp_lt_u16_e64 s14, v66, v70
	v_cmp_lt_i32_e64 s15, v67, v28
	s_or_b32 s13, s13, s14
	s_wait_alu 0xfffe
	s_and_b32 s13, s15, s13
	s_wait_alu 0xfffe
	s_xor_b32 s14, s13, -1
	s_wait_alu 0xfffe
	s_and_saveexec_b32 s15, s14
	s_wait_alu 0xfffe
	s_xor_b32 s14, exec_lo, s15
; %bb.251:                              ;   in Loop: Header=BB118_2 Depth=1
	ds_load_u8 v65, v68 offset:1
; %bb.252:                              ;   in Loop: Header=BB118_2 Depth=1
	s_wait_alu 0xfffe
	s_or_saveexec_b32 s14, s14
	v_mov_b32_e32 v66, v64
	s_wait_alu 0xfffe
	s_xor_b32 exec_lo, exec_lo, s14
	s_cbranch_execz .LBB118_254
; %bb.253:                              ;   in Loop: Header=BB118_2 Depth=1
	ds_load_u8 v66, v67 offset:1
	s_wait_dscnt 0x1
	v_mov_b32_e32 v65, v63
.LBB118_254:                            ;   in Loop: Header=BB118_2 Depth=1
	s_or_b32 exec_lo, exec_lo, s14
	v_add_nc_u32_e32 v69, 1, v68
	v_add_nc_u32_e32 v70, 1, v67
	s_wait_dscnt 0x0
	v_and_b32_e32 v71, 0xff, v65
	v_and_b32_e32 v72, 0xff, v66
	v_cndmask_b32_e64 v69, v69, v68, s13
	v_cndmask_b32_e64 v68, v67, v70, s13
                                        ; implicit-def: $vgpr67
	s_delay_alu instid0(VALU_DEP_3) | instskip(NEXT) | instid1(VALU_DEP_3)
	v_cmp_lt_u16_e64 s15, v72, v71
	v_cmp_ge_i32_e64 s14, v69, v27
	s_delay_alu instid0(VALU_DEP_3)
	v_cmp_lt_i32_e64 s16, v68, v28
	s_or_b32 s14, s14, s15
	s_wait_alu 0xfffe
	s_and_b32 s14, s16, s14
	s_wait_alu 0xfffe
	s_xor_b32 s15, s14, -1
	s_wait_alu 0xfffe
	s_and_saveexec_b32 s16, s15
	s_delay_alu instid0(SALU_CYCLE_1)
	s_xor_b32 s15, exec_lo, s16
; %bb.255:                              ;   in Loop: Header=BB118_2 Depth=1
	ds_load_u8 v67, v69 offset:1
; %bb.256:                              ;   in Loop: Header=BB118_2 Depth=1
	s_wait_alu 0xfffe
	s_or_saveexec_b32 s15, s15
	v_mov_b32_e32 v70, v66
	s_wait_alu 0xfffe
	s_xor_b32 exec_lo, exec_lo, s15
	s_cbranch_execz .LBB118_258
; %bb.257:                              ;   in Loop: Header=BB118_2 Depth=1
	ds_load_u8 v70, v68 offset:1
	s_wait_dscnt 0x1
	v_mov_b32_e32 v67, v65
.LBB118_258:                            ;   in Loop: Header=BB118_2 Depth=1
	s_or_b32 exec_lo, exec_lo, s15
	v_cndmask_b32_e64 v59, v59, v60, s11
	v_cndmask_b32_e64 v53, v53, v54, s8
	;; [unrolled: 1-line block ×3, first 2 shown]
	v_add_nc_u32_e32 v71, 1, v69
	v_cndmask_b32_e64 v65, v65, v66, s14
	v_add_nc_u32_e32 v66, 1, v68
	v_lshlrev_b16 v57, 8, v59
	v_and_b32_e32 v54, 0xff, v54
	s_wait_dscnt 0x0
	v_and_b32_e32 v72, 0xff, v67
	v_and_b32_e32 v73, 0xff, v70
	v_cndmask_b32_e64 v69, v71, v69, s14
	v_cndmask_b32_e64 v63, v63, v64, s13
	v_or_b32_e32 v54, v54, v57
	v_mov_b32_e32 v57, v10
	v_cndmask_b32_e64 v64, v68, v66, s14
	v_cndmask_b32_e64 v61, v61, v62, s12
	v_cmp_lt_u16_e64 s12, v73, v72
	v_cmp_ge_i32_e64 s13, v69, v27
	v_cndmask_b32_e64 v55, v55, v56, s9
	v_cmp_lt_i32_e64 s11, v64, v28
	v_and_b32_e32 v53, 0xff, v53
	v_lshlrev_b16 v58, 8, v63
	s_or_b32 s8, s13, s12
	v_lshlrev_b16 v55, 8, v55
	s_wait_alu 0xfffe
	s_and_b32 s8, s11, s8
	v_and_b32_e32 v59, 0xff, v61
	s_wait_alu 0xfffe
	v_cndmask_b32_e64 v56, v67, v70, s8
	v_and_b32_e32 v60, 0xff, v65
	v_or_b32_e32 v53, v53, v55
	v_lshlrev_b32_e32 v54, 16, v54
	v_or_b32_e32 v55, v59, v58
	v_lshlrev_b16 v56, 8, v56
	s_wait_loadcnt 0x0
	v_and_b32_e32 v53, 0xffff, v53
	s_barrier_signal -1
	v_and_b32_e32 v55, 0xffff, v55
	v_or_b32_e32 v56, v60, v56
	s_barrier_wait -1
	v_or_b32_e32 v53, v53, v54
	global_inv scope:SCOPE_SE
	v_lshlrev_b32_e32 v56, 16, v56
	s_delay_alu instid0(VALU_DEP_1)
	v_or_b32_e32 v54, v55, v56
	ds_store_b64 v1, v[53:54]
	s_wait_loadcnt_dscnt 0x0
	s_barrier_signal -1
	s_barrier_wait -1
	global_inv scope:SCOPE_SE
	s_and_saveexec_b32 s9, vcc_lo
	s_cbranch_execz .LBB118_262
; %bb.259:                              ;   in Loop: Header=BB118_2 Depth=1
	v_mov_b32_e32 v57, v10
	v_mov_b32_e32 v53, v11
	s_mov_b32 s10, 0
.LBB118_260:                            ;   Parent Loop BB118_2 Depth=1
                                        ; =>  This Inner Loop Header: Depth=2
	s_delay_alu instid0(VALU_DEP_1) | instskip(NEXT) | instid1(VALU_DEP_1)
	v_sub_nc_u32_e32 v54, v53, v57
	v_lshrrev_b32_e32 v54, 1, v54
	s_delay_alu instid0(VALU_DEP_1) | instskip(NEXT) | instid1(VALU_DEP_1)
	v_add_nc_u32_e32 v54, v54, v57
	v_xad_u32 v55, v54, -1, v12
	v_add_nc_u32_e32 v58, 1, v54
	ds_load_u8 v56, v54
	ds_load_u8 v55, v55
	s_wait_dscnt 0x0
	v_cmp_lt_u16_e64 s8, v55, v56
	s_wait_alu 0xf1ff
	s_delay_alu instid0(VALU_DEP_1) | instskip(SKIP_1) | instid1(VALU_DEP_1)
	v_cndmask_b32_e64 v53, v53, v54, s8
	v_cndmask_b32_e64 v57, v58, v57, s8
	v_cmp_ge_i32_e64 s8, v57, v53
	s_wait_alu 0xfffe
	s_or_b32 s10, s8, s10
	s_wait_alu 0xfffe
	s_and_not1_b32 exec_lo, exec_lo, s10
	s_cbranch_execnz .LBB118_260
; %bb.261:                              ;   in Loop: Header=BB118_2 Depth=1
	s_or_b32 exec_lo, exec_lo, s10
.LBB118_262:                            ;   in Loop: Header=BB118_2 Depth=1
	s_wait_alu 0xfffe
	s_or_b32 exec_lo, exec_lo, s9
	v_sub_nc_u32_e32 v58, v12, v57
	v_cmp_le_i32_e64 s8, 0x800, v57
	ds_load_u8 v53, v57
	ds_load_u8 v54, v58
	v_cmp_gt_i32_e64 s10, 0x1000, v58
	s_wait_dscnt 0x1
	v_and_b32_e32 v55, 0xff, v53
	s_wait_dscnt 0x0
	v_and_b32_e32 v56, 0xff, v54
	s_delay_alu instid0(VALU_DEP_1)
	v_cmp_lt_u16_e64 s9, v56, v55
                                        ; implicit-def: $vgpr55
	s_or_b32 s8, s8, s9
	s_wait_alu 0xfffe
	s_and_b32 s8, s10, s8
	s_wait_alu 0xfffe
	s_xor_b32 s9, s8, -1
	s_wait_alu 0xfffe
	s_and_saveexec_b32 s10, s9
	s_wait_alu 0xfffe
	s_xor_b32 s9, exec_lo, s10
; %bb.263:                              ;   in Loop: Header=BB118_2 Depth=1
	ds_load_u8 v55, v57 offset:1
; %bb.264:                              ;   in Loop: Header=BB118_2 Depth=1
	s_wait_alu 0xfffe
	s_or_saveexec_b32 s9, s9
	v_mov_b32_e32 v56, v54
	s_wait_alu 0xfffe
	s_xor_b32 exec_lo, exec_lo, s9
	s_cbranch_execz .LBB118_266
; %bb.265:                              ;   in Loop: Header=BB118_2 Depth=1
	ds_load_u8 v56, v58 offset:1
	s_wait_dscnt 0x1
	v_mov_b32_e32 v55, v53
.LBB118_266:                            ;   in Loop: Header=BB118_2 Depth=1
	s_or_b32 exec_lo, exec_lo, s9
	v_add_nc_u32_e32 v59, 1, v57
	v_add_nc_u32_e32 v61, 1, v58
	s_wait_dscnt 0x0
	v_and_b32_e32 v62, 0xff, v55
	s_delay_alu instid0(VALU_DEP_3) | instskip(SKIP_2) | instid1(VALU_DEP_3)
	v_cndmask_b32_e64 v60, v59, v57, s8
	v_and_b32_e32 v57, 0xff, v56
	v_cndmask_b32_e64 v59, v58, v61, s8
	v_cmp_le_i32_e64 s9, 0x800, v60
	s_delay_alu instid0(VALU_DEP_3) | instskip(NEXT) | instid1(VALU_DEP_3)
	v_cmp_lt_u16_e64 s10, v57, v62
	v_cmp_gt_i32_e64 s11, 0x1000, v59
                                        ; implicit-def: $vgpr57
	s_or_b32 s9, s9, s10
	s_wait_alu 0xfffe
	s_and_b32 s9, s11, s9
	s_wait_alu 0xfffe
	s_xor_b32 s10, s9, -1
	s_wait_alu 0xfffe
	s_and_saveexec_b32 s11, s10
	s_wait_alu 0xfffe
	s_xor_b32 s10, exec_lo, s11
; %bb.267:                              ;   in Loop: Header=BB118_2 Depth=1
	ds_load_u8 v57, v60 offset:1
; %bb.268:                              ;   in Loop: Header=BB118_2 Depth=1
	s_wait_alu 0xfffe
	s_or_saveexec_b32 s10, s10
	v_mov_b32_e32 v58, v56
	s_wait_alu 0xfffe
	s_xor_b32 exec_lo, exec_lo, s10
	s_cbranch_execz .LBB118_270
; %bb.269:                              ;   in Loop: Header=BB118_2 Depth=1
	ds_load_u8 v58, v59 offset:1
	s_wait_dscnt 0x1
	v_mov_b32_e32 v57, v55
.LBB118_270:                            ;   in Loop: Header=BB118_2 Depth=1
	s_or_b32 exec_lo, exec_lo, s10
	v_add_nc_u32_e32 v61, 1, v60
	v_add_nc_u32_e32 v63, 1, v59
	s_wait_dscnt 0x0
	v_and_b32_e32 v64, 0xff, v57
	s_delay_alu instid0(VALU_DEP_3) | instskip(SKIP_2) | instid1(VALU_DEP_3)
	v_cndmask_b32_e64 v62, v61, v60, s9
	v_and_b32_e32 v60, 0xff, v58
	v_cndmask_b32_e64 v61, v59, v63, s9
                                        ; implicit-def: $vgpr59
	v_cmp_le_i32_e64 s10, 0x800, v62
	s_delay_alu instid0(VALU_DEP_3) | instskip(NEXT) | instid1(VALU_DEP_3)
	v_cmp_lt_u16_e64 s11, v60, v64
	v_cmp_gt_i32_e64 s12, 0x1000, v61
	s_or_b32 s10, s10, s11
	s_wait_alu 0xfffe
	s_and_b32 s10, s12, s10
	s_wait_alu 0xfffe
	s_xor_b32 s11, s10, -1
	s_wait_alu 0xfffe
	s_and_saveexec_b32 s12, s11
	s_wait_alu 0xfffe
	s_xor_b32 s11, exec_lo, s12
; %bb.271:                              ;   in Loop: Header=BB118_2 Depth=1
	ds_load_u8 v59, v62 offset:1
; %bb.272:                              ;   in Loop: Header=BB118_2 Depth=1
	s_wait_alu 0xfffe
	s_or_saveexec_b32 s11, s11
	v_mov_b32_e32 v60, v58
	s_wait_alu 0xfffe
	s_xor_b32 exec_lo, exec_lo, s11
	s_cbranch_execz .LBB118_274
; %bb.273:                              ;   in Loop: Header=BB118_2 Depth=1
	ds_load_u8 v60, v61 offset:1
	s_wait_dscnt 0x1
	v_mov_b32_e32 v59, v57
.LBB118_274:                            ;   in Loop: Header=BB118_2 Depth=1
	s_or_b32 exec_lo, exec_lo, s11
	v_add_nc_u32_e32 v63, 1, v62
	v_add_nc_u32_e32 v65, 1, v61
	s_wait_dscnt 0x0
	v_and_b32_e32 v66, 0xff, v59
	s_delay_alu instid0(VALU_DEP_3) | instskip(SKIP_2) | instid1(VALU_DEP_3)
	v_cndmask_b32_e64 v64, v63, v62, s10
	v_and_b32_e32 v62, 0xff, v60
	v_cndmask_b32_e64 v63, v61, v65, s10
                                        ; implicit-def: $vgpr61
	v_cmp_le_i32_e64 s11, 0x800, v64
	s_delay_alu instid0(VALU_DEP_3) | instskip(NEXT) | instid1(VALU_DEP_3)
	v_cmp_lt_u16_e64 s12, v62, v66
	v_cmp_gt_i32_e64 s13, 0x1000, v63
	s_or_b32 s11, s11, s12
	s_wait_alu 0xfffe
	s_and_b32 s11, s13, s11
	s_wait_alu 0xfffe
	s_xor_b32 s12, s11, -1
	s_wait_alu 0xfffe
	s_and_saveexec_b32 s13, s12
	s_wait_alu 0xfffe
	s_xor_b32 s12, exec_lo, s13
; %bb.275:                              ;   in Loop: Header=BB118_2 Depth=1
	ds_load_u8 v61, v64 offset:1
; %bb.276:                              ;   in Loop: Header=BB118_2 Depth=1
	s_wait_alu 0xfffe
	s_or_saveexec_b32 s12, s12
	v_mov_b32_e32 v62, v60
	s_wait_alu 0xfffe
	s_xor_b32 exec_lo, exec_lo, s12
	s_cbranch_execz .LBB118_278
; %bb.277:                              ;   in Loop: Header=BB118_2 Depth=1
	ds_load_u8 v62, v63 offset:1
	s_wait_dscnt 0x1
	v_mov_b32_e32 v61, v59
.LBB118_278:                            ;   in Loop: Header=BB118_2 Depth=1
	s_or_b32 exec_lo, exec_lo, s12
	v_add_nc_u32_e32 v65, 1, v64
	v_add_nc_u32_e32 v67, 1, v63
	s_wait_dscnt 0x0
	v_and_b32_e32 v68, 0xff, v61
	s_delay_alu instid0(VALU_DEP_3) | instskip(SKIP_2) | instid1(VALU_DEP_3)
	v_cndmask_b32_e64 v66, v65, v64, s11
	v_and_b32_e32 v64, 0xff, v62
	v_cndmask_b32_e64 v65, v63, v67, s11
                                        ; implicit-def: $vgpr63
	v_cmp_le_i32_e64 s12, 0x800, v66
	s_delay_alu instid0(VALU_DEP_3) | instskip(NEXT) | instid1(VALU_DEP_3)
	v_cmp_lt_u16_e64 s13, v64, v68
	v_cmp_gt_i32_e64 s14, 0x1000, v65
	s_or_b32 s12, s12, s13
	s_wait_alu 0xfffe
	s_and_b32 s12, s14, s12
	s_wait_alu 0xfffe
	s_xor_b32 s13, s12, -1
	s_wait_alu 0xfffe
	s_and_saveexec_b32 s14, s13
	s_wait_alu 0xfffe
	s_xor_b32 s13, exec_lo, s14
; %bb.279:                              ;   in Loop: Header=BB118_2 Depth=1
	ds_load_u8 v63, v66 offset:1
; %bb.280:                              ;   in Loop: Header=BB118_2 Depth=1
	s_wait_alu 0xfffe
	s_or_saveexec_b32 s13, s13
	v_mov_b32_e32 v64, v62
	s_wait_alu 0xfffe
	s_xor_b32 exec_lo, exec_lo, s13
	s_cbranch_execz .LBB118_282
; %bb.281:                              ;   in Loop: Header=BB118_2 Depth=1
	ds_load_u8 v64, v65 offset:1
	s_wait_dscnt 0x1
	v_mov_b32_e32 v63, v61
.LBB118_282:                            ;   in Loop: Header=BB118_2 Depth=1
	s_or_b32 exec_lo, exec_lo, s13
	v_add_nc_u32_e32 v67, 1, v66
	v_add_nc_u32_e32 v69, 1, v65
	s_wait_dscnt 0x0
	v_and_b32_e32 v70, 0xff, v63
	s_delay_alu instid0(VALU_DEP_3) | instskip(SKIP_2) | instid1(VALU_DEP_3)
	v_cndmask_b32_e64 v68, v67, v66, s12
	v_and_b32_e32 v66, 0xff, v64
	v_cndmask_b32_e64 v67, v65, v69, s12
                                        ; implicit-def: $vgpr65
	v_cmp_le_i32_e64 s13, 0x800, v68
	s_delay_alu instid0(VALU_DEP_3) | instskip(NEXT) | instid1(VALU_DEP_3)
	v_cmp_lt_u16_e64 s14, v66, v70
	v_cmp_gt_i32_e64 s15, 0x1000, v67
	s_or_b32 s13, s13, s14
	s_wait_alu 0xfffe
	s_and_b32 s13, s15, s13
	s_wait_alu 0xfffe
	s_xor_b32 s14, s13, -1
	s_wait_alu 0xfffe
	s_and_saveexec_b32 s15, s14
	s_wait_alu 0xfffe
	s_xor_b32 s14, exec_lo, s15
; %bb.283:                              ;   in Loop: Header=BB118_2 Depth=1
	ds_load_u8 v65, v68 offset:1
; %bb.284:                              ;   in Loop: Header=BB118_2 Depth=1
	s_wait_alu 0xfffe
	s_or_saveexec_b32 s14, s14
	v_mov_b32_e32 v66, v64
	s_wait_alu 0xfffe
	s_xor_b32 exec_lo, exec_lo, s14
	s_cbranch_execz .LBB118_286
; %bb.285:                              ;   in Loop: Header=BB118_2 Depth=1
	ds_load_u8 v66, v67 offset:1
	s_wait_dscnt 0x1
	v_mov_b32_e32 v65, v63
.LBB118_286:                            ;   in Loop: Header=BB118_2 Depth=1
	s_or_b32 exec_lo, exec_lo, s14
	v_add_nc_u32_e32 v69, 1, v68
	v_add_nc_u32_e32 v70, 1, v67
	s_wait_dscnt 0x0
	v_and_b32_e32 v72, 0xff, v65
	s_delay_alu instid0(VALU_DEP_3) | instskip(SKIP_2) | instid1(VALU_DEP_3)
	v_cndmask_b32_e64 v71, v69, v68, s13
	v_and_b32_e32 v68, 0xff, v66
	v_cndmask_b32_e64 v67, v67, v70, s13
                                        ; implicit-def: $vgpr69
	v_cmp_le_i32_e64 s14, 0x800, v71
	s_delay_alu instid0(VALU_DEP_3) | instskip(NEXT) | instid1(VALU_DEP_3)
	v_cmp_lt_u16_e64 s15, v68, v72
	v_cmp_gt_i32_e64 s16, 0x1000, v67
                                        ; implicit-def: $vgpr68
	s_or_b32 s14, s14, s15
	s_wait_alu 0xfffe
	s_and_b32 s14, s16, s14
	s_wait_alu 0xfffe
	s_xor_b32 s15, s14, -1
	s_wait_alu 0xfffe
	s_and_saveexec_b32 s16, s15
	s_delay_alu instid0(SALU_CYCLE_1)
	s_xor_b32 s15, exec_lo, s16
; %bb.287:                              ;   in Loop: Header=BB118_2 Depth=1
	ds_load_u8 v68, v71 offset:1
	v_add_nc_u32_e32 v69, 1, v71
                                        ; implicit-def: $vgpr71
; %bb.288:                              ;   in Loop: Header=BB118_2 Depth=1
	s_wait_alu 0xfffe
	s_or_saveexec_b32 s15, s15
	v_mov_b32_e32 v70, v66
	s_wait_alu 0xfffe
	s_xor_b32 exec_lo, exec_lo, s15
	s_cbranch_execz .LBB118_1
; %bb.289:                              ;   in Loop: Header=BB118_2 Depth=1
	ds_load_u8 v70, v67 offset:1
	s_wait_dscnt 0x1
	v_dual_mov_b32 v68, v65 :: v_dual_add_nc_u32 v67, 1, v67
	v_mov_b32_e32 v69, v71
	s_branch .LBB118_1
.LBB118_290:
	s_add_nc_u64 s[0:1], s[18:19], s[20:21]
	s_wait_alu 0xfffe
	v_add_co_u32 v0, s0, s0, v0
	s_wait_alu 0xf1ff
	v_add_co_ci_u32_e64 v1, null, s1, 0, s0
	s_clause 0x7
	global_store_b8 v[0:1], v54, off
	global_store_b8 v[0:1], v55, off offset:512
	global_store_b8 v[0:1], v56, off offset:1024
	;; [unrolled: 1-line block ×7, first 2 shown]
	s_endpgm
	.section	.rodata,"a",@progbits
	.p2align	6, 0x0
	.amdhsa_kernel _Z16sort_keys_kernelIhLj512ELj8EN10test_utils4lessELj10EEvPKT_PS2_T2_
		.amdhsa_group_segment_fixed_size 4097
		.amdhsa_private_segment_fixed_size 0
		.amdhsa_kernarg_size 20
		.amdhsa_user_sgpr_count 2
		.amdhsa_user_sgpr_dispatch_ptr 0
		.amdhsa_user_sgpr_queue_ptr 0
		.amdhsa_user_sgpr_kernarg_segment_ptr 1
		.amdhsa_user_sgpr_dispatch_id 0
		.amdhsa_user_sgpr_private_segment_size 0
		.amdhsa_wavefront_size32 1
		.amdhsa_uses_dynamic_stack 0
		.amdhsa_enable_private_segment 0
		.amdhsa_system_sgpr_workgroup_id_x 1
		.amdhsa_system_sgpr_workgroup_id_y 0
		.amdhsa_system_sgpr_workgroup_id_z 0
		.amdhsa_system_sgpr_workgroup_info 0
		.amdhsa_system_vgpr_workitem_id 0
		.amdhsa_next_free_vgpr 77
		.amdhsa_next_free_sgpr 22
		.amdhsa_reserve_vcc 1
		.amdhsa_float_round_mode_32 0
		.amdhsa_float_round_mode_16_64 0
		.amdhsa_float_denorm_mode_32 3
		.amdhsa_float_denorm_mode_16_64 3
		.amdhsa_fp16_overflow 0
		.amdhsa_workgroup_processor_mode 1
		.amdhsa_memory_ordered 1
		.amdhsa_forward_progress 1
		.amdhsa_inst_pref_size 141
		.amdhsa_round_robin_scheduling 0
		.amdhsa_exception_fp_ieee_invalid_op 0
		.amdhsa_exception_fp_denorm_src 0
		.amdhsa_exception_fp_ieee_div_zero 0
		.amdhsa_exception_fp_ieee_overflow 0
		.amdhsa_exception_fp_ieee_underflow 0
		.amdhsa_exception_fp_ieee_inexact 0
		.amdhsa_exception_int_div_zero 0
	.end_amdhsa_kernel
	.section	.text._Z16sort_keys_kernelIhLj512ELj8EN10test_utils4lessELj10EEvPKT_PS2_T2_,"axG",@progbits,_Z16sort_keys_kernelIhLj512ELj8EN10test_utils4lessELj10EEvPKT_PS2_T2_,comdat
.Lfunc_end118:
	.size	_Z16sort_keys_kernelIhLj512ELj8EN10test_utils4lessELj10EEvPKT_PS2_T2_, .Lfunc_end118-_Z16sort_keys_kernelIhLj512ELj8EN10test_utils4lessELj10EEvPKT_PS2_T2_
                                        ; -- End function
	.set _Z16sort_keys_kernelIhLj512ELj8EN10test_utils4lessELj10EEvPKT_PS2_T2_.num_vgpr, 77
	.set _Z16sort_keys_kernelIhLj512ELj8EN10test_utils4lessELj10EEvPKT_PS2_T2_.num_agpr, 0
	.set _Z16sort_keys_kernelIhLj512ELj8EN10test_utils4lessELj10EEvPKT_PS2_T2_.numbered_sgpr, 22
	.set _Z16sort_keys_kernelIhLj512ELj8EN10test_utils4lessELj10EEvPKT_PS2_T2_.num_named_barrier, 0
	.set _Z16sort_keys_kernelIhLj512ELj8EN10test_utils4lessELj10EEvPKT_PS2_T2_.private_seg_size, 0
	.set _Z16sort_keys_kernelIhLj512ELj8EN10test_utils4lessELj10EEvPKT_PS2_T2_.uses_vcc, 1
	.set _Z16sort_keys_kernelIhLj512ELj8EN10test_utils4lessELj10EEvPKT_PS2_T2_.uses_flat_scratch, 0
	.set _Z16sort_keys_kernelIhLj512ELj8EN10test_utils4lessELj10EEvPKT_PS2_T2_.has_dyn_sized_stack, 0
	.set _Z16sort_keys_kernelIhLj512ELj8EN10test_utils4lessELj10EEvPKT_PS2_T2_.has_recursion, 0
	.set _Z16sort_keys_kernelIhLj512ELj8EN10test_utils4lessELj10EEvPKT_PS2_T2_.has_indirect_call, 0
	.section	.AMDGPU.csdata,"",@progbits
; Kernel info:
; codeLenInByte = 17980
; TotalNumSgprs: 24
; NumVgprs: 77
; ScratchSize: 0
; MemoryBound: 0
; FloatMode: 240
; IeeeMode: 1
; LDSByteSize: 4097 bytes/workgroup (compile time only)
; SGPRBlocks: 0
; VGPRBlocks: 9
; NumSGPRsForWavesPerEU: 24
; NumVGPRsForWavesPerEU: 77
; Occupancy: 16
; WaveLimiterHint : 1
; COMPUTE_PGM_RSRC2:SCRATCH_EN: 0
; COMPUTE_PGM_RSRC2:USER_SGPR: 2
; COMPUTE_PGM_RSRC2:TRAP_HANDLER: 0
; COMPUTE_PGM_RSRC2:TGID_X_EN: 1
; COMPUTE_PGM_RSRC2:TGID_Y_EN: 0
; COMPUTE_PGM_RSRC2:TGID_Z_EN: 0
; COMPUTE_PGM_RSRC2:TIDIG_COMP_CNT: 0
	.section	.text._Z17sort_pairs_kernelIhLj512ELj8EN10test_utils4lessELj10EEvPKT_PS2_T2_,"axG",@progbits,_Z17sort_pairs_kernelIhLj512ELj8EN10test_utils4lessELj10EEvPKT_PS2_T2_,comdat
	.protected	_Z17sort_pairs_kernelIhLj512ELj8EN10test_utils4lessELj10EEvPKT_PS2_T2_ ; -- Begin function _Z17sort_pairs_kernelIhLj512ELj8EN10test_utils4lessELj10EEvPKT_PS2_T2_
	.globl	_Z17sort_pairs_kernelIhLj512ELj8EN10test_utils4lessELj10EEvPKT_PS2_T2_
	.p2align	8
	.type	_Z17sort_pairs_kernelIhLj512ELj8EN10test_utils4lessELj10EEvPKT_PS2_T2_,@function
_Z17sort_pairs_kernelIhLj512ELj8EN10test_utils4lessELj10EEvPKT_PS2_T2_: ; @_Z17sort_pairs_kernelIhLj512ELj8EN10test_utils4lessELj10EEvPKT_PS2_T2_
; %bb.0:
	s_load_b128 s[44:47], s[0:1], 0x0
	s_lshl_b32 s48, ttmp9, 12
	s_mov_b32 s49, 0
	v_lshlrev_b32_e32 v5, 3, v0
	s_mov_b32 s50, s49
	s_delay_alu instid0(VALU_DEP_1)
	v_and_b32_e32 v6, 0xff0, v5
	v_and_b32_e32 v7, 0xfe0, v5
	v_and_b32_e32 v49, 8, v5
	v_and_b32_e32 v8, 0xfc0, v5
	v_and_b32_e32 v50, 24, v5
	v_or_b32_e32 v17, 8, v6
	v_add_nc_u32_e32 v18, 16, v6
	v_or_b32_e32 v19, 16, v7
	v_add_nc_u32_e32 v20, 32, v7
	v_and_b32_e32 v9, 0xf80, v5
	v_or_b32_e32 v21, 32, v8
	v_sub_nc_u32_e32 v61, v18, v17
	s_wait_kmcnt 0x0
	s_add_nc_u64 s[0:1], s[44:45], s[48:49]
	v_add_nc_u32_e32 v22, 64, v8
	s_clause 0x7
	global_load_u8 v1, v0, s[0:1]
	global_load_u8 v2, v0, s[0:1] offset:1024
	global_load_u8 v3, v0, s[0:1] offset:2048
	;; [unrolled: 1-line block ×7, first 2 shown]
	v_sub_nc_u32_e32 v41, v17, v6
	v_sub_nc_u32_e32 v62, v20, v19
	v_sub_nc_u32_e32 v69, v49, v61
	v_cmp_ge_i32_e64 s0, v49, v61
	v_and_b32_e32 v51, 56, v5
	v_and_b32_e32 v10, 0xf00, v5
	v_or_b32_e32 v23, 64, v9
	v_add_nc_u32_e32 v24, 0x80, v9
	v_add_nc_u32_e32 v33, v17, v49
	v_sub_nc_u32_e32 v42, v19, v7
	v_sub_nc_u32_e32 v63, v22, v21
	v_min_i32_e32 v41, v49, v41
	v_sub_nc_u32_e32 v70, v50, v62
	v_cndmask_b32_e64 v49, 0, v69, s0
	v_cmp_ge_i32_e64 s0, v50, v62
	v_and_b32_e32 v52, 0x78, v5
	v_and_b32_e32 v11, 0xe00, v5
	v_or_b32_e32 v25, 0x80, v10
	v_add_nc_u32_e32 v26, 0x100, v10
	v_add_nc_u32_e32 v34, v19, v50
	v_sub_nc_u32_e32 v43, v21, v8
	v_sub_nc_u32_e32 v64, v24, v23
	v_min_i32_e32 v42, v50, v42
	v_sub_nc_u32_e32 v71, v51, v63
	s_wait_alu 0xf1ff
	v_cndmask_b32_e64 v50, 0, v70, s0
	v_cmp_ge_i32_e64 s0, v51, v63
	v_and_b32_e32 v53, 0xf8, v5
	v_and_b32_e32 v12, 0xc00, v5
	v_or_b32_e32 v27, 0x100, v11
	v_add_nc_u32_e32 v28, 0x200, v11
	v_add_nc_u32_e32 v35, v21, v51
	v_sub_nc_u32_e32 v44, v23, v9
	v_sub_nc_u32_e32 v65, v26, v25
	v_min_i32_e32 v43, v51, v43
	v_sub_nc_u32_e32 v72, v52, v64
	s_wait_alu 0xf1ff
	v_cndmask_b32_e64 v51, 0, v71, s0
	v_cmp_ge_i32_e64 s0, v52, v64
	v_and_b32_e32 v54, 0x1f8, v5
	v_or_b32_e32 v29, 0x200, v12
	v_add_nc_u32_e32 v30, 0x400, v12
	v_add_nc_u32_e32 v36, v23, v52
	v_sub_nc_u32_e32 v45, v25, v10
	v_sub_nc_u32_e32 v66, v28, v27
	v_min_i32_e32 v44, v52, v44
	v_sub_nc_u32_e32 v73, v53, v65
	s_wait_alu 0xf1ff
	v_cndmask_b32_e64 v52, 0, v72, s0
	v_cmp_ge_i32_e64 s0, v53, v65
	v_and_b32_e32 v55, 0x3f8, v5
	v_and_b32_e32 v13, 0x800, v5
	v_add_nc_u32_e32 v37, v25, v53
	v_sub_nc_u32_e32 v46, v27, v11
	v_sub_nc_u32_e32 v67, v30, v29
	v_min_i32_e32 v45, v53, v45
	v_sub_nc_u32_e32 v74, v54, v66
	s_wait_alu 0xf1ff
	v_cndmask_b32_e64 v53, 0, v73, s0
	v_cmp_ge_i32_e64 s0, v54, v66
	v_or_b32_e32 v31, 0x400, v13
	v_add_nc_u32_e32 v32, 0x800, v13
	v_add_nc_u32_e32 v38, v27, v54
	v_min_i32_e32 v46, v54, v46
	v_sub_nc_u32_e32 v75, v55, v67
	s_wait_alu 0xf1ff
	v_cndmask_b32_e64 v54, 0, v74, s0
	v_cmp_ge_i32_e64 s0, v55, v67
	v_and_b32_e32 v56, 0x7f8, v5
	v_sub_nc_u32_e32 v47, v29, v12
	v_sub_nc_u32_e32 v68, v32, v31
	v_add_nc_u32_e32 v39, v29, v55
	v_sub_nc_u32_e32 v48, v31, v13
	v_add_nc_u32_e32 v40, v31, v56
	v_min_i32_e32 v47, v55, v47
	v_sub_nc_u32_e32 v76, v56, v68
	s_wait_alu 0xf1ff
	v_cndmask_b32_e64 v55, 0, v75, s0
	v_cmp_ge_i32_e64 s0, v56, v68
	v_min_i32_e32 v48, v56, v48
	v_subrev_nc_u32_e64 v14, 0x800, v5 clamp
	v_min_i32_e32 v15, 0x800, v5
	v_add_nc_u32_e32 v16, 0x800, v5
	s_wait_alu 0xf1ff
	v_cndmask_b32_e64 v56, 0, v76, s0
	v_cmp_lt_i32_e64 s0, v49, v41
	v_cmp_lt_i32_e64 s1, v50, v42
	;; [unrolled: 1-line block ×8, first 2 shown]
	v_cmp_lt_i32_e32 vcc_lo, v14, v15
	s_wait_loadcnt 0x7
	v_add_nc_u16 v61, v1, 1
	s_wait_loadcnt 0x6
	v_add_nc_u16 v62, v2, 1
	;; [unrolled: 2-line block ×4, first 2 shown]
	s_wait_loadcnt 0x3
	v_perm_b32 v1, v1, v57, 0xc0c0004
	s_wait_loadcnt 0x2
	v_lshlrev_b16 v65, 8, v58
	v_lshlrev_b16 v57, 8, v57
	s_wait_loadcnt 0x1
	v_lshlrev_b16 v66, 8, v59
	s_wait_loadcnt 0x0
	v_lshlrev_b16 v67, 8, v60
	v_and_b32_e32 v61, 0xff, v61
	v_and_b32_e32 v62, 0xff, v62
	;; [unrolled: 1-line block ×4, first 2 shown]
	v_perm_b32 v2, v2, v58, 0xc0c0004
	v_or_b32_e32 v57, v57, v61
	v_or_b32_e32 v58, v65, v62
	;; [unrolled: 1-line block ×4, first 2 shown]
	v_perm_b32 v3, v3, v60, 0xc0c0004
	v_add_nc_u16 v57, 0x100, v57
	v_add_nc_u16 v58, 0x100, v58
	;; [unrolled: 1-line block ×4, first 2 shown]
	v_perm_b32 v4, v4, v59, 0xc0c0004
	v_and_b32_e32 v57, 0xffff, v57
	v_lshlrev_b32_e32 v58, 16, v58
	v_and_b32_e32 v59, 0xffff, v60
	v_lshlrev_b32_e32 v60, 16, v61
	v_lshl_or_b32 v70, v2, 16, v1
	v_lshl_or_b32 v61, v4, 16, v3
	v_or_b32_e32 v1, v57, v58
	s_delay_alu instid0(VALU_DEP_4)
	v_or_b32_e32 v2, v59, v60
	s_branch .LBB119_2
.LBB119_1:                              ;   in Loop: Header=BB119_2 Depth=1
	s_or_b32 exec_lo, exec_lo, s15
	v_cndmask_b32_e64 v69, v69, v71, s10
	v_cndmask_b32_e64 v71, v73, v74, s11
	s_wait_dscnt 0x0
	v_and_b32_e32 v73, 0xff, v91
	v_and_b32_e32 v74, 0xff, v92
	v_cndmask_b32_e64 v83, v63, v64, s8
	v_cndmask_b32_e64 v63, v77, v78, s12
	;; [unrolled: 1-line block ×4, first 2 shown]
	v_cmp_le_i32_e64 s11, 0x800, v90
	v_cmp_lt_u16_e64 s12, v74, v73
	v_cndmask_b32_e64 v61, v61, v62, s8
	v_cmp_gt_i32_e64 s8, 0x1000, v87
	v_perm_b32 v58, v58, v59, 0xc0c0004
	v_perm_b32 v57, v60, v57, 0xc0c0004
	;; [unrolled: 1-line block ×4, first 2 shown]
	v_cndmask_b32_e64 v68, v65, v68, s9
	v_cndmask_b32_e64 v66, v66, v67, s9
	s_or_b32 s9, s11, s12
	v_lshl_or_b32 v2, v57, 16, v58
	s_wait_alu 0xfffe
	s_and_b32 s8, s8, s9
	v_lshl_or_b32 v1, v4, 16, v1
	s_wait_alu 0xfffe
	v_cndmask_b32_e64 v59, v90, v87, s8
	v_cndmask_b32_e64 v70, v70, v72, s10
	;; [unrolled: 1-line block ×3, first 2 shown]
	s_wait_loadcnt 0x0
	s_barrier_signal -1
	s_barrier_wait -1
	global_inv scope:SCOPE_SE
	ds_store_b64 v5, v[1:2]
	s_wait_loadcnt_dscnt 0x0
	s_barrier_signal -1
	s_barrier_wait -1
	global_inv scope:SCOPE_SE
	ds_load_u8 v58, v61
	ds_load_u8 v4, v88
	;; [unrolled: 1-line block ×8, first 2 shown]
	v_cndmask_b32_e64 v64, v81, v82, s13
	v_cndmask_b32_e64 v65, v86, v89, s14
	;; [unrolled: 1-line block ×3, first 2 shown]
	v_lshlrev_b16 v1, 8, v68
	v_and_b32_e32 v2, 0xff, v83
	v_lshlrev_b16 v61, 8, v71
	v_and_b32_e32 v70, 0xff, v69
	;; [unrolled: 2-line block ×3, first 2 shown]
	v_and_b32_e32 v74, 0xff, v65
	v_lshlrev_b16 v75, 8, v3
	v_or_b32_e32 v1, v2, v1
	v_or_b32_e32 v2, v70, v61
	;; [unrolled: 1-line block ×3, first 2 shown]
	s_wait_dscnt 0x5
	v_perm_b32 v76, v4, v57, 0xc0c0004
	v_or_b32_e32 v70, v74, v75
	v_and_b32_e32 v1, 0xffff, v1
	v_lshlrev_b32_e32 v2, 16, v2
	v_and_b32_e32 v61, 0xffff, v61
	s_wait_dscnt 0x4
	v_perm_b32 v73, v58, v62, 0xc0c0004
	v_lshlrev_b32_e32 v72, 16, v70
	s_wait_dscnt 0x2
	v_perm_b32 v74, v66, v67, 0xc0c0004
	s_wait_dscnt 0x0
	v_perm_b32 v75, v59, v60, 0xc0c0004
	v_or_b32_e32 v70, v1, v2
	s_add_co_i32 s50, s50, 1
	v_or_b32_e32 v61, v61, v72
	v_lshl_or_b32 v1, v74, 16, v73
	v_lshl_or_b32 v2, v76, 16, v75
	s_cmp_eq_u32 s50, 10
	s_cbranch_scc1 .LBB119_290
.LBB119_2:                              ; =>This Loop Header: Depth=1
                                        ;     Child Loop BB119_4 Depth 2
                                        ;     Child Loop BB119_36 Depth 2
	;; [unrolled: 1-line block ×9, first 2 shown]
	v_lshrrev_b32_e32 v3, 8, v70
	v_and_b32_e32 v4, 0xff, v70
	v_perm_b32 v57, v70, v70, 0x7060405
	v_lshrrev_b32_e32 v58, 8, v61
	v_and_b32_e32 v62, 0xff, v61
	v_and_b32_e32 v3, 0xff, v3
	v_perm_b32 v60, v61, v61, 0x7060405
	s_delay_alu instid0(VALU_DEP_4) | instskip(SKIP_1) | instid1(VALU_DEP_3)
	v_and_b32_e32 v58, 0xff, v58
	s_barrier_signal -1
	v_cmp_lt_u16_e64 s8, v3, v4
	s_barrier_wait -1
	global_inv scope:SCOPE_SE
	v_cmp_lt_u16_e64 s10, v58, v62
	s_wait_alu 0xf1ff
	v_cndmask_b32_e64 v3, v70, v57, s8
	s_delay_alu instid0(VALU_DEP_1) | instskip(SKIP_1) | instid1(VALU_DEP_2)
	v_lshrrev_b32_e32 v4, 16, v3
	v_lshrrev_b32_e32 v59, 24, v3
	v_perm_b32 v57, 0, v4, 0xc0c0001
	v_and_b32_e32 v4, 0xff, v4
	s_delay_alu instid0(VALU_DEP_2) | instskip(NEXT) | instid1(VALU_DEP_2)
	v_lshlrev_b32_e32 v57, 16, v57
	v_cmp_lt_u16_e64 s9, v59, v4
	v_cndmask_b32_e64 v4, v61, v60, s10
	s_delay_alu instid0(VALU_DEP_3) | instskip(NEXT) | instid1(VALU_DEP_2)
	v_and_or_b32 v57, 0xffff, v3, v57
	v_lshrrev_b32_e32 v59, 16, v4
	v_lshrrev_b32_e32 v61, 24, v4
	v_perm_b32 v62, v4, v4, 0x6070504
	s_wait_alu 0xf1ff
	v_cndmask_b32_e64 v3, v3, v57, s9
	v_and_b32_e32 v59, 0xff, v59
	s_delay_alu instid0(VALU_DEP_2) | instskip(SKIP_2) | instid1(VALU_DEP_4)
	v_lshrrev_b32_e32 v57, 16, v3
	v_lshrrev_b32_e32 v58, 8, v3
	v_perm_b32 v60, v3, v3, 0x7050604
	v_cmp_lt_u16_e64 s13, v61, v59
	s_delay_alu instid0(VALU_DEP_4) | instskip(NEXT) | instid1(VALU_DEP_4)
	v_and_b32_e32 v57, 0xff, v57
	v_and_b32_e32 v58, 0xff, v58
	s_wait_alu 0xf1ff
	s_delay_alu instid0(VALU_DEP_3) | instskip(NEXT) | instid1(VALU_DEP_2)
	v_cndmask_b32_e64 v4, v4, v62, s13
	v_cmp_lt_u16_e64 s12, v57, v58
	s_delay_alu instid0(VALU_DEP_2) | instskip(SKIP_1) | instid1(VALU_DEP_2)
	v_lshlrev_b16 v58, 8, v4
	s_wait_alu 0xf1ff
	v_cndmask_b32_e64 v3, v3, v60, s12
	s_delay_alu instid0(VALU_DEP_1) | instskip(SKIP_1) | instid1(VALU_DEP_2)
	v_lshrrev_b32_e32 v57, 16, v3
	v_lshrrev_b32_e32 v59, 24, v3
	v_and_b32_e32 v57, 0xff, v57
	s_delay_alu instid0(VALU_DEP_1) | instskip(SKIP_1) | instid1(VALU_DEP_2)
	v_or_b32_e32 v57, v57, v58
	v_and_b32_e32 v58, 0xff, v4
	v_lshlrev_b32_e32 v57, 16, v57
	s_delay_alu instid0(VALU_DEP_2) | instskip(NEXT) | instid1(VALU_DEP_2)
	v_cmp_lt_u16_e64 s11, v58, v59
	v_and_or_b32 v57, 0xffff, v3, v57
	s_wait_alu 0xf1ff
	s_delay_alu instid0(VALU_DEP_1) | instskip(SKIP_1) | instid1(VALU_DEP_2)
	v_cndmask_b32_e64 v57, v3, v57, s11
	v_perm_b32 v3, v3, v4, 0x3020107
	v_lshrrev_b32_e32 v58, 8, v57
	v_perm_b32 v59, 0, v57, 0xc0c0001
	v_and_b32_e32 v60, 0xff, v57
	s_delay_alu instid0(VALU_DEP_4) | instskip(NEXT) | instid1(VALU_DEP_4)
	v_cndmask_b32_e64 v3, v4, v3, s11
	v_and_b32_e32 v58, 0xff, v58
	s_delay_alu instid0(VALU_DEP_4) | instskip(NEXT) | instid1(VALU_DEP_2)
	v_and_or_b32 v59, 0xffff0000, v57, v59
	v_cmp_lt_u16_e64 s14, v58, v60
	s_delay_alu instid0(VALU_DEP_4) | instskip(SKIP_2) | instid1(VALU_DEP_3)
	v_lshrrev_b32_e32 v58, 8, v3
	v_perm_b32 v60, v3, v3, 0x7050604
	s_wait_alu 0xf1ff
	v_cndmask_b32_e64 v4, v57, v59, s14
	v_lshrrev_b32_e32 v57, 16, v3
	v_and_b32_e32 v58, 0xff, v58
	s_delay_alu instid0(VALU_DEP_3) | instskip(NEXT) | instid1(VALU_DEP_3)
	v_lshrrev_b32_e32 v59, 16, v4
	v_and_b32_e32 v57, 0xff, v57
	s_delay_alu instid0(VALU_DEP_2) | instskip(NEXT) | instid1(VALU_DEP_2)
	v_perm_b32 v61, 0, v59, 0xc0c0001
	v_cmp_lt_u16_e64 s15, v57, v58
	v_lshrrev_b32_e32 v58, 24, v4
	v_and_b32_e32 v59, 0xff, v59
	s_delay_alu instid0(VALU_DEP_4) | instskip(SKIP_2) | instid1(VALU_DEP_3)
	v_lshlrev_b32_e32 v57, 16, v61
	s_wait_alu 0xf1ff
	v_cndmask_b32_e64 v3, v3, v60, s15
	v_cmp_lt_u16_e64 s16, v58, v59
	s_delay_alu instid0(VALU_DEP_3) | instskip(NEXT) | instid1(VALU_DEP_3)
	v_and_or_b32 v57, 0xffff, v4, v57
	v_lshrrev_b32_e32 v60, 8, v3
	v_and_b32_e32 v62, 0xff, v3
	v_perm_b32 v61, v3, v3, 0x7060405
	s_wait_alu 0xf1ff
	v_cndmask_b32_e64 v4, v4, v57, s16
	v_and_b32_e32 v60, 0xff, v60
	s_delay_alu instid0(VALU_DEP_2) | instskip(NEXT) | instid1(VALU_DEP_2)
	v_lshrrev_b32_e32 v57, 16, v4
	v_cmp_lt_u16_e64 s17, v60, v62
	v_lshrrev_b32_e32 v58, 8, v4
	v_perm_b32 v60, v4, v4, 0x7050604
	s_delay_alu instid0(VALU_DEP_4) | instskip(SKIP_3) | instid1(VALU_DEP_2)
	v_and_b32_e32 v57, 0xff, v57
	s_wait_alu 0xf1ff
	v_cndmask_b32_e64 v3, v3, v61, s17
	v_and_b32_e32 v58, 0xff, v58
	v_lshrrev_b32_e32 v59, 16, v3
	v_lshrrev_b32_e32 v61, 24, v3
	s_delay_alu instid0(VALU_DEP_3) | instskip(SKIP_1) | instid1(VALU_DEP_4)
	v_cmp_lt_u16_e64 s19, v57, v58
	v_perm_b32 v62, v3, v3, 0x6070504
	v_and_b32_e32 v59, 0xff, v59
	s_wait_alu 0xf1ff
	s_delay_alu instid0(VALU_DEP_3) | instskip(NEXT) | instid1(VALU_DEP_2)
	v_cndmask_b32_e64 v4, v4, v60, s19
	v_cmp_lt_u16_e64 s20, v61, v59
	s_delay_alu instid0(VALU_DEP_2) | instskip(SKIP_2) | instid1(VALU_DEP_3)
	v_lshrrev_b32_e32 v57, 16, v4
	v_lshrrev_b32_e32 v59, 24, v4
	s_wait_alu 0xf1ff
	v_cndmask_b32_e64 v3, v3, v62, s20
	s_delay_alu instid0(VALU_DEP_3) | instskip(NEXT) | instid1(VALU_DEP_2)
	v_and_b32_e32 v57, 0xff, v57
	v_lshlrev_b16 v58, 8, v3
	s_delay_alu instid0(VALU_DEP_1) | instskip(SKIP_1) | instid1(VALU_DEP_2)
	v_or_b32_e32 v57, v57, v58
	v_and_b32_e32 v58, 0xff, v3
	v_lshlrev_b32_e32 v57, 16, v57
	s_delay_alu instid0(VALU_DEP_2) | instskip(NEXT) | instid1(VALU_DEP_2)
	v_cmp_lt_u16_e64 s18, v58, v59
	v_and_or_b32 v57, 0xffff, v4, v57
	s_wait_alu 0xf1ff
	s_delay_alu instid0(VALU_DEP_1) | instskip(SKIP_1) | instid1(VALU_DEP_2)
	v_cndmask_b32_e64 v57, v4, v57, s18
	v_perm_b32 v4, v4, v3, 0x3020107
	v_lshrrev_b32_e32 v58, 8, v57
	v_perm_b32 v59, 0, v57, 0xc0c0001
	v_and_b32_e32 v60, 0xff, v57
	s_delay_alu instid0(VALU_DEP_4) | instskip(NEXT) | instid1(VALU_DEP_4)
	v_cndmask_b32_e64 v3, v3, v4, s18
	v_and_b32_e32 v58, 0xff, v58
	s_delay_alu instid0(VALU_DEP_4) | instskip(NEXT) | instid1(VALU_DEP_2)
	v_and_or_b32 v59, 0xffff0000, v57, v59
	v_cmp_lt_u16_e64 s21, v58, v60
	s_delay_alu instid0(VALU_DEP_4) | instskip(SKIP_2) | instid1(VALU_DEP_3)
	v_lshrrev_b32_e32 v58, 8, v3
	v_perm_b32 v60, v3, v3, 0x7050604
	s_wait_alu 0xf1ff
	v_cndmask_b32_e64 v4, v57, v59, s21
	v_lshrrev_b32_e32 v57, 16, v3
	v_and_b32_e32 v58, 0xff, v58
	s_delay_alu instid0(VALU_DEP_3) | instskip(NEXT) | instid1(VALU_DEP_3)
	v_lshrrev_b32_e32 v59, 16, v4
	v_and_b32_e32 v57, 0xff, v57
	s_delay_alu instid0(VALU_DEP_2) | instskip(NEXT) | instid1(VALU_DEP_2)
	v_perm_b32 v61, 0, v59, 0xc0c0001
	v_cmp_lt_u16_e64 s23, v57, v58
	v_lshrrev_b32_e32 v58, 24, v4
	v_and_b32_e32 v59, 0xff, v59
	s_delay_alu instid0(VALU_DEP_4) | instskip(SKIP_2) | instid1(VALU_DEP_3)
	v_lshlrev_b32_e32 v57, 16, v61
	s_wait_alu 0xf1ff
	v_cndmask_b32_e64 v3, v3, v60, s23
	v_cmp_lt_u16_e64 s24, v58, v59
	s_delay_alu instid0(VALU_DEP_3) | instskip(NEXT) | instid1(VALU_DEP_3)
	v_and_or_b32 v57, 0xffff, v4, v57
	v_lshrrev_b32_e32 v60, 8, v3
	v_and_b32_e32 v62, 0xff, v3
	v_perm_b32 v61, v3, v3, 0x7060405
	s_wait_alu 0xf1ff
	v_cndmask_b32_e64 v4, v4, v57, s24
	v_and_b32_e32 v60, 0xff, v60
	s_delay_alu instid0(VALU_DEP_2) | instskip(NEXT) | instid1(VALU_DEP_2)
	v_lshrrev_b32_e32 v57, 16, v4
	v_cmp_lt_u16_e64 s26, v60, v62
	v_lshrrev_b32_e32 v58, 8, v4
	v_perm_b32 v60, v4, v4, 0x7050604
	s_delay_alu instid0(VALU_DEP_4) | instskip(SKIP_3) | instid1(VALU_DEP_2)
	v_and_b32_e32 v57, 0xff, v57
	s_wait_alu 0xf1ff
	v_cndmask_b32_e64 v3, v3, v61, s26
	v_and_b32_e32 v58, 0xff, v58
	v_lshrrev_b32_e32 v59, 16, v3
	v_lshrrev_b32_e32 v61, 24, v3
	s_delay_alu instid0(VALU_DEP_3) | instskip(SKIP_1) | instid1(VALU_DEP_4)
	v_cmp_lt_u16_e64 s29, v57, v58
	v_perm_b32 v62, v3, v3, 0x6070504
	v_and_b32_e32 v59, 0xff, v59
	s_wait_alu 0xf1ff
	s_delay_alu instid0(VALU_DEP_3) | instskip(NEXT) | instid1(VALU_DEP_2)
	v_cndmask_b32_e64 v4, v4, v60, s29
	v_cmp_lt_u16_e64 s30, v61, v59
	s_delay_alu instid0(VALU_DEP_2) | instskip(SKIP_2) | instid1(VALU_DEP_3)
	v_lshrrev_b32_e32 v57, 16, v4
	v_lshrrev_b32_e32 v59, 24, v4
	s_wait_alu 0xf1ff
	v_cndmask_b32_e64 v3, v3, v62, s30
	s_delay_alu instid0(VALU_DEP_3) | instskip(NEXT) | instid1(VALU_DEP_2)
	v_and_b32_e32 v57, 0xff, v57
	v_lshlrev_b16 v58, 8, v3
	s_delay_alu instid0(VALU_DEP_1) | instskip(SKIP_1) | instid1(VALU_DEP_2)
	v_or_b32_e32 v57, v57, v58
	v_and_b32_e32 v58, 0xff, v3
	v_lshlrev_b32_e32 v57, 16, v57
	s_delay_alu instid0(VALU_DEP_2) | instskip(NEXT) | instid1(VALU_DEP_2)
	v_cmp_lt_u16_e64 s27, v58, v59
	v_and_or_b32 v57, 0xffff, v4, v57
	s_wait_alu 0xf1ff
	s_delay_alu instid0(VALU_DEP_1) | instskip(SKIP_1) | instid1(VALU_DEP_2)
	v_cndmask_b32_e64 v57, v4, v57, s27
	v_perm_b32 v4, v4, v3, 0x3020107
	v_lshrrev_b32_e32 v58, 8, v57
	v_perm_b32 v59, 0, v57, 0xc0c0001
	v_and_b32_e32 v60, 0xff, v57
	s_delay_alu instid0(VALU_DEP_4) | instskip(NEXT) | instid1(VALU_DEP_4)
	v_cndmask_b32_e64 v3, v3, v4, s27
	v_and_b32_e32 v58, 0xff, v58
	s_delay_alu instid0(VALU_DEP_4) | instskip(NEXT) | instid1(VALU_DEP_2)
	v_and_or_b32 v59, 0xffff0000, v57, v59
	v_cmp_lt_u16_e64 s35, v58, v60
	s_delay_alu instid0(VALU_DEP_4) | instskip(SKIP_2) | instid1(VALU_DEP_3)
	v_lshrrev_b32_e32 v58, 8, v3
	v_perm_b32 v60, v3, v3, 0x7050604
	s_wait_alu 0xf1ff
	v_cndmask_b32_e64 v4, v57, v59, s35
	v_lshrrev_b32_e32 v57, 16, v3
	v_and_b32_e32 v58, 0xff, v58
	s_delay_alu instid0(VALU_DEP_3) | instskip(NEXT) | instid1(VALU_DEP_3)
	v_lshrrev_b32_e32 v59, 16, v4
	v_and_b32_e32 v57, 0xff, v57
	s_delay_alu instid0(VALU_DEP_2) | instskip(NEXT) | instid1(VALU_DEP_2)
	v_perm_b32 v61, 0, v59, 0xc0c0001
	v_cmp_lt_u16_e64 s34, v57, v58
	v_lshrrev_b32_e32 v58, 24, v4
	v_and_b32_e32 v59, 0xff, v59
	s_delay_alu instid0(VALU_DEP_4) | instskip(SKIP_2) | instid1(VALU_DEP_3)
	v_lshlrev_b32_e32 v57, 16, v61
	s_wait_alu 0xf1ff
	v_cndmask_b32_e64 v3, v3, v60, s34
	v_cmp_lt_u16_e64 s36, v58, v59
	s_delay_alu instid0(VALU_DEP_3) | instskip(NEXT) | instid1(VALU_DEP_3)
	v_and_or_b32 v57, 0xffff, v4, v57
	v_lshrrev_b32_e32 v60, 8, v3
	v_and_b32_e32 v62, 0xff, v3
	v_perm_b32 v61, v3, v3, 0x7060405
	s_wait_alu 0xf1ff
	v_cndmask_b32_e64 v4, v4, v57, s36
	v_and_b32_e32 v60, 0xff, v60
	s_delay_alu instid0(VALU_DEP_2) | instskip(NEXT) | instid1(VALU_DEP_2)
	v_lshrrev_b32_e32 v57, 16, v4
	v_cmp_lt_u16_e64 s28, v60, v62
	v_lshrrev_b32_e32 v58, 8, v4
	v_perm_b32 v60, v4, v4, 0x7050604
	s_delay_alu instid0(VALU_DEP_4) | instskip(SKIP_3) | instid1(VALU_DEP_2)
	v_and_b32_e32 v57, 0xff, v57
	s_wait_alu 0xf1ff
	v_cndmask_b32_e64 v3, v3, v61, s28
	v_and_b32_e32 v58, 0xff, v58
	v_lshrrev_b32_e32 v59, 16, v3
	v_lshrrev_b32_e32 v61, 24, v3
	s_delay_alu instid0(VALU_DEP_3) | instskip(SKIP_1) | instid1(VALU_DEP_4)
	v_cmp_lt_u16_e64 s33, v57, v58
	v_perm_b32 v62, v3, v3, 0x6070504
	v_and_b32_e32 v59, 0xff, v59
	s_wait_alu 0xf1ff
	s_delay_alu instid0(VALU_DEP_3) | instskip(NEXT) | instid1(VALU_DEP_2)
	v_cndmask_b32_e64 v4, v4, v60, s33
	v_cmp_lt_u16_e64 s31, v61, v59
	s_delay_alu instid0(VALU_DEP_2) | instskip(SKIP_1) | instid1(VALU_DEP_2)
	v_lshrrev_b32_e32 v59, 24, v4
	s_wait_alu 0xf1ff
	v_cndmask_b32_e64 v57, v3, v62, s31
	v_lshrrev_b32_e32 v3, 16, v4
	s_delay_alu instid0(VALU_DEP_2) | instskip(NEXT) | instid1(VALU_DEP_2)
	v_lshlrev_b16 v58, 8, v57
	v_and_b32_e32 v3, 0xff, v3
	v_perm_b32 v60, v4, v57, 0x3020107
	s_delay_alu instid0(VALU_DEP_2) | instskip(SKIP_1) | instid1(VALU_DEP_2)
	v_or_b32_e32 v3, v3, v58
	v_and_b32_e32 v58, 0xff, v57
	v_lshlrev_b32_e32 v3, 16, v3
	s_delay_alu instid0(VALU_DEP_2) | instskip(NEXT) | instid1(VALU_DEP_2)
	v_cmp_lt_u16_e64 s22, v58, v59
	v_and_or_b32 v3, 0xffff, v4, v3
	s_wait_alu 0xf1ff
	s_delay_alu instid0(VALU_DEP_1) | instskip(SKIP_1) | instid1(VALU_DEP_1)
	v_cndmask_b32_e64 v3, v4, v3, s22
	v_cndmask_b32_e64 v4, v57, v60, s22
	v_lshrrev_b32_e32 v57, 16, v4
	v_lshrrev_b32_e32 v58, 8, v4
	v_perm_b32 v59, v4, v4, 0x7050604
	s_delay_alu instid0(VALU_DEP_3) | instskip(NEXT) | instid1(VALU_DEP_3)
	v_and_b32_e32 v57, 0xff, v57
	v_and_b32_e32 v58, 0xff, v58
	s_delay_alu instid0(VALU_DEP_1) | instskip(SKIP_2) | instid1(VALU_DEP_2)
	v_cmp_lt_u16_e64 s25, v57, v58
	v_mov_b32_e32 v57, v49
	s_wait_alu 0xf1ff
	v_cndmask_b32_e64 v4, v4, v59, s25
	ds_store_b64 v5, v[3:4]
	s_wait_loadcnt_dscnt 0x0
	s_barrier_signal -1
	s_barrier_wait -1
	global_inv scope:SCOPE_SE
	s_and_saveexec_b32 s38, s0
	s_cbranch_execz .LBB119_6
; %bb.3:                                ;   in Loop: Header=BB119_2 Depth=1
	v_mov_b32_e32 v57, v49
	v_mov_b32_e32 v3, v41
	s_mov_b32 s39, 0
.LBB119_4:                              ;   Parent Loop BB119_2 Depth=1
                                        ; =>  This Inner Loop Header: Depth=2
	s_delay_alu instid0(VALU_DEP_1) | instskip(NEXT) | instid1(VALU_DEP_1)
	v_sub_nc_u32_e32 v4, v3, v57
	v_lshrrev_b32_e32 v4, 1, v4
	s_delay_alu instid0(VALU_DEP_1) | instskip(NEXT) | instid1(VALU_DEP_1)
	v_add_nc_u32_e32 v4, v4, v57
	v_add_nc_u32_e32 v58, v6, v4
	v_xad_u32 v59, v4, -1, v33
	v_add_nc_u32_e32 v60, 1, v4
	ds_load_u8 v58, v58
	ds_load_u8 v59, v59
	s_wait_dscnt 0x0
	v_cmp_lt_u16_e64 s37, v59, v58
	s_wait_alu 0xf1ff
	s_delay_alu instid0(VALU_DEP_1) | instskip(SKIP_1) | instid1(VALU_DEP_1)
	v_cndmask_b32_e64 v3, v3, v4, s37
	v_cndmask_b32_e64 v57, v60, v57, s37
	v_cmp_ge_i32_e64 s37, v57, v3
	s_wait_alu 0xfffe
	s_or_b32 s39, s37, s39
	s_wait_alu 0xfffe
	s_and_not1_b32 exec_lo, exec_lo, s39
	s_cbranch_execnz .LBB119_4
; %bb.5:                                ;   in Loop: Header=BB119_2 Depth=1
	s_or_b32 exec_lo, exec_lo, s39
.LBB119_6:                              ;   in Loop: Header=BB119_2 Depth=1
	s_wait_alu 0xfffe
	s_or_b32 exec_lo, exec_lo, s38
	v_lshrrev_b64 v[3:4], 24, v[1:2]
	v_add_nc_u32_e32 v4, v57, v6
	v_sub_nc_u32_e32 v57, v33, v57
	v_lshrrev_b32_e32 v68, 8, v2
	v_lshrrev_b32_e32 v69, 16, v2
	;; [unrolled: 1-line block ×3, first 2 shown]
	ds_load_u8 v58, v4
	ds_load_u8 v59, v57
	v_cmp_le_i32_e64 s37, v17, v4
	v_cmp_gt_i32_e64 s39, v18, v57
	v_lshrrev_b32_e32 v71, 16, v1
	v_lshrrev_b32_e32 v73, 8, v1
	s_wait_dscnt 0x1
	v_and_b32_e32 v60, 0xff, v58
	s_wait_dscnt 0x0
	v_and_b32_e32 v61, 0xff, v59
	s_delay_alu instid0(VALU_DEP_1)
	v_cmp_lt_u16_e64 s38, v61, v60
                                        ; implicit-def: $vgpr60
	s_or_b32 s37, s37, s38
	s_wait_alu 0xfffe
	s_and_b32 s37, s39, s37
	s_wait_alu 0xfffe
	s_xor_b32 s38, s37, -1
	s_wait_alu 0xfffe
	s_and_saveexec_b32 s39, s38
	s_wait_alu 0xfffe
	s_xor_b32 s38, exec_lo, s39
; %bb.7:                                ;   in Loop: Header=BB119_2 Depth=1
	ds_load_u8 v60, v4 offset:1
; %bb.8:                                ;   in Loop: Header=BB119_2 Depth=1
	s_wait_alu 0xfffe
	s_or_saveexec_b32 s38, s38
	v_mov_b32_e32 v61, v59
	s_wait_alu 0xfffe
	s_xor_b32 exec_lo, exec_lo, s38
	s_cbranch_execz .LBB119_10
; %bb.9:                                ;   in Loop: Header=BB119_2 Depth=1
	ds_load_u8 v61, v57 offset:1
	s_wait_dscnt 0x1
	v_mov_b32_e32 v60, v58
.LBB119_10:                             ;   in Loop: Header=BB119_2 Depth=1
	s_or_b32 exec_lo, exec_lo, s38
	v_add_nc_u32_e32 v62, 1, v4
	v_add_nc_u32_e32 v63, 1, v57
	s_wait_dscnt 0x0
	v_and_b32_e32 v64, 0xff, v60
	v_and_b32_e32 v65, 0xff, v61
	v_cndmask_b32_e64 v62, v62, v4, s37
	v_cndmask_b32_e64 v63, v57, v63, s37
	s_delay_alu instid0(VALU_DEP_3) | instskip(NEXT) | instid1(VALU_DEP_3)
	v_cmp_lt_u16_e64 s39, v65, v64
                                        ; implicit-def: $vgpr64
	v_cmp_ge_i32_e64 s38, v62, v17
	s_delay_alu instid0(VALU_DEP_3)
	v_cmp_lt_i32_e64 s40, v63, v18
	s_or_b32 s38, s38, s39
	s_wait_alu 0xfffe
	s_and_b32 s38, s40, s38
	s_wait_alu 0xfffe
	s_xor_b32 s39, s38, -1
	s_wait_alu 0xfffe
	s_and_saveexec_b32 s40, s39
	s_wait_alu 0xfffe
	s_xor_b32 s39, exec_lo, s40
; %bb.11:                               ;   in Loop: Header=BB119_2 Depth=1
	ds_load_u8 v64, v62 offset:1
; %bb.12:                               ;   in Loop: Header=BB119_2 Depth=1
	s_wait_alu 0xfffe
	s_or_saveexec_b32 s39, s39
	v_mov_b32_e32 v65, v61
	s_wait_alu 0xfffe
	s_xor_b32 exec_lo, exec_lo, s39
	s_cbranch_execz .LBB119_14
; %bb.13:                               ;   in Loop: Header=BB119_2 Depth=1
	ds_load_u8 v65, v63 offset:1
	s_wait_dscnt 0x1
	v_mov_b32_e32 v64, v60
.LBB119_14:                             ;   in Loop: Header=BB119_2 Depth=1
	s_or_b32 exec_lo, exec_lo, s39
	v_add_nc_u32_e32 v66, 1, v62
	v_add_nc_u32_e32 v67, 1, v63
	s_wait_dscnt 0x0
	v_and_b32_e32 v72, 0xff, v64
	v_and_b32_e32 v74, 0xff, v65
	v_cndmask_b32_e64 v66, v66, v62, s38
	v_cndmask_b32_e64 v67, v63, v67, s38
	s_delay_alu instid0(VALU_DEP_3) | instskip(NEXT) | instid1(VALU_DEP_3)
	v_cmp_lt_u16_e64 s40, v74, v72
                                        ; implicit-def: $vgpr72
	v_cmp_ge_i32_e64 s39, v66, v17
	s_delay_alu instid0(VALU_DEP_3)
	v_cmp_lt_i32_e64 s41, v67, v18
	s_or_b32 s39, s39, s40
	s_wait_alu 0xfffe
	s_and_b32 s39, s41, s39
	s_wait_alu 0xfffe
	s_xor_b32 s40, s39, -1
	s_wait_alu 0xfffe
	s_and_saveexec_b32 s41, s40
	s_wait_alu 0xfffe
	s_xor_b32 s40, exec_lo, s41
; %bb.15:                               ;   in Loop: Header=BB119_2 Depth=1
	ds_load_u8 v72, v66 offset:1
; %bb.16:                               ;   in Loop: Header=BB119_2 Depth=1
	s_wait_alu 0xfffe
	s_or_saveexec_b32 s40, s40
	v_mov_b32_e32 v74, v65
	s_wait_alu 0xfffe
	s_xor_b32 exec_lo, exec_lo, s40
	s_cbranch_execz .LBB119_18
; %bb.17:                               ;   in Loop: Header=BB119_2 Depth=1
	ds_load_u8 v74, v67 offset:1
	s_wait_dscnt 0x1
	v_mov_b32_e32 v72, v64
.LBB119_18:                             ;   in Loop: Header=BB119_2 Depth=1
	s_or_b32 exec_lo, exec_lo, s40
	v_add_nc_u32_e32 v75, 1, v66
	v_add_nc_u32_e32 v76, 1, v67
	s_wait_dscnt 0x0
	v_and_b32_e32 v77, 0xff, v72
	v_and_b32_e32 v78, 0xff, v74
	v_cndmask_b32_e64 v75, v75, v66, s39
	v_cndmask_b32_e64 v76, v67, v76, s39
	s_delay_alu instid0(VALU_DEP_3) | instskip(NEXT) | instid1(VALU_DEP_3)
	v_cmp_lt_u16_e64 s41, v78, v77
                                        ; implicit-def: $vgpr77
	v_cmp_ge_i32_e64 s40, v75, v17
	s_delay_alu instid0(VALU_DEP_3)
	v_cmp_lt_i32_e64 s42, v76, v18
	s_or_b32 s40, s40, s41
	s_wait_alu 0xfffe
	s_and_b32 s40, s42, s40
	s_wait_alu 0xfffe
	s_xor_b32 s41, s40, -1
	s_wait_alu 0xfffe
	s_and_saveexec_b32 s42, s41
	s_wait_alu 0xfffe
	s_xor_b32 s41, exec_lo, s42
; %bb.19:                               ;   in Loop: Header=BB119_2 Depth=1
	ds_load_u8 v77, v75 offset:1
; %bb.20:                               ;   in Loop: Header=BB119_2 Depth=1
	s_wait_alu 0xfffe
	s_or_saveexec_b32 s41, s41
	v_mov_b32_e32 v78, v74
	s_wait_alu 0xfffe
	s_xor_b32 exec_lo, exec_lo, s41
	s_cbranch_execz .LBB119_22
; %bb.21:                               ;   in Loop: Header=BB119_2 Depth=1
	ds_load_u8 v78, v76 offset:1
	s_wait_dscnt 0x1
	v_mov_b32_e32 v77, v72
.LBB119_22:                             ;   in Loop: Header=BB119_2 Depth=1
	s_or_b32 exec_lo, exec_lo, s41
	v_add_nc_u32_e32 v79, 1, v75
	v_add_nc_u32_e32 v80, 1, v76
	s_wait_dscnt 0x0
	v_and_b32_e32 v81, 0xff, v77
	v_and_b32_e32 v82, 0xff, v78
	v_cndmask_b32_e64 v79, v79, v75, s40
	v_cndmask_b32_e64 v80, v76, v80, s40
	s_delay_alu instid0(VALU_DEP_3) | instskip(NEXT) | instid1(VALU_DEP_3)
	v_cmp_lt_u16_e64 s42, v82, v81
                                        ; implicit-def: $vgpr82
	v_cmp_ge_i32_e64 s41, v79, v17
	s_delay_alu instid0(VALU_DEP_3)
	v_cmp_lt_i32_e64 s43, v80, v18
	s_or_b32 s41, s41, s42
	s_wait_alu 0xfffe
	s_and_b32 s41, s43, s41
	s_wait_alu 0xfffe
	s_xor_b32 s42, s41, -1
	s_wait_alu 0xfffe
	s_and_saveexec_b32 s43, s42
	s_wait_alu 0xfffe
	s_xor_b32 s42, exec_lo, s43
; %bb.23:                               ;   in Loop: Header=BB119_2 Depth=1
	ds_load_u8 v82, v79 offset:1
; %bb.24:                               ;   in Loop: Header=BB119_2 Depth=1
	s_wait_alu 0xfffe
	s_or_saveexec_b32 s42, s42
	v_mov_b32_e32 v84, v78
	s_wait_alu 0xfffe
	s_xor_b32 exec_lo, exec_lo, s42
	s_cbranch_execz .LBB119_26
; %bb.25:                               ;   in Loop: Header=BB119_2 Depth=1
	ds_load_u8 v84, v80 offset:1
	s_wait_dscnt 0x1
	v_mov_b32_e32 v82, v77
.LBB119_26:                             ;   in Loop: Header=BB119_2 Depth=1
	s_or_b32 exec_lo, exec_lo, s42
	v_add_nc_u32_e32 v81, 1, v79
	v_add_nc_u32_e32 v83, 1, v80
	s_wait_dscnt 0x0
	v_and_b32_e32 v85, 0xff, v82
                                        ; implicit-def: $vgpr89
	s_delay_alu instid0(VALU_DEP_3) | instskip(SKIP_2) | instid1(VALU_DEP_3)
	v_cndmask_b32_e64 v87, v81, v79, s41
	v_and_b32_e32 v81, 0xff, v84
	v_cndmask_b32_e64 v88, v80, v83, s41
	v_cmp_ge_i32_e64 s42, v87, v17
	s_delay_alu instid0(VALU_DEP_3) | instskip(NEXT) | instid1(VALU_DEP_3)
	v_cmp_lt_u16_e64 s43, v81, v85
	v_cmp_lt_i32_e64 s44, v88, v18
	s_or_b32 s42, s42, s43
	s_wait_alu 0xfffe
	s_and_b32 s43, s44, s42
	s_wait_alu 0xfffe
	s_xor_b32 s42, s43, -1
	s_wait_alu 0xfffe
	s_and_saveexec_b32 s44, s42
	s_delay_alu instid0(SALU_CYCLE_1)
	s_xor_b32 s42, exec_lo, s44
; %bb.27:                               ;   in Loop: Header=BB119_2 Depth=1
	ds_load_u8 v89, v87 offset:1
; %bb.28:                               ;   in Loop: Header=BB119_2 Depth=1
	s_wait_alu 0xfffe
	s_or_saveexec_b32 s42, s42
	v_mov_b32_e32 v90, v84
	s_wait_alu 0xfffe
	s_xor_b32 exec_lo, exec_lo, s42
	s_cbranch_execz .LBB119_30
; %bb.29:                               ;   in Loop: Header=BB119_2 Depth=1
	ds_load_u8 v90, v88 offset:1
	s_wait_dscnt 0x1
	v_mov_b32_e32 v89, v82
.LBB119_30:                             ;   in Loop: Header=BB119_2 Depth=1
	s_or_b32 exec_lo, exec_lo, s42
	v_add_nc_u32_e32 v81, 1, v87
	v_add_nc_u32_e32 v83, 1, v88
	s_wait_dscnt 0x0
	v_and_b32_e32 v91, 0xff, v89
	s_delay_alu instid0(VALU_DEP_3) | instskip(SKIP_2) | instid1(VALU_DEP_3)
	v_cndmask_b32_e64 v85, v81, v87, s43
	v_and_b32_e32 v81, 0xff, v90
	v_cndmask_b32_e64 v86, v88, v83, s43
	v_cmp_ge_i32_e64 s42, v85, v17
	s_delay_alu instid0(VALU_DEP_3) | instskip(NEXT) | instid1(VALU_DEP_3)
	v_cmp_lt_u16_e64 s44, v81, v91
	v_cmp_lt_i32_e64 s45, v86, v18
                                        ; implicit-def: $vgpr81
	s_or_b32 s42, s42, s44
	s_wait_alu 0xfffe
	s_and_b32 s42, s45, s42
	s_wait_alu 0xfffe
	s_xor_b32 s44, s42, -1
	s_delay_alu instid0(SALU_CYCLE_1) | instskip(NEXT) | instid1(SALU_CYCLE_1)
	s_and_saveexec_b32 s45, s44
	s_xor_b32 s44, exec_lo, s45
; %bb.31:                               ;   in Loop: Header=BB119_2 Depth=1
	ds_load_u8 v81, v85 offset:1
; %bb.32:                               ;   in Loop: Header=BB119_2 Depth=1
	s_or_saveexec_b32 s44, s44
	v_mov_b32_e32 v83, v90
	s_xor_b32 exec_lo, exec_lo, s44
	s_cbranch_execz .LBB119_34
; %bb.33:                               ;   in Loop: Header=BB119_2 Depth=1
	ds_load_u8 v83, v86 offset:1
	s_wait_dscnt 0x1
	v_mov_b32_e32 v81, v89
.LBB119_34:                             ;   in Loop: Header=BB119_2 Depth=1
	s_or_b32 exec_lo, exec_lo, s44
	v_perm_b32 v91, v73, v1, 0xc0c0004
	v_perm_b32 v1, v1, v73, 0xc0c0004
	;; [unrolled: 1-line block ×5, first 2 shown]
	v_cndmask_b32_e64 v72, v72, v74, s40
	v_cndmask_b32_e64 v1, v1, v91, s8
	v_perm_b32 v71, 0, v3, 0xc0c0001
	v_cndmask_b32_e64 v58, v58, v59, s37
	v_lshl_or_b32 v2, v68, 16, v2
	v_cndmask_b32_e64 v60, v60, v61, s38
	v_lshl_or_b32 v1, v3, 16, v1
	v_lshlrev_b32_e32 v3, 16, v71
	v_cndmask_b32_e64 v61, v62, v63, s38
	v_perm_b32 v68, v2, v2, 0x7060405
	v_add_nc_u32_e32 v70, 1, v85
	v_add_nc_u32_e32 v69, 1, v86
	v_and_or_b32 v3, 0xffff, v1, v3
	v_cndmask_b32_e64 v64, v64, v65, s39
	v_cndmask_b32_e64 v2, v2, v68, s10
	;; [unrolled: 1-line block ×6, first 2 shown]
	v_perm_b32 v68, v2, v2, 0x6070504
	v_cndmask_b32_e64 v82, v82, v84, s43
	v_cmp_ge_i32_e64 s9, v66, v17
	v_perm_b32 v3, v1, v1, 0x7050604
	v_cmp_lt_i32_e64 s10, v63, v18
	v_cndmask_b32_e64 v2, v2, v68, s13
	v_cndmask_b32_e64 v75, v75, v76, s40
	;; [unrolled: 1-line block ×5, first 2 shown]
	v_lshlrev_b16 v68, 8, v2
	s_wait_loadcnt_dscnt 0x0
	s_barrier_signal -1
	v_lshrrev_b32_e32 v3, 16, v1
	s_barrier_wait -1
	global_inv scope:SCOPE_SE
	v_and_b32_e32 v3, 0xff, v3
	s_delay_alu instid0(VALU_DEP_1) | instskip(NEXT) | instid1(VALU_DEP_1)
	v_or_b32_e32 v3, v3, v68
	v_lshlrev_b32_e32 v3, 16, v3
	s_delay_alu instid0(VALU_DEP_1) | instskip(NEXT) | instid1(VALU_DEP_1)
	v_and_or_b32 v3, 0xffff, v1, v3
	v_cndmask_b32_e64 v3, v1, v3, s11
	v_perm_b32 v1, v1, v2, 0x3020107
	s_delay_alu instid0(VALU_DEP_2) | instskip(NEXT) | instid1(VALU_DEP_2)
	v_perm_b32 v68, 0, v3, 0xc0c0001
	v_cndmask_b32_e64 v1, v2, v1, s11
	s_delay_alu instid0(VALU_DEP_2) | instskip(NEXT) | instid1(VALU_DEP_1)
	v_and_or_b32 v68, 0xffff0000, v3, v68
	v_cndmask_b32_e64 v3, v3, v68, s14
	s_delay_alu instid0(VALU_DEP_1) | instskip(NEXT) | instid1(VALU_DEP_1)
	v_lshrrev_b32_e32 v68, 16, v3
	v_perm_b32 v2, 0, v68, 0xc0c0001
	v_perm_b32 v68, v1, v1, 0x7050604
	s_delay_alu instid0(VALU_DEP_2) | instskip(NEXT) | instid1(VALU_DEP_2)
	v_lshlrev_b32_e32 v2, 16, v2
	v_cndmask_b32_e64 v1, v1, v68, s15
	s_delay_alu instid0(VALU_DEP_2) | instskip(NEXT) | instid1(VALU_DEP_2)
	v_and_or_b32 v2, 0xffff, v3, v2
	v_perm_b32 v68, v1, v1, 0x7060405
	s_delay_alu instid0(VALU_DEP_2) | instskip(NEXT) | instid1(VALU_DEP_2)
	v_cndmask_b32_e64 v2, v3, v2, s16
	v_cndmask_b32_e64 v1, v1, v68, s17
	s_delay_alu instid0(VALU_DEP_2) | instskip(NEXT) | instid1(VALU_DEP_2)
	v_perm_b32 v3, v2, v2, 0x7050604
	v_perm_b32 v68, v1, v1, 0x6070504
	s_delay_alu instid0(VALU_DEP_2) | instskip(NEXT) | instid1(VALU_DEP_2)
	v_cndmask_b32_e64 v2, v2, v3, s19
	v_cndmask_b32_e64 v1, v1, v68, s20
	s_delay_alu instid0(VALU_DEP_2) | instskip(NEXT) | instid1(VALU_DEP_2)
	v_lshrrev_b32_e32 v3, 16, v2
	v_lshlrev_b16 v68, 8, v1
	s_delay_alu instid0(VALU_DEP_2) | instskip(NEXT) | instid1(VALU_DEP_1)
	v_and_b32_e32 v3, 0xff, v3
	v_or_b32_e32 v3, v3, v68
	s_delay_alu instid0(VALU_DEP_1) | instskip(NEXT) | instid1(VALU_DEP_1)
	v_lshlrev_b32_e32 v3, 16, v3
	v_and_or_b32 v3, 0xffff, v2, v3
	s_delay_alu instid0(VALU_DEP_1) | instskip(SKIP_1) | instid1(VALU_DEP_2)
	v_cndmask_b32_e64 v3, v2, v3, s18
	v_perm_b32 v2, v2, v1, 0x3020107
	v_perm_b32 v68, 0, v3, 0xc0c0001
	s_delay_alu instid0(VALU_DEP_2) | instskip(NEXT) | instid1(VALU_DEP_2)
	v_cndmask_b32_e64 v1, v1, v2, s18
	v_and_or_b32 v68, 0xffff0000, v3, v68
	s_delay_alu instid0(VALU_DEP_1) | instskip(NEXT) | instid1(VALU_DEP_1)
	v_cndmask_b32_e64 v3, v3, v68, s21
	v_lshrrev_b32_e32 v68, 16, v3
	s_delay_alu instid0(VALU_DEP_1) | instskip(SKIP_1) | instid1(VALU_DEP_2)
	v_perm_b32 v2, 0, v68, 0xc0c0001
	v_perm_b32 v68, v1, v1, 0x7050604
	v_lshlrev_b32_e32 v2, 16, v2
	s_delay_alu instid0(VALU_DEP_2) | instskip(NEXT) | instid1(VALU_DEP_2)
	v_cndmask_b32_e64 v1, v1, v68, s23
	v_and_or_b32 v2, 0xffff, v3, v2
	s_delay_alu instid0(VALU_DEP_2) | instskip(NEXT) | instid1(VALU_DEP_2)
	v_perm_b32 v68, v1, v1, 0x7060405
	v_cndmask_b32_e64 v2, v3, v2, s24
	s_delay_alu instid0(VALU_DEP_2) | instskip(NEXT) | instid1(VALU_DEP_2)
	v_cndmask_b32_e64 v1, v1, v68, s26
	v_perm_b32 v3, v2, v2, 0x7050604
	s_delay_alu instid0(VALU_DEP_2) | instskip(NEXT) | instid1(VALU_DEP_2)
	v_perm_b32 v68, v1, v1, 0x6070504
	v_cndmask_b32_e64 v2, v2, v3, s29
	s_delay_alu instid0(VALU_DEP_2) | instskip(NEXT) | instid1(VALU_DEP_2)
	v_cndmask_b32_e64 v1, v1, v68, s30
	v_lshrrev_b32_e32 v3, 16, v2
	s_delay_alu instid0(VALU_DEP_2) | instskip(NEXT) | instid1(VALU_DEP_2)
	v_lshlrev_b16 v68, 8, v1
	v_and_b32_e32 v3, 0xff, v3
	s_delay_alu instid0(VALU_DEP_1) | instskip(NEXT) | instid1(VALU_DEP_1)
	v_or_b32_e32 v3, v3, v68
	v_lshlrev_b32_e32 v3, 16, v3
	s_delay_alu instid0(VALU_DEP_1) | instskip(NEXT) | instid1(VALU_DEP_1)
	v_and_or_b32 v3, 0xffff, v2, v3
	v_cndmask_b32_e64 v3, v2, v3, s27
	v_perm_b32 v2, v2, v1, 0x3020107
	s_delay_alu instid0(VALU_DEP_2) | instskip(NEXT) | instid1(VALU_DEP_2)
	v_perm_b32 v68, 0, v3, 0xc0c0001
	v_cndmask_b32_e64 v1, v1, v2, s27
	s_delay_alu instid0(VALU_DEP_2) | instskip(NEXT) | instid1(VALU_DEP_2)
	v_and_or_b32 v68, 0xffff0000, v3, v68
	v_perm_b32 v74, v1, v1, 0x7050604
	s_delay_alu instid0(VALU_DEP_2) | instskip(NEXT) | instid1(VALU_DEP_2)
	v_cndmask_b32_e64 v3, v3, v68, s35
	v_cndmask_b32_e64 v1, v1, v74, s34
	;; [unrolled: 1-line block ×3, first 2 shown]
	s_delay_alu instid0(VALU_DEP_3) | instskip(NEXT) | instid1(VALU_DEP_3)
	v_lshrrev_b32_e32 v71, 16, v3
	v_perm_b32 v59, v1, v1, 0x7060405
	s_delay_alu instid0(VALU_DEP_3) | instskip(NEXT) | instid1(VALU_DEP_3)
	v_and_b32_e32 v68, 0xff, v68
	v_perm_b32 v2, 0, v71, 0xc0c0001
	s_delay_alu instid0(VALU_DEP_3) | instskip(SKIP_2) | instid1(VALU_DEP_4)
	v_cndmask_b32_e64 v1, v1, v59, s28
	v_cndmask_b32_e64 v71, v77, v78, s41
	;; [unrolled: 1-line block ×3, first 2 shown]
	v_lshlrev_b32_e32 v2, 16, v2
	s_delay_alu instid0(VALU_DEP_4) | instskip(NEXT) | instid1(VALU_DEP_2)
	v_perm_b32 v62, v1, v1, 0x6070504
	v_and_or_b32 v2, 0xffff, v3, v2
	s_delay_alu instid0(VALU_DEP_2) | instskip(SKIP_1) | instid1(VALU_DEP_3)
	v_cndmask_b32_e64 v1, v1, v62, s31
	v_and_b32_e32 v62, 0xff, v64
	v_cndmask_b32_e64 v2, v3, v2, s36
	v_cndmask_b32_e64 v3, v4, v57, s37
	v_and_b32_e32 v4, 0xff, v81
	v_and_b32_e32 v57, 0xff, v83
	s_delay_alu instid0(VALU_DEP_4) | instskip(NEXT) | instid1(VALU_DEP_2)
	v_perm_b32 v59, v2, v2, 0x7050604
	v_cmp_lt_u16_e64 s8, v57, v4
	v_and_b32_e32 v57, 0xff, v58
	s_delay_alu instid0(VALU_DEP_3)
	v_cndmask_b32_e64 v59, v2, v59, s33
	v_lshlrev_b16 v58, 8, v1
	v_lshlrev_b16 v4, 8, v60
	s_or_b32 s8, s9, s8
	v_lshlrev_b16 v60, 8, v72
	v_lshrrev_b32_e32 v2, 16, v59
	v_perm_b32 v64, v59, v1, 0x3020107
	s_wait_alu 0xfffe
	s_and_b32 s8, s10, s8
	s_wait_alu 0xfffe
	v_cndmask_b32_e64 v67, v81, v83, s8
	v_and_b32_e32 v2, 0xff, v2
	v_cndmask_b32_e64 v1, v1, v64, s22
	v_and_b32_e32 v64, 0xff, v71
	v_or_b32_e32 v71, v57, v4
	v_lshlrev_b16 v4, 8, v67
	v_or_b32_e32 v2, v2, v58
	v_perm_b32 v69, v1, v1, 0x7050604
	v_lshlrev_b16 v58, 8, v82
	v_cndmask_b32_e64 v57, v66, v63, s8
	v_or_b32_e32 v62, v62, v60
	v_lshlrev_b32_e32 v2, 16, v2
	v_or_b32_e32 v63, v68, v4
	v_or_b32_e32 v64, v64, v58
	s_delay_alu instid0(VALU_DEP_4) | instskip(NEXT) | instid1(VALU_DEP_4)
	v_lshlrev_b32_e32 v62, 16, v62
	v_and_or_b32 v70, 0xffff, v59, v2
	v_cndmask_b32_e64 v2, v1, v69, s25
	s_delay_alu instid0(VALU_DEP_4) | instskip(SKIP_1) | instid1(VALU_DEP_4)
	v_and_b32_e32 v64, 0xffff, v64
	v_lshlrev_b32_e32 v63, 16, v63
	v_cndmask_b32_e64 v1, v59, v70, s22
	ds_store_b64 v5, v[1:2]
	s_wait_loadcnt_dscnt 0x0
	s_barrier_signal -1
	s_barrier_wait -1
	global_inv scope:SCOPE_SE
	ds_load_u8 v1, v3
	ds_load_u8 v57, v57
	;; [unrolled: 1-line block ×8, first 2 shown]
	v_and_b32_e32 v61, 0xffff, v71
	s_wait_loadcnt_dscnt 0x0
	s_barrier_signal -1
	s_barrier_wait -1
	global_inv scope:SCOPE_SE
	v_or_b32_e32 v61, v61, v62
	v_or_b32_e32 v62, v64, v63
	ds_store_b64 v5, v[61:62]
	v_mov_b32_e32 v62, v50
	s_wait_loadcnt_dscnt 0x0
	s_barrier_signal -1
	s_barrier_wait -1
	global_inv scope:SCOPE_SE
	s_and_saveexec_b32 s9, s1
	s_cbranch_execz .LBB119_38
; %bb.35:                               ;   in Loop: Header=BB119_2 Depth=1
	v_dual_mov_b32 v62, v50 :: v_dual_mov_b32 v61, v42
	s_mov_b32 s10, 0
.LBB119_36:                             ;   Parent Loop BB119_2 Depth=1
                                        ; =>  This Inner Loop Header: Depth=2
	s_delay_alu instid0(VALU_DEP_1) | instskip(NEXT) | instid1(VALU_DEP_1)
	v_sub_nc_u32_e32 v63, v61, v62
	v_lshrrev_b32_e32 v63, 1, v63
	s_delay_alu instid0(VALU_DEP_1) | instskip(NEXT) | instid1(VALU_DEP_1)
	v_add_nc_u32_e32 v63, v63, v62
	v_add_nc_u32_e32 v64, v7, v63
	v_xad_u32 v65, v63, -1, v34
	v_add_nc_u32_e32 v66, 1, v63
	ds_load_u8 v64, v64
	ds_load_u8 v65, v65
	s_wait_dscnt 0x0
	v_cmp_lt_u16_e64 s8, v65, v64
	s_wait_alu 0xf1ff
	s_delay_alu instid0(VALU_DEP_1) | instskip(SKIP_1) | instid1(VALU_DEP_1)
	v_cndmask_b32_e64 v61, v61, v63, s8
	v_cndmask_b32_e64 v62, v66, v62, s8
	v_cmp_ge_i32_e64 s8, v62, v61
	s_wait_alu 0xfffe
	s_or_b32 s10, s8, s10
	s_wait_alu 0xfffe
	s_and_not1_b32 exec_lo, exec_lo, s10
	s_cbranch_execnz .LBB119_36
; %bb.37:                               ;   in Loop: Header=BB119_2 Depth=1
	s_or_b32 exec_lo, exec_lo, s10
.LBB119_38:                             ;   in Loop: Header=BB119_2 Depth=1
	s_wait_alu 0xfffe
	s_or_b32 exec_lo, exec_lo, s9
	v_add_nc_u32_e32 v61, v62, v7
	v_sub_nc_u32_e32 v62, v34, v62
	ds_load_u8 v63, v61
	ds_load_u8 v64, v62
	v_cmp_le_i32_e64 s8, v19, v61
	v_cmp_gt_i32_e64 s10, v20, v62
	s_wait_dscnt 0x1
	v_and_b32_e32 v65, 0xff, v63
	s_wait_dscnt 0x0
	v_and_b32_e32 v66, 0xff, v64
	s_delay_alu instid0(VALU_DEP_1)
	v_cmp_lt_u16_e64 s9, v66, v65
                                        ; implicit-def: $vgpr65
	s_or_b32 s8, s8, s9
	s_wait_alu 0xfffe
	s_and_b32 s8, s10, s8
	s_wait_alu 0xfffe
	s_xor_b32 s9, s8, -1
	s_wait_alu 0xfffe
	s_and_saveexec_b32 s10, s9
	s_wait_alu 0xfffe
	s_xor_b32 s9, exec_lo, s10
; %bb.39:                               ;   in Loop: Header=BB119_2 Depth=1
	ds_load_u8 v65, v61 offset:1
; %bb.40:                               ;   in Loop: Header=BB119_2 Depth=1
	s_wait_alu 0xfffe
	s_or_saveexec_b32 s9, s9
	v_mov_b32_e32 v66, v64
	s_wait_alu 0xfffe
	s_xor_b32 exec_lo, exec_lo, s9
	s_cbranch_execz .LBB119_42
; %bb.41:                               ;   in Loop: Header=BB119_2 Depth=1
	ds_load_u8 v66, v62 offset:1
	s_wait_dscnt 0x1
	v_mov_b32_e32 v65, v63
.LBB119_42:                             ;   in Loop: Header=BB119_2 Depth=1
	s_or_b32 exec_lo, exec_lo, s9
	v_add_nc_u32_e32 v67, 1, v61
	v_add_nc_u32_e32 v68, 1, v62
	s_wait_dscnt 0x0
	v_and_b32_e32 v69, 0xff, v65
	v_and_b32_e32 v70, 0xff, v66
	v_cndmask_b32_e64 v67, v67, v61, s8
	v_cndmask_b32_e64 v68, v62, v68, s8
	s_delay_alu instid0(VALU_DEP_3) | instskip(NEXT) | instid1(VALU_DEP_3)
	v_cmp_lt_u16_e64 s10, v70, v69
                                        ; implicit-def: $vgpr69
	v_cmp_ge_i32_e64 s9, v67, v19
	s_delay_alu instid0(VALU_DEP_3)
	v_cmp_lt_i32_e64 s11, v68, v20
	s_or_b32 s9, s9, s10
	s_wait_alu 0xfffe
	s_and_b32 s9, s11, s9
	s_wait_alu 0xfffe
	s_xor_b32 s10, s9, -1
	s_wait_alu 0xfffe
	s_and_saveexec_b32 s11, s10
	s_wait_alu 0xfffe
	s_xor_b32 s10, exec_lo, s11
; %bb.43:                               ;   in Loop: Header=BB119_2 Depth=1
	ds_load_u8 v69, v67 offset:1
; %bb.44:                               ;   in Loop: Header=BB119_2 Depth=1
	s_wait_alu 0xfffe
	s_or_saveexec_b32 s10, s10
	v_mov_b32_e32 v70, v66
	s_wait_alu 0xfffe
	s_xor_b32 exec_lo, exec_lo, s10
	s_cbranch_execz .LBB119_46
; %bb.45:                               ;   in Loop: Header=BB119_2 Depth=1
	ds_load_u8 v70, v68 offset:1
	s_wait_dscnt 0x1
	v_mov_b32_e32 v69, v65
.LBB119_46:                             ;   in Loop: Header=BB119_2 Depth=1
	s_or_b32 exec_lo, exec_lo, s10
	v_add_nc_u32_e32 v71, 1, v67
	v_add_nc_u32_e32 v72, 1, v68
	s_wait_dscnt 0x0
	v_and_b32_e32 v73, 0xff, v69
	v_and_b32_e32 v74, 0xff, v70
	v_cndmask_b32_e64 v71, v71, v67, s9
	v_cndmask_b32_e64 v72, v68, v72, s9
	s_delay_alu instid0(VALU_DEP_3) | instskip(NEXT) | instid1(VALU_DEP_3)
	v_cmp_lt_u16_e64 s11, v74, v73
                                        ; implicit-def: $vgpr73
	v_cmp_ge_i32_e64 s10, v71, v19
	s_delay_alu instid0(VALU_DEP_3)
	v_cmp_lt_i32_e64 s12, v72, v20
	s_or_b32 s10, s10, s11
	s_wait_alu 0xfffe
	s_and_b32 s10, s12, s10
	s_wait_alu 0xfffe
	s_xor_b32 s11, s10, -1
	s_wait_alu 0xfffe
	s_and_saveexec_b32 s12, s11
	s_wait_alu 0xfffe
	s_xor_b32 s11, exec_lo, s12
; %bb.47:                               ;   in Loop: Header=BB119_2 Depth=1
	ds_load_u8 v73, v71 offset:1
; %bb.48:                               ;   in Loop: Header=BB119_2 Depth=1
	s_wait_alu 0xfffe
	s_or_saveexec_b32 s11, s11
	v_mov_b32_e32 v74, v70
	s_wait_alu 0xfffe
	s_xor_b32 exec_lo, exec_lo, s11
	s_cbranch_execz .LBB119_50
; %bb.49:                               ;   in Loop: Header=BB119_2 Depth=1
	ds_load_u8 v74, v72 offset:1
	s_wait_dscnt 0x1
	v_mov_b32_e32 v73, v69
.LBB119_50:                             ;   in Loop: Header=BB119_2 Depth=1
	s_or_b32 exec_lo, exec_lo, s11
	v_add_nc_u32_e32 v75, 1, v71
	v_add_nc_u32_e32 v76, 1, v72
	s_wait_dscnt 0x0
	v_and_b32_e32 v77, 0xff, v73
	v_and_b32_e32 v78, 0xff, v74
	v_cndmask_b32_e64 v75, v75, v71, s10
	v_cndmask_b32_e64 v76, v72, v76, s10
	s_delay_alu instid0(VALU_DEP_3) | instskip(NEXT) | instid1(VALU_DEP_3)
	v_cmp_lt_u16_e64 s12, v78, v77
                                        ; implicit-def: $vgpr77
	v_cmp_ge_i32_e64 s11, v75, v19
	s_delay_alu instid0(VALU_DEP_3)
	v_cmp_lt_i32_e64 s13, v76, v20
	s_or_b32 s11, s11, s12
	s_wait_alu 0xfffe
	s_and_b32 s11, s13, s11
	s_wait_alu 0xfffe
	s_xor_b32 s12, s11, -1
	s_wait_alu 0xfffe
	s_and_saveexec_b32 s13, s12
	s_wait_alu 0xfffe
	s_xor_b32 s12, exec_lo, s13
; %bb.51:                               ;   in Loop: Header=BB119_2 Depth=1
	ds_load_u8 v77, v75 offset:1
; %bb.52:                               ;   in Loop: Header=BB119_2 Depth=1
	s_wait_alu 0xfffe
	s_or_saveexec_b32 s12, s12
	v_mov_b32_e32 v78, v74
	s_wait_alu 0xfffe
	s_xor_b32 exec_lo, exec_lo, s12
	s_cbranch_execz .LBB119_54
; %bb.53:                               ;   in Loop: Header=BB119_2 Depth=1
	ds_load_u8 v78, v76 offset:1
	s_wait_dscnt 0x1
	v_mov_b32_e32 v77, v73
.LBB119_54:                             ;   in Loop: Header=BB119_2 Depth=1
	s_or_b32 exec_lo, exec_lo, s12
	v_add_nc_u32_e32 v79, 1, v75
	v_add_nc_u32_e32 v80, 1, v76
	s_wait_dscnt 0x0
	v_and_b32_e32 v81, 0xff, v77
	v_and_b32_e32 v82, 0xff, v78
	v_cndmask_b32_e64 v79, v79, v75, s11
	v_cndmask_b32_e64 v80, v76, v80, s11
	s_delay_alu instid0(VALU_DEP_3) | instskip(NEXT) | instid1(VALU_DEP_3)
	v_cmp_lt_u16_e64 s13, v82, v81
                                        ; implicit-def: $vgpr81
	v_cmp_ge_i32_e64 s12, v79, v19
	s_delay_alu instid0(VALU_DEP_3)
	v_cmp_lt_i32_e64 s14, v80, v20
	s_or_b32 s12, s12, s13
	s_wait_alu 0xfffe
	s_and_b32 s12, s14, s12
	s_wait_alu 0xfffe
	s_xor_b32 s13, s12, -1
	s_wait_alu 0xfffe
	s_and_saveexec_b32 s14, s13
	s_wait_alu 0xfffe
	s_xor_b32 s13, exec_lo, s14
; %bb.55:                               ;   in Loop: Header=BB119_2 Depth=1
	ds_load_u8 v81, v79 offset:1
; %bb.56:                               ;   in Loop: Header=BB119_2 Depth=1
	s_wait_alu 0xfffe
	s_or_saveexec_b32 s13, s13
	v_mov_b32_e32 v82, v78
	s_wait_alu 0xfffe
	s_xor_b32 exec_lo, exec_lo, s13
	s_cbranch_execz .LBB119_58
; %bb.57:                               ;   in Loop: Header=BB119_2 Depth=1
	ds_load_u8 v82, v80 offset:1
	s_wait_dscnt 0x1
	v_mov_b32_e32 v81, v77
.LBB119_58:                             ;   in Loop: Header=BB119_2 Depth=1
	s_or_b32 exec_lo, exec_lo, s13
	v_add_nc_u32_e32 v83, 1, v79
	v_add_nc_u32_e32 v84, 1, v80
	s_wait_dscnt 0x0
	v_and_b32_e32 v85, 0xff, v81
	v_and_b32_e32 v86, 0xff, v82
	v_cndmask_b32_e64 v83, v83, v79, s12
	v_cndmask_b32_e64 v84, v80, v84, s12
	s_delay_alu instid0(VALU_DEP_3) | instskip(NEXT) | instid1(VALU_DEP_3)
	v_cmp_lt_u16_e64 s14, v86, v85
                                        ; implicit-def: $vgpr86
	v_cmp_ge_i32_e64 s13, v83, v19
	s_delay_alu instid0(VALU_DEP_3)
	v_cmp_lt_i32_e64 s15, v84, v20
	s_or_b32 s13, s13, s14
	s_wait_alu 0xfffe
	s_and_b32 s13, s15, s13
	s_wait_alu 0xfffe
	s_xor_b32 s14, s13, -1
	s_wait_alu 0xfffe
	s_and_saveexec_b32 s15, s14
	s_wait_alu 0xfffe
	s_xor_b32 s14, exec_lo, s15
; %bb.59:                               ;   in Loop: Header=BB119_2 Depth=1
	ds_load_u8 v86, v83 offset:1
; %bb.60:                               ;   in Loop: Header=BB119_2 Depth=1
	s_wait_alu 0xfffe
	s_or_saveexec_b32 s14, s14
	v_mov_b32_e32 v88, v82
	s_wait_alu 0xfffe
	s_xor_b32 exec_lo, exec_lo, s14
	s_cbranch_execz .LBB119_62
; %bb.61:                               ;   in Loop: Header=BB119_2 Depth=1
	ds_load_u8 v88, v84 offset:1
	s_wait_dscnt 0x1
	v_mov_b32_e32 v86, v81
.LBB119_62:                             ;   in Loop: Header=BB119_2 Depth=1
	s_or_b32 exec_lo, exec_lo, s14
	v_add_nc_u32_e32 v85, 1, v83
	v_add_nc_u32_e32 v87, 1, v84
	s_wait_dscnt 0x0
	v_and_b32_e32 v91, 0xff, v86
	s_delay_alu instid0(VALU_DEP_3) | instskip(SKIP_2) | instid1(VALU_DEP_3)
	v_cndmask_b32_e64 v89, v85, v83, s13
	v_and_b32_e32 v85, 0xff, v88
	v_cndmask_b32_e64 v90, v84, v87, s13
	v_cmp_ge_i32_e64 s14, v89, v19
	s_delay_alu instid0(VALU_DEP_3) | instskip(NEXT) | instid1(VALU_DEP_3)
	v_cmp_lt_u16_e64 s15, v85, v91
	v_cmp_lt_i32_e64 s16, v90, v20
                                        ; implicit-def: $vgpr85
	s_or_b32 s14, s14, s15
	s_wait_alu 0xfffe
	s_and_b32 s14, s16, s14
	s_wait_alu 0xfffe
	s_xor_b32 s15, s14, -1
	s_wait_alu 0xfffe
	s_and_saveexec_b32 s16, s15
	s_wait_alu 0xfffe
	s_xor_b32 s15, exec_lo, s16
; %bb.63:                               ;   in Loop: Header=BB119_2 Depth=1
	ds_load_u8 v85, v89 offset:1
; %bb.64:                               ;   in Loop: Header=BB119_2 Depth=1
	s_wait_alu 0xfffe
	s_or_saveexec_b32 s15, s15
	v_mov_b32_e32 v87, v88
	s_wait_alu 0xfffe
	s_xor_b32 exec_lo, exec_lo, s15
	s_cbranch_execz .LBB119_66
; %bb.65:                               ;   in Loop: Header=BB119_2 Depth=1
	ds_load_u8 v87, v90 offset:1
	s_wait_dscnt 0x1
	v_mov_b32_e32 v85, v86
.LBB119_66:                             ;   in Loop: Header=BB119_2 Depth=1
	s_or_b32 exec_lo, exec_lo, s15
	v_add_nc_u32_e32 v92, 1, v89
	v_add_nc_u32_e32 v91, 1, v90
	v_cndmask_b32_e64 v86, v86, v88, s14
	v_cndmask_b32_e64 v88, v89, v90, s14
	;; [unrolled: 1-line block ×5, first 2 shown]
	s_wait_dscnt 0x0
	v_and_b32_e32 v75, 0xff, v85
	v_and_b32_e32 v76, 0xff, v87
	v_cndmask_b32_e64 v90, v90, v91, s14
	v_cndmask_b32_e64 v69, v69, v70, s10
	;; [unrolled: 1-line block ×3, first 2 shown]
	v_cmp_ge_i32_e64 s10, v89, v19
	v_cmp_lt_u16_e64 s11, v76, v75
	v_cndmask_b32_e64 v63, v63, v64, s8
	v_cndmask_b32_e64 v61, v61, v62, s8
	v_cmp_lt_i32_e64 s8, v90, v20
	v_perm_b32 v58, v58, v59, 0xc0c0004
	v_perm_b32 v57, v60, v57, 0xc0c0004
	;; [unrolled: 1-line block ×4, first 2 shown]
	v_cndmask_b32_e64 v65, v65, v66, s9
	v_cndmask_b32_e64 v66, v67, v68, s9
	s_or_b32 s9, s10, s11
	v_cndmask_b32_e64 v81, v81, v82, s13
	s_wait_alu 0xfffe
	s_and_b32 s8, s8, s9
	v_cndmask_b32_e64 v77, v77, v78, s12
	s_wait_alu 0xfffe
	v_cndmask_b32_e64 v4, v85, v87, s8
	v_lshl_or_b32 v2, v57, 16, v58
	v_lshl_or_b32 v1, v3, 16, v1
	s_wait_loadcnt 0x0
	s_barrier_signal -1
	s_barrier_wait -1
	global_inv scope:SCOPE_SE
	ds_store_b64 v5, v[1:2]
	v_lshlrev_b16 v1, 8, v65
	v_and_b32_e32 v2, 0xff, v63
	v_lshlrev_b16 v3, 8, v73
	v_and_b32_e32 v57, 0xff, v69
	;; [unrolled: 2-line block ×3, first 2 shown]
	v_and_b32_e32 v62, 0xff, v86
	v_lshlrev_b16 v4, 8, v4
	v_cndmask_b32_e64 v59, v89, v90, s8
	v_cndmask_b32_e64 v82, v83, v84, s13
	;; [unrolled: 1-line block ×3, first 2 shown]
	s_wait_loadcnt_dscnt 0x0
	s_barrier_signal -1
	s_barrier_wait -1
	global_inv scope:SCOPE_SE
	v_or_b32_e32 v63, v2, v1
	v_or_b32_e32 v64, v57, v3
	;; [unrolled: 1-line block ×4, first 2 shown]
	ds_load_u8 v1, v61
	ds_load_u8 v57, v59
	;; [unrolled: 1-line block ×8, first 2 shown]
	v_and_b32_e32 v61, 0xffff, v63
	v_lshlrev_b32_e32 v63, 16, v64
	v_and_b32_e32 v64, 0xffff, v65
	v_lshlrev_b32_e32 v62, 16, v62
	s_wait_loadcnt_dscnt 0x0
	s_barrier_signal -1
	v_or_b32_e32 v61, v61, v63
	s_barrier_wait -1
	v_or_b32_e32 v62, v64, v62
	global_inv scope:SCOPE_SE
	ds_store_b64 v5, v[61:62]
	v_mov_b32_e32 v62, v51
	s_wait_loadcnt_dscnt 0x0
	s_barrier_signal -1
	s_barrier_wait -1
	global_inv scope:SCOPE_SE
	s_and_saveexec_b32 s9, s2
	s_cbranch_execz .LBB119_70
; %bb.67:                               ;   in Loop: Header=BB119_2 Depth=1
	v_dual_mov_b32 v62, v51 :: v_dual_mov_b32 v61, v43
	s_mov_b32 s10, 0
.LBB119_68:                             ;   Parent Loop BB119_2 Depth=1
                                        ; =>  This Inner Loop Header: Depth=2
	s_delay_alu instid0(VALU_DEP_1) | instskip(NEXT) | instid1(VALU_DEP_1)
	v_sub_nc_u32_e32 v63, v61, v62
	v_lshrrev_b32_e32 v63, 1, v63
	s_delay_alu instid0(VALU_DEP_1) | instskip(NEXT) | instid1(VALU_DEP_1)
	v_add_nc_u32_e32 v63, v63, v62
	v_add_nc_u32_e32 v64, v8, v63
	v_xad_u32 v65, v63, -1, v35
	v_add_nc_u32_e32 v66, 1, v63
	ds_load_u8 v64, v64
	ds_load_u8 v65, v65
	s_wait_dscnt 0x0
	v_cmp_lt_u16_e64 s8, v65, v64
	s_wait_alu 0xf1ff
	s_delay_alu instid0(VALU_DEP_1) | instskip(SKIP_1) | instid1(VALU_DEP_1)
	v_cndmask_b32_e64 v61, v61, v63, s8
	v_cndmask_b32_e64 v62, v66, v62, s8
	v_cmp_ge_i32_e64 s8, v62, v61
	s_wait_alu 0xfffe
	s_or_b32 s10, s8, s10
	s_wait_alu 0xfffe
	s_and_not1_b32 exec_lo, exec_lo, s10
	s_cbranch_execnz .LBB119_68
; %bb.69:                               ;   in Loop: Header=BB119_2 Depth=1
	s_or_b32 exec_lo, exec_lo, s10
.LBB119_70:                             ;   in Loop: Header=BB119_2 Depth=1
	s_wait_alu 0xfffe
	s_or_b32 exec_lo, exec_lo, s9
	v_add_nc_u32_e32 v61, v62, v8
	v_sub_nc_u32_e32 v62, v35, v62
	ds_load_u8 v63, v61
	ds_load_u8 v64, v62
	v_cmp_le_i32_e64 s8, v21, v61
	v_cmp_gt_i32_e64 s10, v22, v62
	s_wait_dscnt 0x1
	v_and_b32_e32 v65, 0xff, v63
	s_wait_dscnt 0x0
	v_and_b32_e32 v66, 0xff, v64
	s_delay_alu instid0(VALU_DEP_1)
	v_cmp_lt_u16_e64 s9, v66, v65
                                        ; implicit-def: $vgpr65
	s_or_b32 s8, s8, s9
	s_wait_alu 0xfffe
	s_and_b32 s8, s10, s8
	s_wait_alu 0xfffe
	s_xor_b32 s9, s8, -1
	s_wait_alu 0xfffe
	s_and_saveexec_b32 s10, s9
	s_wait_alu 0xfffe
	s_xor_b32 s9, exec_lo, s10
; %bb.71:                               ;   in Loop: Header=BB119_2 Depth=1
	ds_load_u8 v65, v61 offset:1
; %bb.72:                               ;   in Loop: Header=BB119_2 Depth=1
	s_wait_alu 0xfffe
	s_or_saveexec_b32 s9, s9
	v_mov_b32_e32 v66, v64
	s_wait_alu 0xfffe
	s_xor_b32 exec_lo, exec_lo, s9
	s_cbranch_execz .LBB119_74
; %bb.73:                               ;   in Loop: Header=BB119_2 Depth=1
	ds_load_u8 v66, v62 offset:1
	s_wait_dscnt 0x1
	v_mov_b32_e32 v65, v63
.LBB119_74:                             ;   in Loop: Header=BB119_2 Depth=1
	s_or_b32 exec_lo, exec_lo, s9
	v_add_nc_u32_e32 v67, 1, v61
	v_add_nc_u32_e32 v68, 1, v62
	s_wait_dscnt 0x0
	v_and_b32_e32 v69, 0xff, v65
	v_and_b32_e32 v70, 0xff, v66
	v_cndmask_b32_e64 v67, v67, v61, s8
	v_cndmask_b32_e64 v68, v62, v68, s8
	s_delay_alu instid0(VALU_DEP_3) | instskip(NEXT) | instid1(VALU_DEP_3)
	v_cmp_lt_u16_e64 s10, v70, v69
                                        ; implicit-def: $vgpr69
	v_cmp_ge_i32_e64 s9, v67, v21
	s_delay_alu instid0(VALU_DEP_3)
	v_cmp_lt_i32_e64 s11, v68, v22
	s_or_b32 s9, s9, s10
	s_wait_alu 0xfffe
	s_and_b32 s9, s11, s9
	s_wait_alu 0xfffe
	s_xor_b32 s10, s9, -1
	s_wait_alu 0xfffe
	s_and_saveexec_b32 s11, s10
	s_wait_alu 0xfffe
	s_xor_b32 s10, exec_lo, s11
; %bb.75:                               ;   in Loop: Header=BB119_2 Depth=1
	ds_load_u8 v69, v67 offset:1
; %bb.76:                               ;   in Loop: Header=BB119_2 Depth=1
	s_wait_alu 0xfffe
	s_or_saveexec_b32 s10, s10
	v_mov_b32_e32 v70, v66
	s_wait_alu 0xfffe
	s_xor_b32 exec_lo, exec_lo, s10
	s_cbranch_execz .LBB119_78
; %bb.77:                               ;   in Loop: Header=BB119_2 Depth=1
	ds_load_u8 v70, v68 offset:1
	s_wait_dscnt 0x1
	v_mov_b32_e32 v69, v65
.LBB119_78:                             ;   in Loop: Header=BB119_2 Depth=1
	s_or_b32 exec_lo, exec_lo, s10
	v_add_nc_u32_e32 v71, 1, v67
	v_add_nc_u32_e32 v72, 1, v68
	s_wait_dscnt 0x0
	v_and_b32_e32 v73, 0xff, v69
	v_and_b32_e32 v74, 0xff, v70
	v_cndmask_b32_e64 v71, v71, v67, s9
	v_cndmask_b32_e64 v72, v68, v72, s9
	s_delay_alu instid0(VALU_DEP_3) | instskip(NEXT) | instid1(VALU_DEP_3)
	v_cmp_lt_u16_e64 s11, v74, v73
                                        ; implicit-def: $vgpr73
	v_cmp_ge_i32_e64 s10, v71, v21
	s_delay_alu instid0(VALU_DEP_3)
	v_cmp_lt_i32_e64 s12, v72, v22
	s_or_b32 s10, s10, s11
	s_wait_alu 0xfffe
	s_and_b32 s10, s12, s10
	s_wait_alu 0xfffe
	s_xor_b32 s11, s10, -1
	s_wait_alu 0xfffe
	s_and_saveexec_b32 s12, s11
	s_wait_alu 0xfffe
	s_xor_b32 s11, exec_lo, s12
; %bb.79:                               ;   in Loop: Header=BB119_2 Depth=1
	ds_load_u8 v73, v71 offset:1
; %bb.80:                               ;   in Loop: Header=BB119_2 Depth=1
	s_wait_alu 0xfffe
	s_or_saveexec_b32 s11, s11
	v_mov_b32_e32 v74, v70
	s_wait_alu 0xfffe
	s_xor_b32 exec_lo, exec_lo, s11
	s_cbranch_execz .LBB119_82
; %bb.81:                               ;   in Loop: Header=BB119_2 Depth=1
	ds_load_u8 v74, v72 offset:1
	s_wait_dscnt 0x1
	v_mov_b32_e32 v73, v69
.LBB119_82:                             ;   in Loop: Header=BB119_2 Depth=1
	s_or_b32 exec_lo, exec_lo, s11
	v_add_nc_u32_e32 v75, 1, v71
	v_add_nc_u32_e32 v76, 1, v72
	s_wait_dscnt 0x0
	v_and_b32_e32 v77, 0xff, v73
	v_and_b32_e32 v78, 0xff, v74
	v_cndmask_b32_e64 v75, v75, v71, s10
	v_cndmask_b32_e64 v76, v72, v76, s10
	s_delay_alu instid0(VALU_DEP_3) | instskip(NEXT) | instid1(VALU_DEP_3)
	v_cmp_lt_u16_e64 s12, v78, v77
                                        ; implicit-def: $vgpr77
	v_cmp_ge_i32_e64 s11, v75, v21
	s_delay_alu instid0(VALU_DEP_3)
	v_cmp_lt_i32_e64 s13, v76, v22
	s_or_b32 s11, s11, s12
	s_wait_alu 0xfffe
	s_and_b32 s11, s13, s11
	s_wait_alu 0xfffe
	s_xor_b32 s12, s11, -1
	s_wait_alu 0xfffe
	s_and_saveexec_b32 s13, s12
	s_wait_alu 0xfffe
	s_xor_b32 s12, exec_lo, s13
; %bb.83:                               ;   in Loop: Header=BB119_2 Depth=1
	ds_load_u8 v77, v75 offset:1
; %bb.84:                               ;   in Loop: Header=BB119_2 Depth=1
	s_wait_alu 0xfffe
	s_or_saveexec_b32 s12, s12
	v_mov_b32_e32 v78, v74
	s_wait_alu 0xfffe
	s_xor_b32 exec_lo, exec_lo, s12
	s_cbranch_execz .LBB119_86
; %bb.85:                               ;   in Loop: Header=BB119_2 Depth=1
	ds_load_u8 v78, v76 offset:1
	s_wait_dscnt 0x1
	v_mov_b32_e32 v77, v73
.LBB119_86:                             ;   in Loop: Header=BB119_2 Depth=1
	s_or_b32 exec_lo, exec_lo, s12
	v_add_nc_u32_e32 v79, 1, v75
	v_add_nc_u32_e32 v80, 1, v76
	s_wait_dscnt 0x0
	v_and_b32_e32 v81, 0xff, v77
	v_and_b32_e32 v82, 0xff, v78
	v_cndmask_b32_e64 v79, v79, v75, s11
	v_cndmask_b32_e64 v80, v76, v80, s11
	s_delay_alu instid0(VALU_DEP_3) | instskip(NEXT) | instid1(VALU_DEP_3)
	v_cmp_lt_u16_e64 s13, v82, v81
                                        ; implicit-def: $vgpr81
	v_cmp_ge_i32_e64 s12, v79, v21
	s_delay_alu instid0(VALU_DEP_3)
	v_cmp_lt_i32_e64 s14, v80, v22
	s_or_b32 s12, s12, s13
	s_wait_alu 0xfffe
	s_and_b32 s12, s14, s12
	s_wait_alu 0xfffe
	s_xor_b32 s13, s12, -1
	s_wait_alu 0xfffe
	s_and_saveexec_b32 s14, s13
	s_wait_alu 0xfffe
	s_xor_b32 s13, exec_lo, s14
; %bb.87:                               ;   in Loop: Header=BB119_2 Depth=1
	ds_load_u8 v81, v79 offset:1
; %bb.88:                               ;   in Loop: Header=BB119_2 Depth=1
	s_wait_alu 0xfffe
	s_or_saveexec_b32 s13, s13
	v_mov_b32_e32 v82, v78
	s_wait_alu 0xfffe
	s_xor_b32 exec_lo, exec_lo, s13
	s_cbranch_execz .LBB119_90
; %bb.89:                               ;   in Loop: Header=BB119_2 Depth=1
	ds_load_u8 v82, v80 offset:1
	s_wait_dscnt 0x1
	v_mov_b32_e32 v81, v77
.LBB119_90:                             ;   in Loop: Header=BB119_2 Depth=1
	s_or_b32 exec_lo, exec_lo, s13
	v_add_nc_u32_e32 v83, 1, v79
	v_add_nc_u32_e32 v84, 1, v80
	s_wait_dscnt 0x0
	v_and_b32_e32 v85, 0xff, v81
	v_and_b32_e32 v86, 0xff, v82
	v_cndmask_b32_e64 v83, v83, v79, s12
	v_cndmask_b32_e64 v84, v80, v84, s12
	s_delay_alu instid0(VALU_DEP_3) | instskip(NEXT) | instid1(VALU_DEP_3)
	v_cmp_lt_u16_e64 s14, v86, v85
                                        ; implicit-def: $vgpr86
	v_cmp_ge_i32_e64 s13, v83, v21
	s_delay_alu instid0(VALU_DEP_3)
	v_cmp_lt_i32_e64 s15, v84, v22
	s_or_b32 s13, s13, s14
	s_wait_alu 0xfffe
	s_and_b32 s13, s15, s13
	s_wait_alu 0xfffe
	s_xor_b32 s14, s13, -1
	s_wait_alu 0xfffe
	s_and_saveexec_b32 s15, s14
	s_wait_alu 0xfffe
	s_xor_b32 s14, exec_lo, s15
; %bb.91:                               ;   in Loop: Header=BB119_2 Depth=1
	ds_load_u8 v86, v83 offset:1
; %bb.92:                               ;   in Loop: Header=BB119_2 Depth=1
	s_wait_alu 0xfffe
	s_or_saveexec_b32 s14, s14
	v_mov_b32_e32 v88, v82
	s_wait_alu 0xfffe
	s_xor_b32 exec_lo, exec_lo, s14
	s_cbranch_execz .LBB119_94
; %bb.93:                               ;   in Loop: Header=BB119_2 Depth=1
	ds_load_u8 v88, v84 offset:1
	s_wait_dscnt 0x1
	v_mov_b32_e32 v86, v81
.LBB119_94:                             ;   in Loop: Header=BB119_2 Depth=1
	s_or_b32 exec_lo, exec_lo, s14
	v_add_nc_u32_e32 v85, 1, v83
	v_add_nc_u32_e32 v87, 1, v84
	s_wait_dscnt 0x0
	v_and_b32_e32 v91, 0xff, v86
	s_delay_alu instid0(VALU_DEP_3) | instskip(SKIP_2) | instid1(VALU_DEP_3)
	v_cndmask_b32_e64 v89, v85, v83, s13
	v_and_b32_e32 v85, 0xff, v88
	v_cndmask_b32_e64 v90, v84, v87, s13
	v_cmp_ge_i32_e64 s14, v89, v21
	s_delay_alu instid0(VALU_DEP_3) | instskip(NEXT) | instid1(VALU_DEP_3)
	v_cmp_lt_u16_e64 s15, v85, v91
	v_cmp_lt_i32_e64 s16, v90, v22
                                        ; implicit-def: $vgpr85
	s_or_b32 s14, s14, s15
	s_wait_alu 0xfffe
	s_and_b32 s14, s16, s14
	s_wait_alu 0xfffe
	s_xor_b32 s15, s14, -1
	s_wait_alu 0xfffe
	s_and_saveexec_b32 s16, s15
	s_wait_alu 0xfffe
	s_xor_b32 s15, exec_lo, s16
; %bb.95:                               ;   in Loop: Header=BB119_2 Depth=1
	ds_load_u8 v85, v89 offset:1
; %bb.96:                               ;   in Loop: Header=BB119_2 Depth=1
	s_wait_alu 0xfffe
	s_or_saveexec_b32 s15, s15
	v_mov_b32_e32 v87, v88
	s_wait_alu 0xfffe
	s_xor_b32 exec_lo, exec_lo, s15
	s_cbranch_execz .LBB119_98
; %bb.97:                               ;   in Loop: Header=BB119_2 Depth=1
	ds_load_u8 v87, v90 offset:1
	s_wait_dscnt 0x1
	v_mov_b32_e32 v85, v86
.LBB119_98:                             ;   in Loop: Header=BB119_2 Depth=1
	s_or_b32 exec_lo, exec_lo, s15
	v_add_nc_u32_e32 v92, 1, v89
	v_add_nc_u32_e32 v91, 1, v90
	v_cndmask_b32_e64 v86, v86, v88, s14
	v_cndmask_b32_e64 v88, v89, v90, s14
	;; [unrolled: 1-line block ×5, first 2 shown]
	s_wait_dscnt 0x0
	v_and_b32_e32 v75, 0xff, v85
	v_and_b32_e32 v76, 0xff, v87
	v_cndmask_b32_e64 v90, v90, v91, s14
	v_cndmask_b32_e64 v69, v69, v70, s10
	;; [unrolled: 1-line block ×3, first 2 shown]
	v_cmp_ge_i32_e64 s10, v89, v21
	v_cmp_lt_u16_e64 s11, v76, v75
	v_cndmask_b32_e64 v63, v63, v64, s8
	v_cndmask_b32_e64 v61, v61, v62, s8
	v_cmp_lt_i32_e64 s8, v90, v22
	v_perm_b32 v58, v58, v59, 0xc0c0004
	v_perm_b32 v57, v60, v57, 0xc0c0004
	;; [unrolled: 1-line block ×4, first 2 shown]
	v_cndmask_b32_e64 v65, v65, v66, s9
	v_cndmask_b32_e64 v66, v67, v68, s9
	s_or_b32 s9, s10, s11
	v_cndmask_b32_e64 v81, v81, v82, s13
	s_wait_alu 0xfffe
	s_and_b32 s8, s8, s9
	v_cndmask_b32_e64 v77, v77, v78, s12
	s_wait_alu 0xfffe
	v_cndmask_b32_e64 v4, v85, v87, s8
	v_lshl_or_b32 v2, v57, 16, v58
	v_lshl_or_b32 v1, v3, 16, v1
	s_wait_loadcnt 0x0
	s_barrier_signal -1
	s_barrier_wait -1
	global_inv scope:SCOPE_SE
	ds_store_b64 v5, v[1:2]
	v_lshlrev_b16 v1, 8, v65
	v_and_b32_e32 v2, 0xff, v63
	v_lshlrev_b16 v3, 8, v73
	v_and_b32_e32 v57, 0xff, v69
	;; [unrolled: 2-line block ×3, first 2 shown]
	v_and_b32_e32 v62, 0xff, v86
	v_lshlrev_b16 v4, 8, v4
	v_cndmask_b32_e64 v59, v89, v90, s8
	v_cndmask_b32_e64 v82, v83, v84, s13
	;; [unrolled: 1-line block ×3, first 2 shown]
	s_wait_loadcnt_dscnt 0x0
	s_barrier_signal -1
	s_barrier_wait -1
	global_inv scope:SCOPE_SE
	v_or_b32_e32 v63, v2, v1
	v_or_b32_e32 v64, v57, v3
	;; [unrolled: 1-line block ×4, first 2 shown]
	ds_load_u8 v1, v61
	ds_load_u8 v57, v59
	;; [unrolled: 1-line block ×8, first 2 shown]
	v_and_b32_e32 v61, 0xffff, v63
	v_lshlrev_b32_e32 v63, 16, v64
	v_and_b32_e32 v64, 0xffff, v65
	v_lshlrev_b32_e32 v62, 16, v62
	s_wait_loadcnt_dscnt 0x0
	s_barrier_signal -1
	v_or_b32_e32 v61, v61, v63
	s_barrier_wait -1
	v_or_b32_e32 v62, v64, v62
	global_inv scope:SCOPE_SE
	ds_store_b64 v5, v[61:62]
	v_mov_b32_e32 v62, v52
	s_wait_loadcnt_dscnt 0x0
	s_barrier_signal -1
	s_barrier_wait -1
	global_inv scope:SCOPE_SE
	s_and_saveexec_b32 s9, s3
	s_cbranch_execz .LBB119_102
; %bb.99:                               ;   in Loop: Header=BB119_2 Depth=1
	v_dual_mov_b32 v62, v52 :: v_dual_mov_b32 v61, v44
	s_mov_b32 s10, 0
.LBB119_100:                            ;   Parent Loop BB119_2 Depth=1
                                        ; =>  This Inner Loop Header: Depth=2
	s_delay_alu instid0(VALU_DEP_1) | instskip(NEXT) | instid1(VALU_DEP_1)
	v_sub_nc_u32_e32 v63, v61, v62
	v_lshrrev_b32_e32 v63, 1, v63
	s_delay_alu instid0(VALU_DEP_1) | instskip(NEXT) | instid1(VALU_DEP_1)
	v_add_nc_u32_e32 v63, v63, v62
	v_add_nc_u32_e32 v64, v9, v63
	v_xad_u32 v65, v63, -1, v36
	v_add_nc_u32_e32 v66, 1, v63
	ds_load_u8 v64, v64
	ds_load_u8 v65, v65
	s_wait_dscnt 0x0
	v_cmp_lt_u16_e64 s8, v65, v64
	s_wait_alu 0xf1ff
	s_delay_alu instid0(VALU_DEP_1) | instskip(SKIP_1) | instid1(VALU_DEP_1)
	v_cndmask_b32_e64 v61, v61, v63, s8
	v_cndmask_b32_e64 v62, v66, v62, s8
	v_cmp_ge_i32_e64 s8, v62, v61
	s_wait_alu 0xfffe
	s_or_b32 s10, s8, s10
	s_wait_alu 0xfffe
	s_and_not1_b32 exec_lo, exec_lo, s10
	s_cbranch_execnz .LBB119_100
; %bb.101:                              ;   in Loop: Header=BB119_2 Depth=1
	s_or_b32 exec_lo, exec_lo, s10
.LBB119_102:                            ;   in Loop: Header=BB119_2 Depth=1
	s_wait_alu 0xfffe
	s_or_b32 exec_lo, exec_lo, s9
	v_add_nc_u32_e32 v61, v62, v9
	v_sub_nc_u32_e32 v62, v36, v62
	ds_load_u8 v63, v61
	ds_load_u8 v64, v62
	v_cmp_le_i32_e64 s8, v23, v61
	v_cmp_gt_i32_e64 s10, v24, v62
	s_wait_dscnt 0x1
	v_and_b32_e32 v65, 0xff, v63
	s_wait_dscnt 0x0
	v_and_b32_e32 v66, 0xff, v64
	s_delay_alu instid0(VALU_DEP_1)
	v_cmp_lt_u16_e64 s9, v66, v65
                                        ; implicit-def: $vgpr65
	s_or_b32 s8, s8, s9
	s_wait_alu 0xfffe
	s_and_b32 s8, s10, s8
	s_wait_alu 0xfffe
	s_xor_b32 s9, s8, -1
	s_wait_alu 0xfffe
	s_and_saveexec_b32 s10, s9
	s_wait_alu 0xfffe
	s_xor_b32 s9, exec_lo, s10
; %bb.103:                              ;   in Loop: Header=BB119_2 Depth=1
	ds_load_u8 v65, v61 offset:1
; %bb.104:                              ;   in Loop: Header=BB119_2 Depth=1
	s_wait_alu 0xfffe
	s_or_saveexec_b32 s9, s9
	v_mov_b32_e32 v66, v64
	s_wait_alu 0xfffe
	s_xor_b32 exec_lo, exec_lo, s9
	s_cbranch_execz .LBB119_106
; %bb.105:                              ;   in Loop: Header=BB119_2 Depth=1
	ds_load_u8 v66, v62 offset:1
	s_wait_dscnt 0x1
	v_mov_b32_e32 v65, v63
.LBB119_106:                            ;   in Loop: Header=BB119_2 Depth=1
	s_or_b32 exec_lo, exec_lo, s9
	v_add_nc_u32_e32 v67, 1, v61
	v_add_nc_u32_e32 v68, 1, v62
	s_wait_dscnt 0x0
	v_and_b32_e32 v69, 0xff, v65
	v_and_b32_e32 v70, 0xff, v66
	v_cndmask_b32_e64 v67, v67, v61, s8
	v_cndmask_b32_e64 v68, v62, v68, s8
	s_delay_alu instid0(VALU_DEP_3) | instskip(NEXT) | instid1(VALU_DEP_3)
	v_cmp_lt_u16_e64 s10, v70, v69
                                        ; implicit-def: $vgpr69
	v_cmp_ge_i32_e64 s9, v67, v23
	s_delay_alu instid0(VALU_DEP_3)
	v_cmp_lt_i32_e64 s11, v68, v24
	s_or_b32 s9, s9, s10
	s_wait_alu 0xfffe
	s_and_b32 s9, s11, s9
	s_wait_alu 0xfffe
	s_xor_b32 s10, s9, -1
	s_wait_alu 0xfffe
	s_and_saveexec_b32 s11, s10
	s_wait_alu 0xfffe
	s_xor_b32 s10, exec_lo, s11
; %bb.107:                              ;   in Loop: Header=BB119_2 Depth=1
	ds_load_u8 v69, v67 offset:1
; %bb.108:                              ;   in Loop: Header=BB119_2 Depth=1
	s_wait_alu 0xfffe
	s_or_saveexec_b32 s10, s10
	v_mov_b32_e32 v70, v66
	s_wait_alu 0xfffe
	s_xor_b32 exec_lo, exec_lo, s10
	s_cbranch_execz .LBB119_110
; %bb.109:                              ;   in Loop: Header=BB119_2 Depth=1
	ds_load_u8 v70, v68 offset:1
	s_wait_dscnt 0x1
	v_mov_b32_e32 v69, v65
.LBB119_110:                            ;   in Loop: Header=BB119_2 Depth=1
	s_or_b32 exec_lo, exec_lo, s10
	v_add_nc_u32_e32 v71, 1, v67
	v_add_nc_u32_e32 v72, 1, v68
	s_wait_dscnt 0x0
	v_and_b32_e32 v73, 0xff, v69
	v_and_b32_e32 v74, 0xff, v70
	v_cndmask_b32_e64 v71, v71, v67, s9
	v_cndmask_b32_e64 v72, v68, v72, s9
	s_delay_alu instid0(VALU_DEP_3) | instskip(NEXT) | instid1(VALU_DEP_3)
	v_cmp_lt_u16_e64 s11, v74, v73
                                        ; implicit-def: $vgpr73
	v_cmp_ge_i32_e64 s10, v71, v23
	s_delay_alu instid0(VALU_DEP_3)
	v_cmp_lt_i32_e64 s12, v72, v24
	s_or_b32 s10, s10, s11
	s_wait_alu 0xfffe
	s_and_b32 s10, s12, s10
	s_wait_alu 0xfffe
	s_xor_b32 s11, s10, -1
	s_wait_alu 0xfffe
	s_and_saveexec_b32 s12, s11
	s_wait_alu 0xfffe
	s_xor_b32 s11, exec_lo, s12
; %bb.111:                              ;   in Loop: Header=BB119_2 Depth=1
	ds_load_u8 v73, v71 offset:1
; %bb.112:                              ;   in Loop: Header=BB119_2 Depth=1
	s_wait_alu 0xfffe
	s_or_saveexec_b32 s11, s11
	v_mov_b32_e32 v74, v70
	s_wait_alu 0xfffe
	s_xor_b32 exec_lo, exec_lo, s11
	s_cbranch_execz .LBB119_114
; %bb.113:                              ;   in Loop: Header=BB119_2 Depth=1
	ds_load_u8 v74, v72 offset:1
	s_wait_dscnt 0x1
	v_mov_b32_e32 v73, v69
.LBB119_114:                            ;   in Loop: Header=BB119_2 Depth=1
	s_or_b32 exec_lo, exec_lo, s11
	v_add_nc_u32_e32 v75, 1, v71
	v_add_nc_u32_e32 v76, 1, v72
	s_wait_dscnt 0x0
	v_and_b32_e32 v77, 0xff, v73
	v_and_b32_e32 v78, 0xff, v74
	v_cndmask_b32_e64 v75, v75, v71, s10
	v_cndmask_b32_e64 v76, v72, v76, s10
	s_delay_alu instid0(VALU_DEP_3) | instskip(NEXT) | instid1(VALU_DEP_3)
	v_cmp_lt_u16_e64 s12, v78, v77
                                        ; implicit-def: $vgpr77
	v_cmp_ge_i32_e64 s11, v75, v23
	s_delay_alu instid0(VALU_DEP_3)
	v_cmp_lt_i32_e64 s13, v76, v24
	s_or_b32 s11, s11, s12
	s_wait_alu 0xfffe
	s_and_b32 s11, s13, s11
	s_wait_alu 0xfffe
	s_xor_b32 s12, s11, -1
	s_wait_alu 0xfffe
	s_and_saveexec_b32 s13, s12
	s_wait_alu 0xfffe
	s_xor_b32 s12, exec_lo, s13
; %bb.115:                              ;   in Loop: Header=BB119_2 Depth=1
	ds_load_u8 v77, v75 offset:1
; %bb.116:                              ;   in Loop: Header=BB119_2 Depth=1
	s_wait_alu 0xfffe
	s_or_saveexec_b32 s12, s12
	v_mov_b32_e32 v78, v74
	s_wait_alu 0xfffe
	s_xor_b32 exec_lo, exec_lo, s12
	s_cbranch_execz .LBB119_118
; %bb.117:                              ;   in Loop: Header=BB119_2 Depth=1
	ds_load_u8 v78, v76 offset:1
	s_wait_dscnt 0x1
	v_mov_b32_e32 v77, v73
.LBB119_118:                            ;   in Loop: Header=BB119_2 Depth=1
	s_or_b32 exec_lo, exec_lo, s12
	v_add_nc_u32_e32 v79, 1, v75
	v_add_nc_u32_e32 v80, 1, v76
	s_wait_dscnt 0x0
	v_and_b32_e32 v81, 0xff, v77
	v_and_b32_e32 v82, 0xff, v78
	v_cndmask_b32_e64 v79, v79, v75, s11
	v_cndmask_b32_e64 v80, v76, v80, s11
	s_delay_alu instid0(VALU_DEP_3) | instskip(NEXT) | instid1(VALU_DEP_3)
	v_cmp_lt_u16_e64 s13, v82, v81
                                        ; implicit-def: $vgpr81
	v_cmp_ge_i32_e64 s12, v79, v23
	s_delay_alu instid0(VALU_DEP_3)
	v_cmp_lt_i32_e64 s14, v80, v24
	s_or_b32 s12, s12, s13
	s_wait_alu 0xfffe
	s_and_b32 s12, s14, s12
	s_wait_alu 0xfffe
	s_xor_b32 s13, s12, -1
	s_wait_alu 0xfffe
	s_and_saveexec_b32 s14, s13
	s_wait_alu 0xfffe
	s_xor_b32 s13, exec_lo, s14
; %bb.119:                              ;   in Loop: Header=BB119_2 Depth=1
	ds_load_u8 v81, v79 offset:1
; %bb.120:                              ;   in Loop: Header=BB119_2 Depth=1
	s_wait_alu 0xfffe
	s_or_saveexec_b32 s13, s13
	v_mov_b32_e32 v82, v78
	s_wait_alu 0xfffe
	s_xor_b32 exec_lo, exec_lo, s13
	s_cbranch_execz .LBB119_122
; %bb.121:                              ;   in Loop: Header=BB119_2 Depth=1
	ds_load_u8 v82, v80 offset:1
	s_wait_dscnt 0x1
	v_mov_b32_e32 v81, v77
.LBB119_122:                            ;   in Loop: Header=BB119_2 Depth=1
	s_or_b32 exec_lo, exec_lo, s13
	v_add_nc_u32_e32 v83, 1, v79
	v_add_nc_u32_e32 v84, 1, v80
	s_wait_dscnt 0x0
	v_and_b32_e32 v85, 0xff, v81
	v_and_b32_e32 v86, 0xff, v82
	v_cndmask_b32_e64 v83, v83, v79, s12
	v_cndmask_b32_e64 v84, v80, v84, s12
	s_delay_alu instid0(VALU_DEP_3) | instskip(NEXT) | instid1(VALU_DEP_3)
	v_cmp_lt_u16_e64 s14, v86, v85
                                        ; implicit-def: $vgpr86
	v_cmp_ge_i32_e64 s13, v83, v23
	s_delay_alu instid0(VALU_DEP_3)
	v_cmp_lt_i32_e64 s15, v84, v24
	s_or_b32 s13, s13, s14
	s_wait_alu 0xfffe
	s_and_b32 s13, s15, s13
	s_wait_alu 0xfffe
	s_xor_b32 s14, s13, -1
	s_wait_alu 0xfffe
	s_and_saveexec_b32 s15, s14
	s_wait_alu 0xfffe
	s_xor_b32 s14, exec_lo, s15
; %bb.123:                              ;   in Loop: Header=BB119_2 Depth=1
	ds_load_u8 v86, v83 offset:1
; %bb.124:                              ;   in Loop: Header=BB119_2 Depth=1
	s_wait_alu 0xfffe
	s_or_saveexec_b32 s14, s14
	v_mov_b32_e32 v88, v82
	s_wait_alu 0xfffe
	s_xor_b32 exec_lo, exec_lo, s14
	s_cbranch_execz .LBB119_126
; %bb.125:                              ;   in Loop: Header=BB119_2 Depth=1
	ds_load_u8 v88, v84 offset:1
	s_wait_dscnt 0x1
	v_mov_b32_e32 v86, v81
.LBB119_126:                            ;   in Loop: Header=BB119_2 Depth=1
	s_or_b32 exec_lo, exec_lo, s14
	v_add_nc_u32_e32 v85, 1, v83
	v_add_nc_u32_e32 v87, 1, v84
	s_wait_dscnt 0x0
	v_and_b32_e32 v91, 0xff, v86
	s_delay_alu instid0(VALU_DEP_3) | instskip(SKIP_2) | instid1(VALU_DEP_3)
	v_cndmask_b32_e64 v89, v85, v83, s13
	v_and_b32_e32 v85, 0xff, v88
	v_cndmask_b32_e64 v90, v84, v87, s13
	v_cmp_ge_i32_e64 s14, v89, v23
	s_delay_alu instid0(VALU_DEP_3) | instskip(NEXT) | instid1(VALU_DEP_3)
	v_cmp_lt_u16_e64 s15, v85, v91
	v_cmp_lt_i32_e64 s16, v90, v24
                                        ; implicit-def: $vgpr85
	s_or_b32 s14, s14, s15
	s_wait_alu 0xfffe
	s_and_b32 s14, s16, s14
	s_wait_alu 0xfffe
	s_xor_b32 s15, s14, -1
	s_wait_alu 0xfffe
	s_and_saveexec_b32 s16, s15
	s_wait_alu 0xfffe
	s_xor_b32 s15, exec_lo, s16
; %bb.127:                              ;   in Loop: Header=BB119_2 Depth=1
	ds_load_u8 v85, v89 offset:1
; %bb.128:                              ;   in Loop: Header=BB119_2 Depth=1
	s_wait_alu 0xfffe
	s_or_saveexec_b32 s15, s15
	v_mov_b32_e32 v87, v88
	s_wait_alu 0xfffe
	s_xor_b32 exec_lo, exec_lo, s15
	s_cbranch_execz .LBB119_130
; %bb.129:                              ;   in Loop: Header=BB119_2 Depth=1
	ds_load_u8 v87, v90 offset:1
	s_wait_dscnt 0x1
	v_mov_b32_e32 v85, v86
.LBB119_130:                            ;   in Loop: Header=BB119_2 Depth=1
	s_or_b32 exec_lo, exec_lo, s15
	v_add_nc_u32_e32 v92, 1, v89
	v_add_nc_u32_e32 v91, 1, v90
	v_cndmask_b32_e64 v86, v86, v88, s14
	v_cndmask_b32_e64 v88, v89, v90, s14
	;; [unrolled: 1-line block ×5, first 2 shown]
	s_wait_dscnt 0x0
	v_and_b32_e32 v75, 0xff, v85
	v_and_b32_e32 v76, 0xff, v87
	v_cndmask_b32_e64 v90, v90, v91, s14
	v_cndmask_b32_e64 v69, v69, v70, s10
	;; [unrolled: 1-line block ×3, first 2 shown]
	v_cmp_ge_i32_e64 s10, v89, v23
	v_cmp_lt_u16_e64 s11, v76, v75
	v_cndmask_b32_e64 v63, v63, v64, s8
	v_cndmask_b32_e64 v61, v61, v62, s8
	v_cmp_lt_i32_e64 s8, v90, v24
	v_perm_b32 v58, v58, v59, 0xc0c0004
	v_perm_b32 v57, v60, v57, 0xc0c0004
	;; [unrolled: 1-line block ×4, first 2 shown]
	v_cndmask_b32_e64 v65, v65, v66, s9
	v_cndmask_b32_e64 v66, v67, v68, s9
	s_or_b32 s9, s10, s11
	v_cndmask_b32_e64 v81, v81, v82, s13
	s_wait_alu 0xfffe
	s_and_b32 s8, s8, s9
	v_cndmask_b32_e64 v77, v77, v78, s12
	s_wait_alu 0xfffe
	v_cndmask_b32_e64 v4, v85, v87, s8
	v_lshl_or_b32 v2, v57, 16, v58
	v_lshl_or_b32 v1, v3, 16, v1
	s_wait_loadcnt 0x0
	s_barrier_signal -1
	s_barrier_wait -1
	global_inv scope:SCOPE_SE
	ds_store_b64 v5, v[1:2]
	v_lshlrev_b16 v1, 8, v65
	v_and_b32_e32 v2, 0xff, v63
	v_lshlrev_b16 v3, 8, v73
	v_and_b32_e32 v57, 0xff, v69
	;; [unrolled: 2-line block ×3, first 2 shown]
	v_and_b32_e32 v62, 0xff, v86
	v_lshlrev_b16 v4, 8, v4
	v_cndmask_b32_e64 v59, v89, v90, s8
	v_cndmask_b32_e64 v82, v83, v84, s13
	;; [unrolled: 1-line block ×3, first 2 shown]
	s_wait_loadcnt_dscnt 0x0
	s_barrier_signal -1
	s_barrier_wait -1
	global_inv scope:SCOPE_SE
	v_or_b32_e32 v63, v2, v1
	v_or_b32_e32 v64, v57, v3
	;; [unrolled: 1-line block ×4, first 2 shown]
	ds_load_u8 v1, v61
	ds_load_u8 v57, v59
	;; [unrolled: 1-line block ×8, first 2 shown]
	v_and_b32_e32 v61, 0xffff, v63
	v_lshlrev_b32_e32 v63, 16, v64
	v_and_b32_e32 v64, 0xffff, v65
	v_lshlrev_b32_e32 v62, 16, v62
	s_wait_loadcnt_dscnt 0x0
	s_barrier_signal -1
	v_or_b32_e32 v61, v61, v63
	s_barrier_wait -1
	v_or_b32_e32 v62, v64, v62
	global_inv scope:SCOPE_SE
	ds_store_b64 v5, v[61:62]
	v_mov_b32_e32 v62, v53
	s_wait_loadcnt_dscnt 0x0
	s_barrier_signal -1
	s_barrier_wait -1
	global_inv scope:SCOPE_SE
	s_and_saveexec_b32 s9, s4
	s_cbranch_execz .LBB119_134
; %bb.131:                              ;   in Loop: Header=BB119_2 Depth=1
	v_dual_mov_b32 v62, v53 :: v_dual_mov_b32 v61, v45
	s_mov_b32 s10, 0
.LBB119_132:                            ;   Parent Loop BB119_2 Depth=1
                                        ; =>  This Inner Loop Header: Depth=2
	s_delay_alu instid0(VALU_DEP_1) | instskip(NEXT) | instid1(VALU_DEP_1)
	v_sub_nc_u32_e32 v63, v61, v62
	v_lshrrev_b32_e32 v63, 1, v63
	s_delay_alu instid0(VALU_DEP_1) | instskip(NEXT) | instid1(VALU_DEP_1)
	v_add_nc_u32_e32 v63, v63, v62
	v_add_nc_u32_e32 v64, v10, v63
	v_xad_u32 v65, v63, -1, v37
	v_add_nc_u32_e32 v66, 1, v63
	ds_load_u8 v64, v64
	ds_load_u8 v65, v65
	s_wait_dscnt 0x0
	v_cmp_lt_u16_e64 s8, v65, v64
	s_wait_alu 0xf1ff
	s_delay_alu instid0(VALU_DEP_1) | instskip(SKIP_1) | instid1(VALU_DEP_1)
	v_cndmask_b32_e64 v61, v61, v63, s8
	v_cndmask_b32_e64 v62, v66, v62, s8
	v_cmp_ge_i32_e64 s8, v62, v61
	s_wait_alu 0xfffe
	s_or_b32 s10, s8, s10
	s_wait_alu 0xfffe
	s_and_not1_b32 exec_lo, exec_lo, s10
	s_cbranch_execnz .LBB119_132
; %bb.133:                              ;   in Loop: Header=BB119_2 Depth=1
	s_or_b32 exec_lo, exec_lo, s10
.LBB119_134:                            ;   in Loop: Header=BB119_2 Depth=1
	s_wait_alu 0xfffe
	s_or_b32 exec_lo, exec_lo, s9
	v_add_nc_u32_e32 v61, v62, v10
	v_sub_nc_u32_e32 v62, v37, v62
	ds_load_u8 v63, v61
	ds_load_u8 v64, v62
	v_cmp_le_i32_e64 s8, v25, v61
	v_cmp_gt_i32_e64 s10, v26, v62
	s_wait_dscnt 0x1
	v_and_b32_e32 v65, 0xff, v63
	s_wait_dscnt 0x0
	v_and_b32_e32 v66, 0xff, v64
	s_delay_alu instid0(VALU_DEP_1)
	v_cmp_lt_u16_e64 s9, v66, v65
                                        ; implicit-def: $vgpr65
	s_or_b32 s8, s8, s9
	s_wait_alu 0xfffe
	s_and_b32 s8, s10, s8
	s_wait_alu 0xfffe
	s_xor_b32 s9, s8, -1
	s_wait_alu 0xfffe
	s_and_saveexec_b32 s10, s9
	s_wait_alu 0xfffe
	s_xor_b32 s9, exec_lo, s10
; %bb.135:                              ;   in Loop: Header=BB119_2 Depth=1
	ds_load_u8 v65, v61 offset:1
; %bb.136:                              ;   in Loop: Header=BB119_2 Depth=1
	s_wait_alu 0xfffe
	s_or_saveexec_b32 s9, s9
	v_mov_b32_e32 v66, v64
	s_wait_alu 0xfffe
	s_xor_b32 exec_lo, exec_lo, s9
	s_cbranch_execz .LBB119_138
; %bb.137:                              ;   in Loop: Header=BB119_2 Depth=1
	ds_load_u8 v66, v62 offset:1
	s_wait_dscnt 0x1
	v_mov_b32_e32 v65, v63
.LBB119_138:                            ;   in Loop: Header=BB119_2 Depth=1
	s_or_b32 exec_lo, exec_lo, s9
	v_add_nc_u32_e32 v67, 1, v61
	v_add_nc_u32_e32 v68, 1, v62
	s_wait_dscnt 0x0
	v_and_b32_e32 v69, 0xff, v65
	v_and_b32_e32 v70, 0xff, v66
	v_cndmask_b32_e64 v67, v67, v61, s8
	v_cndmask_b32_e64 v68, v62, v68, s8
	s_delay_alu instid0(VALU_DEP_3) | instskip(NEXT) | instid1(VALU_DEP_3)
	v_cmp_lt_u16_e64 s10, v70, v69
                                        ; implicit-def: $vgpr69
	v_cmp_ge_i32_e64 s9, v67, v25
	s_delay_alu instid0(VALU_DEP_3)
	v_cmp_lt_i32_e64 s11, v68, v26
	s_or_b32 s9, s9, s10
	s_wait_alu 0xfffe
	s_and_b32 s9, s11, s9
	s_wait_alu 0xfffe
	s_xor_b32 s10, s9, -1
	s_wait_alu 0xfffe
	s_and_saveexec_b32 s11, s10
	s_wait_alu 0xfffe
	s_xor_b32 s10, exec_lo, s11
; %bb.139:                              ;   in Loop: Header=BB119_2 Depth=1
	ds_load_u8 v69, v67 offset:1
; %bb.140:                              ;   in Loop: Header=BB119_2 Depth=1
	s_wait_alu 0xfffe
	s_or_saveexec_b32 s10, s10
	v_mov_b32_e32 v70, v66
	s_wait_alu 0xfffe
	s_xor_b32 exec_lo, exec_lo, s10
	s_cbranch_execz .LBB119_142
; %bb.141:                              ;   in Loop: Header=BB119_2 Depth=1
	ds_load_u8 v70, v68 offset:1
	s_wait_dscnt 0x1
	v_mov_b32_e32 v69, v65
.LBB119_142:                            ;   in Loop: Header=BB119_2 Depth=1
	s_or_b32 exec_lo, exec_lo, s10
	v_add_nc_u32_e32 v71, 1, v67
	v_add_nc_u32_e32 v72, 1, v68
	s_wait_dscnt 0x0
	v_and_b32_e32 v73, 0xff, v69
	v_and_b32_e32 v74, 0xff, v70
	v_cndmask_b32_e64 v71, v71, v67, s9
	v_cndmask_b32_e64 v72, v68, v72, s9
	s_delay_alu instid0(VALU_DEP_3) | instskip(NEXT) | instid1(VALU_DEP_3)
	v_cmp_lt_u16_e64 s11, v74, v73
                                        ; implicit-def: $vgpr73
	v_cmp_ge_i32_e64 s10, v71, v25
	s_delay_alu instid0(VALU_DEP_3)
	v_cmp_lt_i32_e64 s12, v72, v26
	s_or_b32 s10, s10, s11
	s_wait_alu 0xfffe
	s_and_b32 s10, s12, s10
	s_wait_alu 0xfffe
	s_xor_b32 s11, s10, -1
	s_wait_alu 0xfffe
	s_and_saveexec_b32 s12, s11
	s_wait_alu 0xfffe
	s_xor_b32 s11, exec_lo, s12
; %bb.143:                              ;   in Loop: Header=BB119_2 Depth=1
	ds_load_u8 v73, v71 offset:1
; %bb.144:                              ;   in Loop: Header=BB119_2 Depth=1
	s_wait_alu 0xfffe
	s_or_saveexec_b32 s11, s11
	v_mov_b32_e32 v74, v70
	s_wait_alu 0xfffe
	s_xor_b32 exec_lo, exec_lo, s11
	s_cbranch_execz .LBB119_146
; %bb.145:                              ;   in Loop: Header=BB119_2 Depth=1
	ds_load_u8 v74, v72 offset:1
	s_wait_dscnt 0x1
	v_mov_b32_e32 v73, v69
.LBB119_146:                            ;   in Loop: Header=BB119_2 Depth=1
	s_or_b32 exec_lo, exec_lo, s11
	v_add_nc_u32_e32 v75, 1, v71
	v_add_nc_u32_e32 v76, 1, v72
	s_wait_dscnt 0x0
	v_and_b32_e32 v77, 0xff, v73
	v_and_b32_e32 v78, 0xff, v74
	v_cndmask_b32_e64 v75, v75, v71, s10
	v_cndmask_b32_e64 v76, v72, v76, s10
	s_delay_alu instid0(VALU_DEP_3) | instskip(NEXT) | instid1(VALU_DEP_3)
	v_cmp_lt_u16_e64 s12, v78, v77
                                        ; implicit-def: $vgpr77
	v_cmp_ge_i32_e64 s11, v75, v25
	s_delay_alu instid0(VALU_DEP_3)
	v_cmp_lt_i32_e64 s13, v76, v26
	s_or_b32 s11, s11, s12
	s_wait_alu 0xfffe
	s_and_b32 s11, s13, s11
	s_wait_alu 0xfffe
	s_xor_b32 s12, s11, -1
	s_wait_alu 0xfffe
	s_and_saveexec_b32 s13, s12
	s_wait_alu 0xfffe
	s_xor_b32 s12, exec_lo, s13
; %bb.147:                              ;   in Loop: Header=BB119_2 Depth=1
	ds_load_u8 v77, v75 offset:1
; %bb.148:                              ;   in Loop: Header=BB119_2 Depth=1
	s_wait_alu 0xfffe
	s_or_saveexec_b32 s12, s12
	v_mov_b32_e32 v78, v74
	s_wait_alu 0xfffe
	s_xor_b32 exec_lo, exec_lo, s12
	s_cbranch_execz .LBB119_150
; %bb.149:                              ;   in Loop: Header=BB119_2 Depth=1
	ds_load_u8 v78, v76 offset:1
	s_wait_dscnt 0x1
	v_mov_b32_e32 v77, v73
.LBB119_150:                            ;   in Loop: Header=BB119_2 Depth=1
	s_or_b32 exec_lo, exec_lo, s12
	v_add_nc_u32_e32 v79, 1, v75
	v_add_nc_u32_e32 v80, 1, v76
	s_wait_dscnt 0x0
	v_and_b32_e32 v81, 0xff, v77
	v_and_b32_e32 v82, 0xff, v78
	v_cndmask_b32_e64 v79, v79, v75, s11
	v_cndmask_b32_e64 v80, v76, v80, s11
	s_delay_alu instid0(VALU_DEP_3) | instskip(NEXT) | instid1(VALU_DEP_3)
	v_cmp_lt_u16_e64 s13, v82, v81
                                        ; implicit-def: $vgpr81
	v_cmp_ge_i32_e64 s12, v79, v25
	s_delay_alu instid0(VALU_DEP_3)
	v_cmp_lt_i32_e64 s14, v80, v26
	s_or_b32 s12, s12, s13
	s_wait_alu 0xfffe
	s_and_b32 s12, s14, s12
	s_wait_alu 0xfffe
	s_xor_b32 s13, s12, -1
	s_wait_alu 0xfffe
	s_and_saveexec_b32 s14, s13
	s_wait_alu 0xfffe
	s_xor_b32 s13, exec_lo, s14
; %bb.151:                              ;   in Loop: Header=BB119_2 Depth=1
	ds_load_u8 v81, v79 offset:1
; %bb.152:                              ;   in Loop: Header=BB119_2 Depth=1
	s_wait_alu 0xfffe
	s_or_saveexec_b32 s13, s13
	v_mov_b32_e32 v82, v78
	s_wait_alu 0xfffe
	s_xor_b32 exec_lo, exec_lo, s13
	s_cbranch_execz .LBB119_154
; %bb.153:                              ;   in Loop: Header=BB119_2 Depth=1
	ds_load_u8 v82, v80 offset:1
	s_wait_dscnt 0x1
	v_mov_b32_e32 v81, v77
.LBB119_154:                            ;   in Loop: Header=BB119_2 Depth=1
	s_or_b32 exec_lo, exec_lo, s13
	v_add_nc_u32_e32 v83, 1, v79
	v_add_nc_u32_e32 v84, 1, v80
	s_wait_dscnt 0x0
	v_and_b32_e32 v85, 0xff, v81
	v_and_b32_e32 v86, 0xff, v82
	v_cndmask_b32_e64 v83, v83, v79, s12
	v_cndmask_b32_e64 v84, v80, v84, s12
	s_delay_alu instid0(VALU_DEP_3) | instskip(NEXT) | instid1(VALU_DEP_3)
	v_cmp_lt_u16_e64 s14, v86, v85
                                        ; implicit-def: $vgpr86
	v_cmp_ge_i32_e64 s13, v83, v25
	s_delay_alu instid0(VALU_DEP_3)
	v_cmp_lt_i32_e64 s15, v84, v26
	s_or_b32 s13, s13, s14
	s_wait_alu 0xfffe
	s_and_b32 s13, s15, s13
	s_wait_alu 0xfffe
	s_xor_b32 s14, s13, -1
	s_wait_alu 0xfffe
	s_and_saveexec_b32 s15, s14
	s_wait_alu 0xfffe
	s_xor_b32 s14, exec_lo, s15
; %bb.155:                              ;   in Loop: Header=BB119_2 Depth=1
	ds_load_u8 v86, v83 offset:1
; %bb.156:                              ;   in Loop: Header=BB119_2 Depth=1
	s_wait_alu 0xfffe
	s_or_saveexec_b32 s14, s14
	v_mov_b32_e32 v88, v82
	s_wait_alu 0xfffe
	s_xor_b32 exec_lo, exec_lo, s14
	s_cbranch_execz .LBB119_158
; %bb.157:                              ;   in Loop: Header=BB119_2 Depth=1
	ds_load_u8 v88, v84 offset:1
	s_wait_dscnt 0x1
	v_mov_b32_e32 v86, v81
.LBB119_158:                            ;   in Loop: Header=BB119_2 Depth=1
	s_or_b32 exec_lo, exec_lo, s14
	v_add_nc_u32_e32 v85, 1, v83
	v_add_nc_u32_e32 v87, 1, v84
	s_wait_dscnt 0x0
	v_and_b32_e32 v91, 0xff, v86
	s_delay_alu instid0(VALU_DEP_3) | instskip(SKIP_2) | instid1(VALU_DEP_3)
	v_cndmask_b32_e64 v89, v85, v83, s13
	v_and_b32_e32 v85, 0xff, v88
	v_cndmask_b32_e64 v90, v84, v87, s13
	v_cmp_ge_i32_e64 s14, v89, v25
	s_delay_alu instid0(VALU_DEP_3) | instskip(NEXT) | instid1(VALU_DEP_3)
	v_cmp_lt_u16_e64 s15, v85, v91
	v_cmp_lt_i32_e64 s16, v90, v26
                                        ; implicit-def: $vgpr85
	s_or_b32 s14, s14, s15
	s_wait_alu 0xfffe
	s_and_b32 s14, s16, s14
	s_wait_alu 0xfffe
	s_xor_b32 s15, s14, -1
	s_wait_alu 0xfffe
	s_and_saveexec_b32 s16, s15
	s_wait_alu 0xfffe
	s_xor_b32 s15, exec_lo, s16
; %bb.159:                              ;   in Loop: Header=BB119_2 Depth=1
	ds_load_u8 v85, v89 offset:1
; %bb.160:                              ;   in Loop: Header=BB119_2 Depth=1
	s_wait_alu 0xfffe
	s_or_saveexec_b32 s15, s15
	v_mov_b32_e32 v87, v88
	s_wait_alu 0xfffe
	s_xor_b32 exec_lo, exec_lo, s15
	s_cbranch_execz .LBB119_162
; %bb.161:                              ;   in Loop: Header=BB119_2 Depth=1
	ds_load_u8 v87, v90 offset:1
	s_wait_dscnt 0x1
	v_mov_b32_e32 v85, v86
.LBB119_162:                            ;   in Loop: Header=BB119_2 Depth=1
	s_or_b32 exec_lo, exec_lo, s15
	v_add_nc_u32_e32 v92, 1, v89
	v_add_nc_u32_e32 v91, 1, v90
	v_cndmask_b32_e64 v86, v86, v88, s14
	v_cndmask_b32_e64 v88, v89, v90, s14
	;; [unrolled: 1-line block ×5, first 2 shown]
	s_wait_dscnt 0x0
	v_and_b32_e32 v75, 0xff, v85
	v_and_b32_e32 v76, 0xff, v87
	v_cndmask_b32_e64 v90, v90, v91, s14
	v_cndmask_b32_e64 v69, v69, v70, s10
	;; [unrolled: 1-line block ×3, first 2 shown]
	v_cmp_ge_i32_e64 s10, v89, v25
	v_cmp_lt_u16_e64 s11, v76, v75
	v_cndmask_b32_e64 v63, v63, v64, s8
	v_cndmask_b32_e64 v61, v61, v62, s8
	v_cmp_lt_i32_e64 s8, v90, v26
	v_perm_b32 v58, v58, v59, 0xc0c0004
	v_perm_b32 v57, v60, v57, 0xc0c0004
	;; [unrolled: 1-line block ×4, first 2 shown]
	v_cndmask_b32_e64 v65, v65, v66, s9
	v_cndmask_b32_e64 v66, v67, v68, s9
	s_or_b32 s9, s10, s11
	v_cndmask_b32_e64 v81, v81, v82, s13
	s_wait_alu 0xfffe
	s_and_b32 s8, s8, s9
	v_cndmask_b32_e64 v77, v77, v78, s12
	s_wait_alu 0xfffe
	v_cndmask_b32_e64 v4, v85, v87, s8
	v_lshl_or_b32 v2, v57, 16, v58
	v_lshl_or_b32 v1, v3, 16, v1
	s_wait_loadcnt 0x0
	s_barrier_signal -1
	s_barrier_wait -1
	global_inv scope:SCOPE_SE
	ds_store_b64 v5, v[1:2]
	v_lshlrev_b16 v1, 8, v65
	v_and_b32_e32 v2, 0xff, v63
	v_lshlrev_b16 v3, 8, v73
	v_and_b32_e32 v57, 0xff, v69
	;; [unrolled: 2-line block ×3, first 2 shown]
	v_and_b32_e32 v62, 0xff, v86
	v_lshlrev_b16 v4, 8, v4
	v_cndmask_b32_e64 v59, v89, v90, s8
	v_cndmask_b32_e64 v82, v83, v84, s13
	;; [unrolled: 1-line block ×3, first 2 shown]
	s_wait_loadcnt_dscnt 0x0
	s_barrier_signal -1
	s_barrier_wait -1
	global_inv scope:SCOPE_SE
	v_or_b32_e32 v63, v2, v1
	v_or_b32_e32 v64, v57, v3
	;; [unrolled: 1-line block ×4, first 2 shown]
	ds_load_u8 v1, v61
	ds_load_u8 v57, v59
	;; [unrolled: 1-line block ×8, first 2 shown]
	v_and_b32_e32 v61, 0xffff, v63
	v_lshlrev_b32_e32 v63, 16, v64
	v_and_b32_e32 v64, 0xffff, v65
	v_lshlrev_b32_e32 v62, 16, v62
	s_wait_loadcnt_dscnt 0x0
	s_barrier_signal -1
	v_or_b32_e32 v61, v61, v63
	s_barrier_wait -1
	v_or_b32_e32 v62, v64, v62
	global_inv scope:SCOPE_SE
	ds_store_b64 v5, v[61:62]
	v_mov_b32_e32 v62, v54
	s_wait_loadcnt_dscnt 0x0
	s_barrier_signal -1
	s_barrier_wait -1
	global_inv scope:SCOPE_SE
	s_and_saveexec_b32 s9, s5
	s_cbranch_execz .LBB119_166
; %bb.163:                              ;   in Loop: Header=BB119_2 Depth=1
	v_dual_mov_b32 v62, v54 :: v_dual_mov_b32 v61, v46
	s_mov_b32 s10, 0
.LBB119_164:                            ;   Parent Loop BB119_2 Depth=1
                                        ; =>  This Inner Loop Header: Depth=2
	s_delay_alu instid0(VALU_DEP_1) | instskip(NEXT) | instid1(VALU_DEP_1)
	v_sub_nc_u32_e32 v63, v61, v62
	v_lshrrev_b32_e32 v63, 1, v63
	s_delay_alu instid0(VALU_DEP_1) | instskip(NEXT) | instid1(VALU_DEP_1)
	v_add_nc_u32_e32 v63, v63, v62
	v_add_nc_u32_e32 v64, v11, v63
	v_xad_u32 v65, v63, -1, v38
	v_add_nc_u32_e32 v66, 1, v63
	ds_load_u8 v64, v64
	ds_load_u8 v65, v65
	s_wait_dscnt 0x0
	v_cmp_lt_u16_e64 s8, v65, v64
	s_wait_alu 0xf1ff
	s_delay_alu instid0(VALU_DEP_1) | instskip(SKIP_1) | instid1(VALU_DEP_1)
	v_cndmask_b32_e64 v61, v61, v63, s8
	v_cndmask_b32_e64 v62, v66, v62, s8
	v_cmp_ge_i32_e64 s8, v62, v61
	s_wait_alu 0xfffe
	s_or_b32 s10, s8, s10
	s_wait_alu 0xfffe
	s_and_not1_b32 exec_lo, exec_lo, s10
	s_cbranch_execnz .LBB119_164
; %bb.165:                              ;   in Loop: Header=BB119_2 Depth=1
	s_or_b32 exec_lo, exec_lo, s10
.LBB119_166:                            ;   in Loop: Header=BB119_2 Depth=1
	s_wait_alu 0xfffe
	s_or_b32 exec_lo, exec_lo, s9
	v_add_nc_u32_e32 v61, v62, v11
	v_sub_nc_u32_e32 v62, v38, v62
	ds_load_u8 v63, v61
	ds_load_u8 v64, v62
	v_cmp_le_i32_e64 s8, v27, v61
	v_cmp_gt_i32_e64 s10, v28, v62
	s_wait_dscnt 0x1
	v_and_b32_e32 v65, 0xff, v63
	s_wait_dscnt 0x0
	v_and_b32_e32 v66, 0xff, v64
	s_delay_alu instid0(VALU_DEP_1)
	v_cmp_lt_u16_e64 s9, v66, v65
                                        ; implicit-def: $vgpr65
	s_or_b32 s8, s8, s9
	s_wait_alu 0xfffe
	s_and_b32 s8, s10, s8
	s_wait_alu 0xfffe
	s_xor_b32 s9, s8, -1
	s_wait_alu 0xfffe
	s_and_saveexec_b32 s10, s9
	s_wait_alu 0xfffe
	s_xor_b32 s9, exec_lo, s10
; %bb.167:                              ;   in Loop: Header=BB119_2 Depth=1
	ds_load_u8 v65, v61 offset:1
; %bb.168:                              ;   in Loop: Header=BB119_2 Depth=1
	s_wait_alu 0xfffe
	s_or_saveexec_b32 s9, s9
	v_mov_b32_e32 v66, v64
	s_wait_alu 0xfffe
	s_xor_b32 exec_lo, exec_lo, s9
	s_cbranch_execz .LBB119_170
; %bb.169:                              ;   in Loop: Header=BB119_2 Depth=1
	ds_load_u8 v66, v62 offset:1
	s_wait_dscnt 0x1
	v_mov_b32_e32 v65, v63
.LBB119_170:                            ;   in Loop: Header=BB119_2 Depth=1
	s_or_b32 exec_lo, exec_lo, s9
	v_add_nc_u32_e32 v67, 1, v61
	v_add_nc_u32_e32 v68, 1, v62
	s_wait_dscnt 0x0
	v_and_b32_e32 v69, 0xff, v65
	v_and_b32_e32 v70, 0xff, v66
	v_cndmask_b32_e64 v67, v67, v61, s8
	v_cndmask_b32_e64 v68, v62, v68, s8
	s_delay_alu instid0(VALU_DEP_3) | instskip(NEXT) | instid1(VALU_DEP_3)
	v_cmp_lt_u16_e64 s10, v70, v69
                                        ; implicit-def: $vgpr69
	v_cmp_ge_i32_e64 s9, v67, v27
	s_delay_alu instid0(VALU_DEP_3)
	v_cmp_lt_i32_e64 s11, v68, v28
	s_or_b32 s9, s9, s10
	s_wait_alu 0xfffe
	s_and_b32 s9, s11, s9
	s_wait_alu 0xfffe
	s_xor_b32 s10, s9, -1
	s_wait_alu 0xfffe
	s_and_saveexec_b32 s11, s10
	s_wait_alu 0xfffe
	s_xor_b32 s10, exec_lo, s11
; %bb.171:                              ;   in Loop: Header=BB119_2 Depth=1
	ds_load_u8 v69, v67 offset:1
; %bb.172:                              ;   in Loop: Header=BB119_2 Depth=1
	s_wait_alu 0xfffe
	s_or_saveexec_b32 s10, s10
	v_mov_b32_e32 v70, v66
	s_wait_alu 0xfffe
	s_xor_b32 exec_lo, exec_lo, s10
	s_cbranch_execz .LBB119_174
; %bb.173:                              ;   in Loop: Header=BB119_2 Depth=1
	ds_load_u8 v70, v68 offset:1
	s_wait_dscnt 0x1
	v_mov_b32_e32 v69, v65
.LBB119_174:                            ;   in Loop: Header=BB119_2 Depth=1
	s_or_b32 exec_lo, exec_lo, s10
	v_add_nc_u32_e32 v71, 1, v67
	v_add_nc_u32_e32 v72, 1, v68
	s_wait_dscnt 0x0
	v_and_b32_e32 v73, 0xff, v69
	v_and_b32_e32 v74, 0xff, v70
	v_cndmask_b32_e64 v71, v71, v67, s9
	v_cndmask_b32_e64 v72, v68, v72, s9
	s_delay_alu instid0(VALU_DEP_3) | instskip(NEXT) | instid1(VALU_DEP_3)
	v_cmp_lt_u16_e64 s11, v74, v73
                                        ; implicit-def: $vgpr73
	v_cmp_ge_i32_e64 s10, v71, v27
	s_delay_alu instid0(VALU_DEP_3)
	v_cmp_lt_i32_e64 s12, v72, v28
	s_or_b32 s10, s10, s11
	s_wait_alu 0xfffe
	s_and_b32 s10, s12, s10
	s_wait_alu 0xfffe
	s_xor_b32 s11, s10, -1
	s_wait_alu 0xfffe
	s_and_saveexec_b32 s12, s11
	s_wait_alu 0xfffe
	s_xor_b32 s11, exec_lo, s12
; %bb.175:                              ;   in Loop: Header=BB119_2 Depth=1
	ds_load_u8 v73, v71 offset:1
; %bb.176:                              ;   in Loop: Header=BB119_2 Depth=1
	s_wait_alu 0xfffe
	s_or_saveexec_b32 s11, s11
	v_mov_b32_e32 v74, v70
	s_wait_alu 0xfffe
	s_xor_b32 exec_lo, exec_lo, s11
	s_cbranch_execz .LBB119_178
; %bb.177:                              ;   in Loop: Header=BB119_2 Depth=1
	ds_load_u8 v74, v72 offset:1
	s_wait_dscnt 0x1
	v_mov_b32_e32 v73, v69
.LBB119_178:                            ;   in Loop: Header=BB119_2 Depth=1
	s_or_b32 exec_lo, exec_lo, s11
	v_add_nc_u32_e32 v75, 1, v71
	v_add_nc_u32_e32 v76, 1, v72
	s_wait_dscnt 0x0
	v_and_b32_e32 v77, 0xff, v73
	v_and_b32_e32 v78, 0xff, v74
	v_cndmask_b32_e64 v75, v75, v71, s10
	v_cndmask_b32_e64 v76, v72, v76, s10
	s_delay_alu instid0(VALU_DEP_3) | instskip(NEXT) | instid1(VALU_DEP_3)
	v_cmp_lt_u16_e64 s12, v78, v77
                                        ; implicit-def: $vgpr77
	v_cmp_ge_i32_e64 s11, v75, v27
	s_delay_alu instid0(VALU_DEP_3)
	v_cmp_lt_i32_e64 s13, v76, v28
	s_or_b32 s11, s11, s12
	s_wait_alu 0xfffe
	s_and_b32 s11, s13, s11
	s_wait_alu 0xfffe
	s_xor_b32 s12, s11, -1
	s_wait_alu 0xfffe
	s_and_saveexec_b32 s13, s12
	s_wait_alu 0xfffe
	s_xor_b32 s12, exec_lo, s13
; %bb.179:                              ;   in Loop: Header=BB119_2 Depth=1
	ds_load_u8 v77, v75 offset:1
; %bb.180:                              ;   in Loop: Header=BB119_2 Depth=1
	s_wait_alu 0xfffe
	s_or_saveexec_b32 s12, s12
	v_mov_b32_e32 v78, v74
	s_wait_alu 0xfffe
	s_xor_b32 exec_lo, exec_lo, s12
	s_cbranch_execz .LBB119_182
; %bb.181:                              ;   in Loop: Header=BB119_2 Depth=1
	ds_load_u8 v78, v76 offset:1
	s_wait_dscnt 0x1
	v_mov_b32_e32 v77, v73
.LBB119_182:                            ;   in Loop: Header=BB119_2 Depth=1
	s_or_b32 exec_lo, exec_lo, s12
	v_add_nc_u32_e32 v79, 1, v75
	v_add_nc_u32_e32 v80, 1, v76
	s_wait_dscnt 0x0
	v_and_b32_e32 v81, 0xff, v77
	v_and_b32_e32 v82, 0xff, v78
	v_cndmask_b32_e64 v79, v79, v75, s11
	v_cndmask_b32_e64 v80, v76, v80, s11
	s_delay_alu instid0(VALU_DEP_3) | instskip(NEXT) | instid1(VALU_DEP_3)
	v_cmp_lt_u16_e64 s13, v82, v81
                                        ; implicit-def: $vgpr81
	v_cmp_ge_i32_e64 s12, v79, v27
	s_delay_alu instid0(VALU_DEP_3)
	v_cmp_lt_i32_e64 s14, v80, v28
	s_or_b32 s12, s12, s13
	s_wait_alu 0xfffe
	s_and_b32 s12, s14, s12
	s_wait_alu 0xfffe
	s_xor_b32 s13, s12, -1
	s_wait_alu 0xfffe
	s_and_saveexec_b32 s14, s13
	s_wait_alu 0xfffe
	s_xor_b32 s13, exec_lo, s14
; %bb.183:                              ;   in Loop: Header=BB119_2 Depth=1
	ds_load_u8 v81, v79 offset:1
; %bb.184:                              ;   in Loop: Header=BB119_2 Depth=1
	s_wait_alu 0xfffe
	s_or_saveexec_b32 s13, s13
	v_mov_b32_e32 v82, v78
	s_wait_alu 0xfffe
	s_xor_b32 exec_lo, exec_lo, s13
	s_cbranch_execz .LBB119_186
; %bb.185:                              ;   in Loop: Header=BB119_2 Depth=1
	ds_load_u8 v82, v80 offset:1
	s_wait_dscnt 0x1
	v_mov_b32_e32 v81, v77
.LBB119_186:                            ;   in Loop: Header=BB119_2 Depth=1
	s_or_b32 exec_lo, exec_lo, s13
	v_add_nc_u32_e32 v83, 1, v79
	v_add_nc_u32_e32 v84, 1, v80
	s_wait_dscnt 0x0
	v_and_b32_e32 v85, 0xff, v81
	v_and_b32_e32 v86, 0xff, v82
	v_cndmask_b32_e64 v83, v83, v79, s12
	v_cndmask_b32_e64 v84, v80, v84, s12
	s_delay_alu instid0(VALU_DEP_3) | instskip(NEXT) | instid1(VALU_DEP_3)
	v_cmp_lt_u16_e64 s14, v86, v85
                                        ; implicit-def: $vgpr86
	v_cmp_ge_i32_e64 s13, v83, v27
	s_delay_alu instid0(VALU_DEP_3)
	v_cmp_lt_i32_e64 s15, v84, v28
	s_or_b32 s13, s13, s14
	s_wait_alu 0xfffe
	s_and_b32 s13, s15, s13
	s_wait_alu 0xfffe
	s_xor_b32 s14, s13, -1
	s_wait_alu 0xfffe
	s_and_saveexec_b32 s15, s14
	s_wait_alu 0xfffe
	s_xor_b32 s14, exec_lo, s15
; %bb.187:                              ;   in Loop: Header=BB119_2 Depth=1
	ds_load_u8 v86, v83 offset:1
; %bb.188:                              ;   in Loop: Header=BB119_2 Depth=1
	s_wait_alu 0xfffe
	s_or_saveexec_b32 s14, s14
	v_mov_b32_e32 v88, v82
	s_wait_alu 0xfffe
	s_xor_b32 exec_lo, exec_lo, s14
	s_cbranch_execz .LBB119_190
; %bb.189:                              ;   in Loop: Header=BB119_2 Depth=1
	ds_load_u8 v88, v84 offset:1
	s_wait_dscnt 0x1
	v_mov_b32_e32 v86, v81
.LBB119_190:                            ;   in Loop: Header=BB119_2 Depth=1
	s_or_b32 exec_lo, exec_lo, s14
	v_add_nc_u32_e32 v85, 1, v83
	v_add_nc_u32_e32 v87, 1, v84
	s_wait_dscnt 0x0
	v_and_b32_e32 v91, 0xff, v86
	s_delay_alu instid0(VALU_DEP_3) | instskip(SKIP_2) | instid1(VALU_DEP_3)
	v_cndmask_b32_e64 v89, v85, v83, s13
	v_and_b32_e32 v85, 0xff, v88
	v_cndmask_b32_e64 v90, v84, v87, s13
	v_cmp_ge_i32_e64 s14, v89, v27
	s_delay_alu instid0(VALU_DEP_3) | instskip(NEXT) | instid1(VALU_DEP_3)
	v_cmp_lt_u16_e64 s15, v85, v91
	v_cmp_lt_i32_e64 s16, v90, v28
                                        ; implicit-def: $vgpr85
	s_or_b32 s14, s14, s15
	s_wait_alu 0xfffe
	s_and_b32 s14, s16, s14
	s_wait_alu 0xfffe
	s_xor_b32 s15, s14, -1
	s_wait_alu 0xfffe
	s_and_saveexec_b32 s16, s15
	s_wait_alu 0xfffe
	s_xor_b32 s15, exec_lo, s16
; %bb.191:                              ;   in Loop: Header=BB119_2 Depth=1
	ds_load_u8 v85, v89 offset:1
; %bb.192:                              ;   in Loop: Header=BB119_2 Depth=1
	s_wait_alu 0xfffe
	s_or_saveexec_b32 s15, s15
	v_mov_b32_e32 v87, v88
	s_wait_alu 0xfffe
	s_xor_b32 exec_lo, exec_lo, s15
	s_cbranch_execz .LBB119_194
; %bb.193:                              ;   in Loop: Header=BB119_2 Depth=1
	ds_load_u8 v87, v90 offset:1
	s_wait_dscnt 0x1
	v_mov_b32_e32 v85, v86
.LBB119_194:                            ;   in Loop: Header=BB119_2 Depth=1
	s_or_b32 exec_lo, exec_lo, s15
	v_add_nc_u32_e32 v92, 1, v89
	v_add_nc_u32_e32 v91, 1, v90
	v_cndmask_b32_e64 v86, v86, v88, s14
	v_cndmask_b32_e64 v88, v89, v90, s14
	;; [unrolled: 1-line block ×5, first 2 shown]
	s_wait_dscnt 0x0
	v_and_b32_e32 v75, 0xff, v85
	v_and_b32_e32 v76, 0xff, v87
	v_cndmask_b32_e64 v90, v90, v91, s14
	v_cndmask_b32_e64 v69, v69, v70, s10
	;; [unrolled: 1-line block ×3, first 2 shown]
	v_cmp_ge_i32_e64 s10, v89, v27
	v_cmp_lt_u16_e64 s11, v76, v75
	v_cndmask_b32_e64 v63, v63, v64, s8
	v_cndmask_b32_e64 v61, v61, v62, s8
	v_cmp_lt_i32_e64 s8, v90, v28
	v_perm_b32 v58, v58, v59, 0xc0c0004
	v_perm_b32 v57, v60, v57, 0xc0c0004
	;; [unrolled: 1-line block ×4, first 2 shown]
	v_cndmask_b32_e64 v65, v65, v66, s9
	v_cndmask_b32_e64 v66, v67, v68, s9
	s_or_b32 s9, s10, s11
	v_cndmask_b32_e64 v81, v81, v82, s13
	s_wait_alu 0xfffe
	s_and_b32 s8, s8, s9
	v_cndmask_b32_e64 v77, v77, v78, s12
	s_wait_alu 0xfffe
	v_cndmask_b32_e64 v4, v85, v87, s8
	v_lshl_or_b32 v2, v57, 16, v58
	v_lshl_or_b32 v1, v3, 16, v1
	s_wait_loadcnt 0x0
	s_barrier_signal -1
	s_barrier_wait -1
	global_inv scope:SCOPE_SE
	ds_store_b64 v5, v[1:2]
	v_lshlrev_b16 v1, 8, v65
	v_and_b32_e32 v2, 0xff, v63
	v_lshlrev_b16 v3, 8, v73
	v_and_b32_e32 v57, 0xff, v69
	;; [unrolled: 2-line block ×3, first 2 shown]
	v_and_b32_e32 v62, 0xff, v86
	v_lshlrev_b16 v4, 8, v4
	v_cndmask_b32_e64 v59, v89, v90, s8
	v_cndmask_b32_e64 v82, v83, v84, s13
	v_cndmask_b32_e64 v78, v79, v80, s12
	s_wait_loadcnt_dscnt 0x0
	s_barrier_signal -1
	s_barrier_wait -1
	global_inv scope:SCOPE_SE
	v_or_b32_e32 v63, v2, v1
	v_or_b32_e32 v64, v57, v3
	;; [unrolled: 1-line block ×4, first 2 shown]
	ds_load_u8 v1, v61
	ds_load_u8 v57, v59
	;; [unrolled: 1-line block ×8, first 2 shown]
	v_and_b32_e32 v61, 0xffff, v63
	v_lshlrev_b32_e32 v63, 16, v64
	v_and_b32_e32 v64, 0xffff, v65
	v_lshlrev_b32_e32 v62, 16, v62
	s_wait_loadcnt_dscnt 0x0
	s_barrier_signal -1
	v_or_b32_e32 v61, v61, v63
	s_barrier_wait -1
	v_or_b32_e32 v62, v64, v62
	global_inv scope:SCOPE_SE
	ds_store_b64 v5, v[61:62]
	v_mov_b32_e32 v62, v55
	s_wait_loadcnt_dscnt 0x0
	s_barrier_signal -1
	s_barrier_wait -1
	global_inv scope:SCOPE_SE
	s_and_saveexec_b32 s9, s6
	s_cbranch_execz .LBB119_198
; %bb.195:                              ;   in Loop: Header=BB119_2 Depth=1
	v_dual_mov_b32 v62, v55 :: v_dual_mov_b32 v61, v47
	s_mov_b32 s10, 0
.LBB119_196:                            ;   Parent Loop BB119_2 Depth=1
                                        ; =>  This Inner Loop Header: Depth=2
	s_delay_alu instid0(VALU_DEP_1) | instskip(NEXT) | instid1(VALU_DEP_1)
	v_sub_nc_u32_e32 v63, v61, v62
	v_lshrrev_b32_e32 v63, 1, v63
	s_delay_alu instid0(VALU_DEP_1) | instskip(NEXT) | instid1(VALU_DEP_1)
	v_add_nc_u32_e32 v63, v63, v62
	v_add_nc_u32_e32 v64, v12, v63
	v_xad_u32 v65, v63, -1, v39
	v_add_nc_u32_e32 v66, 1, v63
	ds_load_u8 v64, v64
	ds_load_u8 v65, v65
	s_wait_dscnt 0x0
	v_cmp_lt_u16_e64 s8, v65, v64
	s_wait_alu 0xf1ff
	s_delay_alu instid0(VALU_DEP_1) | instskip(SKIP_1) | instid1(VALU_DEP_1)
	v_cndmask_b32_e64 v61, v61, v63, s8
	v_cndmask_b32_e64 v62, v66, v62, s8
	v_cmp_ge_i32_e64 s8, v62, v61
	s_wait_alu 0xfffe
	s_or_b32 s10, s8, s10
	s_wait_alu 0xfffe
	s_and_not1_b32 exec_lo, exec_lo, s10
	s_cbranch_execnz .LBB119_196
; %bb.197:                              ;   in Loop: Header=BB119_2 Depth=1
	s_or_b32 exec_lo, exec_lo, s10
.LBB119_198:                            ;   in Loop: Header=BB119_2 Depth=1
	s_wait_alu 0xfffe
	s_or_b32 exec_lo, exec_lo, s9
	v_add_nc_u32_e32 v61, v62, v12
	v_sub_nc_u32_e32 v62, v39, v62
	ds_load_u8 v63, v61
	ds_load_u8 v64, v62
	v_cmp_le_i32_e64 s8, v29, v61
	v_cmp_gt_i32_e64 s10, v30, v62
	s_wait_dscnt 0x1
	v_and_b32_e32 v65, 0xff, v63
	s_wait_dscnt 0x0
	v_and_b32_e32 v66, 0xff, v64
	s_delay_alu instid0(VALU_DEP_1)
	v_cmp_lt_u16_e64 s9, v66, v65
                                        ; implicit-def: $vgpr65
	s_or_b32 s8, s8, s9
	s_wait_alu 0xfffe
	s_and_b32 s8, s10, s8
	s_wait_alu 0xfffe
	s_xor_b32 s9, s8, -1
	s_wait_alu 0xfffe
	s_and_saveexec_b32 s10, s9
	s_wait_alu 0xfffe
	s_xor_b32 s9, exec_lo, s10
; %bb.199:                              ;   in Loop: Header=BB119_2 Depth=1
	ds_load_u8 v65, v61 offset:1
; %bb.200:                              ;   in Loop: Header=BB119_2 Depth=1
	s_wait_alu 0xfffe
	s_or_saveexec_b32 s9, s9
	v_mov_b32_e32 v66, v64
	s_wait_alu 0xfffe
	s_xor_b32 exec_lo, exec_lo, s9
	s_cbranch_execz .LBB119_202
; %bb.201:                              ;   in Loop: Header=BB119_2 Depth=1
	ds_load_u8 v66, v62 offset:1
	s_wait_dscnt 0x1
	v_mov_b32_e32 v65, v63
.LBB119_202:                            ;   in Loop: Header=BB119_2 Depth=1
	s_or_b32 exec_lo, exec_lo, s9
	v_add_nc_u32_e32 v67, 1, v61
	v_add_nc_u32_e32 v68, 1, v62
	s_wait_dscnt 0x0
	v_and_b32_e32 v69, 0xff, v65
	v_and_b32_e32 v70, 0xff, v66
	v_cndmask_b32_e64 v67, v67, v61, s8
	v_cndmask_b32_e64 v68, v62, v68, s8
	s_delay_alu instid0(VALU_DEP_3) | instskip(NEXT) | instid1(VALU_DEP_3)
	v_cmp_lt_u16_e64 s10, v70, v69
                                        ; implicit-def: $vgpr69
	v_cmp_ge_i32_e64 s9, v67, v29
	s_delay_alu instid0(VALU_DEP_3)
	v_cmp_lt_i32_e64 s11, v68, v30
	s_or_b32 s9, s9, s10
	s_wait_alu 0xfffe
	s_and_b32 s9, s11, s9
	s_wait_alu 0xfffe
	s_xor_b32 s10, s9, -1
	s_wait_alu 0xfffe
	s_and_saveexec_b32 s11, s10
	s_wait_alu 0xfffe
	s_xor_b32 s10, exec_lo, s11
; %bb.203:                              ;   in Loop: Header=BB119_2 Depth=1
	ds_load_u8 v69, v67 offset:1
; %bb.204:                              ;   in Loop: Header=BB119_2 Depth=1
	s_wait_alu 0xfffe
	s_or_saveexec_b32 s10, s10
	v_mov_b32_e32 v70, v66
	s_wait_alu 0xfffe
	s_xor_b32 exec_lo, exec_lo, s10
	s_cbranch_execz .LBB119_206
; %bb.205:                              ;   in Loop: Header=BB119_2 Depth=1
	ds_load_u8 v70, v68 offset:1
	s_wait_dscnt 0x1
	v_mov_b32_e32 v69, v65
.LBB119_206:                            ;   in Loop: Header=BB119_2 Depth=1
	s_or_b32 exec_lo, exec_lo, s10
	v_add_nc_u32_e32 v71, 1, v67
	v_add_nc_u32_e32 v72, 1, v68
	s_wait_dscnt 0x0
	v_and_b32_e32 v73, 0xff, v69
	v_and_b32_e32 v74, 0xff, v70
	v_cndmask_b32_e64 v71, v71, v67, s9
	v_cndmask_b32_e64 v72, v68, v72, s9
	s_delay_alu instid0(VALU_DEP_3) | instskip(NEXT) | instid1(VALU_DEP_3)
	v_cmp_lt_u16_e64 s11, v74, v73
                                        ; implicit-def: $vgpr73
	v_cmp_ge_i32_e64 s10, v71, v29
	s_delay_alu instid0(VALU_DEP_3)
	v_cmp_lt_i32_e64 s12, v72, v30
	s_or_b32 s10, s10, s11
	s_wait_alu 0xfffe
	s_and_b32 s10, s12, s10
	s_wait_alu 0xfffe
	s_xor_b32 s11, s10, -1
	s_wait_alu 0xfffe
	s_and_saveexec_b32 s12, s11
	s_wait_alu 0xfffe
	s_xor_b32 s11, exec_lo, s12
; %bb.207:                              ;   in Loop: Header=BB119_2 Depth=1
	ds_load_u8 v73, v71 offset:1
; %bb.208:                              ;   in Loop: Header=BB119_2 Depth=1
	s_wait_alu 0xfffe
	s_or_saveexec_b32 s11, s11
	v_mov_b32_e32 v74, v70
	s_wait_alu 0xfffe
	s_xor_b32 exec_lo, exec_lo, s11
	s_cbranch_execz .LBB119_210
; %bb.209:                              ;   in Loop: Header=BB119_2 Depth=1
	ds_load_u8 v74, v72 offset:1
	s_wait_dscnt 0x1
	v_mov_b32_e32 v73, v69
.LBB119_210:                            ;   in Loop: Header=BB119_2 Depth=1
	s_or_b32 exec_lo, exec_lo, s11
	v_add_nc_u32_e32 v75, 1, v71
	v_add_nc_u32_e32 v76, 1, v72
	s_wait_dscnt 0x0
	v_and_b32_e32 v77, 0xff, v73
	v_and_b32_e32 v78, 0xff, v74
	v_cndmask_b32_e64 v75, v75, v71, s10
	v_cndmask_b32_e64 v76, v72, v76, s10
	s_delay_alu instid0(VALU_DEP_3) | instskip(NEXT) | instid1(VALU_DEP_3)
	v_cmp_lt_u16_e64 s12, v78, v77
                                        ; implicit-def: $vgpr77
	v_cmp_ge_i32_e64 s11, v75, v29
	s_delay_alu instid0(VALU_DEP_3)
	v_cmp_lt_i32_e64 s13, v76, v30
	s_or_b32 s11, s11, s12
	s_wait_alu 0xfffe
	s_and_b32 s11, s13, s11
	s_wait_alu 0xfffe
	s_xor_b32 s12, s11, -1
	s_wait_alu 0xfffe
	s_and_saveexec_b32 s13, s12
	s_wait_alu 0xfffe
	s_xor_b32 s12, exec_lo, s13
; %bb.211:                              ;   in Loop: Header=BB119_2 Depth=1
	ds_load_u8 v77, v75 offset:1
; %bb.212:                              ;   in Loop: Header=BB119_2 Depth=1
	s_wait_alu 0xfffe
	s_or_saveexec_b32 s12, s12
	v_mov_b32_e32 v78, v74
	s_wait_alu 0xfffe
	s_xor_b32 exec_lo, exec_lo, s12
	s_cbranch_execz .LBB119_214
; %bb.213:                              ;   in Loop: Header=BB119_2 Depth=1
	ds_load_u8 v78, v76 offset:1
	s_wait_dscnt 0x1
	v_mov_b32_e32 v77, v73
.LBB119_214:                            ;   in Loop: Header=BB119_2 Depth=1
	s_or_b32 exec_lo, exec_lo, s12
	v_add_nc_u32_e32 v79, 1, v75
	v_add_nc_u32_e32 v80, 1, v76
	s_wait_dscnt 0x0
	v_and_b32_e32 v81, 0xff, v77
	v_and_b32_e32 v82, 0xff, v78
	v_cndmask_b32_e64 v79, v79, v75, s11
	v_cndmask_b32_e64 v80, v76, v80, s11
	s_delay_alu instid0(VALU_DEP_3) | instskip(NEXT) | instid1(VALU_DEP_3)
	v_cmp_lt_u16_e64 s13, v82, v81
                                        ; implicit-def: $vgpr81
	v_cmp_ge_i32_e64 s12, v79, v29
	s_delay_alu instid0(VALU_DEP_3)
	v_cmp_lt_i32_e64 s14, v80, v30
	s_or_b32 s12, s12, s13
	s_wait_alu 0xfffe
	s_and_b32 s12, s14, s12
	s_wait_alu 0xfffe
	s_xor_b32 s13, s12, -1
	s_wait_alu 0xfffe
	s_and_saveexec_b32 s14, s13
	s_wait_alu 0xfffe
	s_xor_b32 s13, exec_lo, s14
; %bb.215:                              ;   in Loop: Header=BB119_2 Depth=1
	ds_load_u8 v81, v79 offset:1
; %bb.216:                              ;   in Loop: Header=BB119_2 Depth=1
	s_wait_alu 0xfffe
	s_or_saveexec_b32 s13, s13
	v_mov_b32_e32 v82, v78
	s_wait_alu 0xfffe
	s_xor_b32 exec_lo, exec_lo, s13
	s_cbranch_execz .LBB119_218
; %bb.217:                              ;   in Loop: Header=BB119_2 Depth=1
	ds_load_u8 v82, v80 offset:1
	s_wait_dscnt 0x1
	v_mov_b32_e32 v81, v77
.LBB119_218:                            ;   in Loop: Header=BB119_2 Depth=1
	s_or_b32 exec_lo, exec_lo, s13
	v_add_nc_u32_e32 v83, 1, v79
	v_add_nc_u32_e32 v84, 1, v80
	s_wait_dscnt 0x0
	v_and_b32_e32 v85, 0xff, v81
	v_and_b32_e32 v86, 0xff, v82
	v_cndmask_b32_e64 v83, v83, v79, s12
	v_cndmask_b32_e64 v84, v80, v84, s12
	s_delay_alu instid0(VALU_DEP_3) | instskip(NEXT) | instid1(VALU_DEP_3)
	v_cmp_lt_u16_e64 s14, v86, v85
                                        ; implicit-def: $vgpr86
	v_cmp_ge_i32_e64 s13, v83, v29
	s_delay_alu instid0(VALU_DEP_3)
	v_cmp_lt_i32_e64 s15, v84, v30
	s_or_b32 s13, s13, s14
	s_wait_alu 0xfffe
	s_and_b32 s13, s15, s13
	s_wait_alu 0xfffe
	s_xor_b32 s14, s13, -1
	s_wait_alu 0xfffe
	s_and_saveexec_b32 s15, s14
	s_wait_alu 0xfffe
	s_xor_b32 s14, exec_lo, s15
; %bb.219:                              ;   in Loop: Header=BB119_2 Depth=1
	ds_load_u8 v86, v83 offset:1
; %bb.220:                              ;   in Loop: Header=BB119_2 Depth=1
	s_wait_alu 0xfffe
	s_or_saveexec_b32 s14, s14
	v_mov_b32_e32 v88, v82
	s_wait_alu 0xfffe
	s_xor_b32 exec_lo, exec_lo, s14
	s_cbranch_execz .LBB119_222
; %bb.221:                              ;   in Loop: Header=BB119_2 Depth=1
	ds_load_u8 v88, v84 offset:1
	s_wait_dscnt 0x1
	v_mov_b32_e32 v86, v81
.LBB119_222:                            ;   in Loop: Header=BB119_2 Depth=1
	s_or_b32 exec_lo, exec_lo, s14
	v_add_nc_u32_e32 v85, 1, v83
	v_add_nc_u32_e32 v87, 1, v84
	s_wait_dscnt 0x0
	v_and_b32_e32 v91, 0xff, v86
	s_delay_alu instid0(VALU_DEP_3) | instskip(SKIP_2) | instid1(VALU_DEP_3)
	v_cndmask_b32_e64 v89, v85, v83, s13
	v_and_b32_e32 v85, 0xff, v88
	v_cndmask_b32_e64 v90, v84, v87, s13
	v_cmp_ge_i32_e64 s14, v89, v29
	s_delay_alu instid0(VALU_DEP_3) | instskip(NEXT) | instid1(VALU_DEP_3)
	v_cmp_lt_u16_e64 s15, v85, v91
	v_cmp_lt_i32_e64 s16, v90, v30
                                        ; implicit-def: $vgpr85
	s_or_b32 s14, s14, s15
	s_wait_alu 0xfffe
	s_and_b32 s14, s16, s14
	s_wait_alu 0xfffe
	s_xor_b32 s15, s14, -1
	s_wait_alu 0xfffe
	s_and_saveexec_b32 s16, s15
	s_wait_alu 0xfffe
	s_xor_b32 s15, exec_lo, s16
; %bb.223:                              ;   in Loop: Header=BB119_2 Depth=1
	ds_load_u8 v85, v89 offset:1
; %bb.224:                              ;   in Loop: Header=BB119_2 Depth=1
	s_wait_alu 0xfffe
	s_or_saveexec_b32 s15, s15
	v_mov_b32_e32 v87, v88
	s_wait_alu 0xfffe
	s_xor_b32 exec_lo, exec_lo, s15
	s_cbranch_execz .LBB119_226
; %bb.225:                              ;   in Loop: Header=BB119_2 Depth=1
	ds_load_u8 v87, v90 offset:1
	s_wait_dscnt 0x1
	v_mov_b32_e32 v85, v86
.LBB119_226:                            ;   in Loop: Header=BB119_2 Depth=1
	s_or_b32 exec_lo, exec_lo, s15
	v_add_nc_u32_e32 v92, 1, v89
	v_add_nc_u32_e32 v91, 1, v90
	v_cndmask_b32_e64 v86, v86, v88, s14
	v_cndmask_b32_e64 v88, v89, v90, s14
	v_cndmask_b32_e64 v73, v73, v74, s11
	v_cndmask_b32_e64 v89, v92, v89, s14
	v_cndmask_b32_e64 v74, v75, v76, s11
	s_wait_dscnt 0x0
	v_and_b32_e32 v75, 0xff, v85
	v_and_b32_e32 v76, 0xff, v87
	v_cndmask_b32_e64 v90, v90, v91, s14
	v_cndmask_b32_e64 v69, v69, v70, s10
	;; [unrolled: 1-line block ×3, first 2 shown]
	v_cmp_ge_i32_e64 s10, v89, v29
	v_cmp_lt_u16_e64 s11, v76, v75
	v_cndmask_b32_e64 v63, v63, v64, s8
	v_cndmask_b32_e64 v61, v61, v62, s8
	v_cmp_lt_i32_e64 s8, v90, v30
	v_perm_b32 v58, v58, v59, 0xc0c0004
	v_perm_b32 v57, v60, v57, 0xc0c0004
	;; [unrolled: 1-line block ×4, first 2 shown]
	v_cndmask_b32_e64 v65, v65, v66, s9
	v_cndmask_b32_e64 v66, v67, v68, s9
	s_or_b32 s9, s10, s11
	v_cndmask_b32_e64 v81, v81, v82, s13
	s_wait_alu 0xfffe
	s_and_b32 s8, s8, s9
	v_cndmask_b32_e64 v77, v77, v78, s12
	s_wait_alu 0xfffe
	v_cndmask_b32_e64 v4, v85, v87, s8
	v_lshl_or_b32 v2, v57, 16, v58
	v_lshl_or_b32 v1, v3, 16, v1
	s_wait_loadcnt 0x0
	s_barrier_signal -1
	s_barrier_wait -1
	global_inv scope:SCOPE_SE
	ds_store_b64 v5, v[1:2]
	v_lshlrev_b16 v1, 8, v65
	v_and_b32_e32 v2, 0xff, v63
	v_lshlrev_b16 v3, 8, v73
	v_and_b32_e32 v57, 0xff, v69
	;; [unrolled: 2-line block ×3, first 2 shown]
	v_and_b32_e32 v62, 0xff, v86
	v_lshlrev_b16 v4, 8, v4
	v_cndmask_b32_e64 v59, v89, v90, s8
	v_cndmask_b32_e64 v82, v83, v84, s13
	;; [unrolled: 1-line block ×3, first 2 shown]
	s_wait_loadcnt_dscnt 0x0
	s_barrier_signal -1
	s_barrier_wait -1
	global_inv scope:SCOPE_SE
	v_or_b32_e32 v63, v2, v1
	v_or_b32_e32 v64, v57, v3
	;; [unrolled: 1-line block ×4, first 2 shown]
	ds_load_u8 v1, v61
	ds_load_u8 v57, v59
	;; [unrolled: 1-line block ×8, first 2 shown]
	v_and_b32_e32 v61, 0xffff, v63
	v_lshlrev_b32_e32 v63, 16, v64
	v_and_b32_e32 v64, 0xffff, v65
	v_lshlrev_b32_e32 v62, 16, v62
	s_wait_loadcnt_dscnt 0x0
	s_barrier_signal -1
	v_or_b32_e32 v61, v61, v63
	s_barrier_wait -1
	v_or_b32_e32 v62, v64, v62
	global_inv scope:SCOPE_SE
	ds_store_b64 v5, v[61:62]
	v_mov_b32_e32 v62, v56
	s_wait_loadcnt_dscnt 0x0
	s_barrier_signal -1
	s_barrier_wait -1
	global_inv scope:SCOPE_SE
	s_and_saveexec_b32 s9, s7
	s_cbranch_execz .LBB119_230
; %bb.227:                              ;   in Loop: Header=BB119_2 Depth=1
	v_dual_mov_b32 v62, v56 :: v_dual_mov_b32 v61, v48
	s_mov_b32 s10, 0
.LBB119_228:                            ;   Parent Loop BB119_2 Depth=1
                                        ; =>  This Inner Loop Header: Depth=2
	s_delay_alu instid0(VALU_DEP_1) | instskip(NEXT) | instid1(VALU_DEP_1)
	v_sub_nc_u32_e32 v63, v61, v62
	v_lshrrev_b32_e32 v63, 1, v63
	s_delay_alu instid0(VALU_DEP_1) | instskip(NEXT) | instid1(VALU_DEP_1)
	v_add_nc_u32_e32 v63, v63, v62
	v_add_nc_u32_e32 v64, v13, v63
	v_xad_u32 v65, v63, -1, v40
	v_add_nc_u32_e32 v66, 1, v63
	ds_load_u8 v64, v64
	ds_load_u8 v65, v65
	s_wait_dscnt 0x0
	v_cmp_lt_u16_e64 s8, v65, v64
	s_wait_alu 0xf1ff
	s_delay_alu instid0(VALU_DEP_1) | instskip(SKIP_1) | instid1(VALU_DEP_1)
	v_cndmask_b32_e64 v61, v61, v63, s8
	v_cndmask_b32_e64 v62, v66, v62, s8
	v_cmp_ge_i32_e64 s8, v62, v61
	s_wait_alu 0xfffe
	s_or_b32 s10, s8, s10
	s_wait_alu 0xfffe
	s_and_not1_b32 exec_lo, exec_lo, s10
	s_cbranch_execnz .LBB119_228
; %bb.229:                              ;   in Loop: Header=BB119_2 Depth=1
	s_or_b32 exec_lo, exec_lo, s10
.LBB119_230:                            ;   in Loop: Header=BB119_2 Depth=1
	s_wait_alu 0xfffe
	s_or_b32 exec_lo, exec_lo, s9
	v_add_nc_u32_e32 v61, v62, v13
	v_sub_nc_u32_e32 v62, v40, v62
	ds_load_u8 v63, v61
	ds_load_u8 v64, v62
	v_cmp_le_i32_e64 s8, v31, v61
	v_cmp_gt_i32_e64 s10, v32, v62
	s_wait_dscnt 0x1
	v_and_b32_e32 v65, 0xff, v63
	s_wait_dscnt 0x0
	v_and_b32_e32 v66, 0xff, v64
	s_delay_alu instid0(VALU_DEP_1)
	v_cmp_lt_u16_e64 s9, v66, v65
                                        ; implicit-def: $vgpr65
	s_or_b32 s8, s8, s9
	s_wait_alu 0xfffe
	s_and_b32 s8, s10, s8
	s_wait_alu 0xfffe
	s_xor_b32 s9, s8, -1
	s_wait_alu 0xfffe
	s_and_saveexec_b32 s10, s9
	s_wait_alu 0xfffe
	s_xor_b32 s9, exec_lo, s10
; %bb.231:                              ;   in Loop: Header=BB119_2 Depth=1
	ds_load_u8 v65, v61 offset:1
; %bb.232:                              ;   in Loop: Header=BB119_2 Depth=1
	s_wait_alu 0xfffe
	s_or_saveexec_b32 s9, s9
	v_mov_b32_e32 v66, v64
	s_wait_alu 0xfffe
	s_xor_b32 exec_lo, exec_lo, s9
	s_cbranch_execz .LBB119_234
; %bb.233:                              ;   in Loop: Header=BB119_2 Depth=1
	ds_load_u8 v66, v62 offset:1
	s_wait_dscnt 0x1
	v_mov_b32_e32 v65, v63
.LBB119_234:                            ;   in Loop: Header=BB119_2 Depth=1
	s_or_b32 exec_lo, exec_lo, s9
	v_add_nc_u32_e32 v67, 1, v61
	v_add_nc_u32_e32 v68, 1, v62
	s_wait_dscnt 0x0
	v_and_b32_e32 v69, 0xff, v65
	v_and_b32_e32 v70, 0xff, v66
	v_cndmask_b32_e64 v67, v67, v61, s8
	v_cndmask_b32_e64 v68, v62, v68, s8
	s_delay_alu instid0(VALU_DEP_3) | instskip(NEXT) | instid1(VALU_DEP_3)
	v_cmp_lt_u16_e64 s10, v70, v69
                                        ; implicit-def: $vgpr69
	v_cmp_ge_i32_e64 s9, v67, v31
	s_delay_alu instid0(VALU_DEP_3)
	v_cmp_lt_i32_e64 s11, v68, v32
	s_or_b32 s9, s9, s10
	s_wait_alu 0xfffe
	s_and_b32 s9, s11, s9
	s_wait_alu 0xfffe
	s_xor_b32 s10, s9, -1
	s_wait_alu 0xfffe
	s_and_saveexec_b32 s11, s10
	s_wait_alu 0xfffe
	s_xor_b32 s10, exec_lo, s11
; %bb.235:                              ;   in Loop: Header=BB119_2 Depth=1
	ds_load_u8 v69, v67 offset:1
; %bb.236:                              ;   in Loop: Header=BB119_2 Depth=1
	s_wait_alu 0xfffe
	s_or_saveexec_b32 s10, s10
	v_mov_b32_e32 v70, v66
	s_wait_alu 0xfffe
	s_xor_b32 exec_lo, exec_lo, s10
	s_cbranch_execz .LBB119_238
; %bb.237:                              ;   in Loop: Header=BB119_2 Depth=1
	ds_load_u8 v70, v68 offset:1
	s_wait_dscnt 0x1
	v_mov_b32_e32 v69, v65
.LBB119_238:                            ;   in Loop: Header=BB119_2 Depth=1
	s_or_b32 exec_lo, exec_lo, s10
	v_add_nc_u32_e32 v71, 1, v67
	v_add_nc_u32_e32 v72, 1, v68
	s_wait_dscnt 0x0
	v_and_b32_e32 v73, 0xff, v69
	v_and_b32_e32 v74, 0xff, v70
	v_cndmask_b32_e64 v71, v71, v67, s9
	v_cndmask_b32_e64 v72, v68, v72, s9
	s_delay_alu instid0(VALU_DEP_3) | instskip(NEXT) | instid1(VALU_DEP_3)
	v_cmp_lt_u16_e64 s11, v74, v73
                                        ; implicit-def: $vgpr73
	v_cmp_ge_i32_e64 s10, v71, v31
	s_delay_alu instid0(VALU_DEP_3)
	v_cmp_lt_i32_e64 s12, v72, v32
	s_or_b32 s10, s10, s11
	s_wait_alu 0xfffe
	s_and_b32 s10, s12, s10
	s_wait_alu 0xfffe
	s_xor_b32 s11, s10, -1
	s_wait_alu 0xfffe
	s_and_saveexec_b32 s12, s11
	s_wait_alu 0xfffe
	s_xor_b32 s11, exec_lo, s12
; %bb.239:                              ;   in Loop: Header=BB119_2 Depth=1
	ds_load_u8 v73, v71 offset:1
; %bb.240:                              ;   in Loop: Header=BB119_2 Depth=1
	s_wait_alu 0xfffe
	s_or_saveexec_b32 s11, s11
	v_mov_b32_e32 v74, v70
	s_wait_alu 0xfffe
	s_xor_b32 exec_lo, exec_lo, s11
	s_cbranch_execz .LBB119_242
; %bb.241:                              ;   in Loop: Header=BB119_2 Depth=1
	ds_load_u8 v74, v72 offset:1
	s_wait_dscnt 0x1
	v_mov_b32_e32 v73, v69
.LBB119_242:                            ;   in Loop: Header=BB119_2 Depth=1
	s_or_b32 exec_lo, exec_lo, s11
	v_add_nc_u32_e32 v75, 1, v71
	v_add_nc_u32_e32 v76, 1, v72
	s_wait_dscnt 0x0
	v_and_b32_e32 v77, 0xff, v73
	v_and_b32_e32 v78, 0xff, v74
	v_cndmask_b32_e64 v75, v75, v71, s10
	v_cndmask_b32_e64 v76, v72, v76, s10
	s_delay_alu instid0(VALU_DEP_3) | instskip(NEXT) | instid1(VALU_DEP_3)
	v_cmp_lt_u16_e64 s12, v78, v77
                                        ; implicit-def: $vgpr77
	v_cmp_ge_i32_e64 s11, v75, v31
	s_delay_alu instid0(VALU_DEP_3)
	v_cmp_lt_i32_e64 s13, v76, v32
	s_or_b32 s11, s11, s12
	s_wait_alu 0xfffe
	s_and_b32 s11, s13, s11
	s_wait_alu 0xfffe
	s_xor_b32 s12, s11, -1
	s_wait_alu 0xfffe
	s_and_saveexec_b32 s13, s12
	s_wait_alu 0xfffe
	s_xor_b32 s12, exec_lo, s13
; %bb.243:                              ;   in Loop: Header=BB119_2 Depth=1
	ds_load_u8 v77, v75 offset:1
; %bb.244:                              ;   in Loop: Header=BB119_2 Depth=1
	s_wait_alu 0xfffe
	s_or_saveexec_b32 s12, s12
	v_mov_b32_e32 v78, v74
	s_wait_alu 0xfffe
	s_xor_b32 exec_lo, exec_lo, s12
	s_cbranch_execz .LBB119_246
; %bb.245:                              ;   in Loop: Header=BB119_2 Depth=1
	ds_load_u8 v78, v76 offset:1
	s_wait_dscnt 0x1
	v_mov_b32_e32 v77, v73
.LBB119_246:                            ;   in Loop: Header=BB119_2 Depth=1
	s_or_b32 exec_lo, exec_lo, s12
	v_add_nc_u32_e32 v79, 1, v75
	v_add_nc_u32_e32 v80, 1, v76
	s_wait_dscnt 0x0
	v_and_b32_e32 v81, 0xff, v77
	v_and_b32_e32 v82, 0xff, v78
	v_cndmask_b32_e64 v79, v79, v75, s11
	v_cndmask_b32_e64 v80, v76, v80, s11
	s_delay_alu instid0(VALU_DEP_3) | instskip(NEXT) | instid1(VALU_DEP_3)
	v_cmp_lt_u16_e64 s13, v82, v81
                                        ; implicit-def: $vgpr81
	v_cmp_ge_i32_e64 s12, v79, v31
	s_delay_alu instid0(VALU_DEP_3)
	v_cmp_lt_i32_e64 s14, v80, v32
	s_or_b32 s12, s12, s13
	s_wait_alu 0xfffe
	s_and_b32 s12, s14, s12
	s_wait_alu 0xfffe
	s_xor_b32 s13, s12, -1
	s_wait_alu 0xfffe
	s_and_saveexec_b32 s14, s13
	s_wait_alu 0xfffe
	s_xor_b32 s13, exec_lo, s14
; %bb.247:                              ;   in Loop: Header=BB119_2 Depth=1
	ds_load_u8 v81, v79 offset:1
; %bb.248:                              ;   in Loop: Header=BB119_2 Depth=1
	s_wait_alu 0xfffe
	s_or_saveexec_b32 s13, s13
	v_mov_b32_e32 v82, v78
	s_wait_alu 0xfffe
	s_xor_b32 exec_lo, exec_lo, s13
	s_cbranch_execz .LBB119_250
; %bb.249:                              ;   in Loop: Header=BB119_2 Depth=1
	ds_load_u8 v82, v80 offset:1
	s_wait_dscnt 0x1
	v_mov_b32_e32 v81, v77
.LBB119_250:                            ;   in Loop: Header=BB119_2 Depth=1
	s_or_b32 exec_lo, exec_lo, s13
	v_add_nc_u32_e32 v83, 1, v79
	v_add_nc_u32_e32 v84, 1, v80
	s_wait_dscnt 0x0
	v_and_b32_e32 v85, 0xff, v81
	v_and_b32_e32 v86, 0xff, v82
	v_cndmask_b32_e64 v83, v83, v79, s12
	v_cndmask_b32_e64 v84, v80, v84, s12
	s_delay_alu instid0(VALU_DEP_3) | instskip(NEXT) | instid1(VALU_DEP_3)
	v_cmp_lt_u16_e64 s14, v86, v85
                                        ; implicit-def: $vgpr86
	v_cmp_ge_i32_e64 s13, v83, v31
	s_delay_alu instid0(VALU_DEP_3)
	v_cmp_lt_i32_e64 s15, v84, v32
	s_or_b32 s13, s13, s14
	s_wait_alu 0xfffe
	s_and_b32 s13, s15, s13
	s_wait_alu 0xfffe
	s_xor_b32 s14, s13, -1
	s_wait_alu 0xfffe
	s_and_saveexec_b32 s15, s14
	s_wait_alu 0xfffe
	s_xor_b32 s14, exec_lo, s15
; %bb.251:                              ;   in Loop: Header=BB119_2 Depth=1
	ds_load_u8 v86, v83 offset:1
; %bb.252:                              ;   in Loop: Header=BB119_2 Depth=1
	s_wait_alu 0xfffe
	s_or_saveexec_b32 s14, s14
	v_mov_b32_e32 v88, v82
	s_wait_alu 0xfffe
	s_xor_b32 exec_lo, exec_lo, s14
	s_cbranch_execz .LBB119_254
; %bb.253:                              ;   in Loop: Header=BB119_2 Depth=1
	ds_load_u8 v88, v84 offset:1
	s_wait_dscnt 0x1
	v_mov_b32_e32 v86, v81
.LBB119_254:                            ;   in Loop: Header=BB119_2 Depth=1
	s_or_b32 exec_lo, exec_lo, s14
	v_add_nc_u32_e32 v85, 1, v83
	v_add_nc_u32_e32 v87, 1, v84
	s_wait_dscnt 0x0
	v_and_b32_e32 v91, 0xff, v86
	s_delay_alu instid0(VALU_DEP_3) | instskip(SKIP_2) | instid1(VALU_DEP_3)
	v_cndmask_b32_e64 v89, v85, v83, s13
	v_and_b32_e32 v85, 0xff, v88
	v_cndmask_b32_e64 v90, v84, v87, s13
	v_cmp_ge_i32_e64 s14, v89, v31
	s_delay_alu instid0(VALU_DEP_3) | instskip(NEXT) | instid1(VALU_DEP_3)
	v_cmp_lt_u16_e64 s15, v85, v91
	v_cmp_lt_i32_e64 s16, v90, v32
                                        ; implicit-def: $vgpr85
	s_or_b32 s14, s14, s15
	s_wait_alu 0xfffe
	s_and_b32 s14, s16, s14
	s_wait_alu 0xfffe
	s_xor_b32 s15, s14, -1
	s_wait_alu 0xfffe
	s_and_saveexec_b32 s16, s15
	s_wait_alu 0xfffe
	s_xor_b32 s15, exec_lo, s16
; %bb.255:                              ;   in Loop: Header=BB119_2 Depth=1
	ds_load_u8 v85, v89 offset:1
; %bb.256:                              ;   in Loop: Header=BB119_2 Depth=1
	s_wait_alu 0xfffe
	s_or_saveexec_b32 s15, s15
	v_mov_b32_e32 v87, v88
	s_wait_alu 0xfffe
	s_xor_b32 exec_lo, exec_lo, s15
	s_cbranch_execz .LBB119_258
; %bb.257:                              ;   in Loop: Header=BB119_2 Depth=1
	ds_load_u8 v87, v90 offset:1
	s_wait_dscnt 0x1
	v_mov_b32_e32 v85, v86
.LBB119_258:                            ;   in Loop: Header=BB119_2 Depth=1
	s_or_b32 exec_lo, exec_lo, s15
	v_add_nc_u32_e32 v92, 1, v89
	v_add_nc_u32_e32 v91, 1, v90
	v_cndmask_b32_e64 v86, v86, v88, s14
	v_cndmask_b32_e64 v88, v89, v90, s14
	;; [unrolled: 1-line block ×5, first 2 shown]
	s_wait_dscnt 0x0
	v_and_b32_e32 v75, 0xff, v85
	v_and_b32_e32 v76, 0xff, v87
	v_cndmask_b32_e64 v90, v90, v91, s14
	v_cndmask_b32_e64 v69, v69, v70, s10
	;; [unrolled: 1-line block ×3, first 2 shown]
	v_cmp_ge_i32_e64 s10, v89, v31
	v_cmp_lt_u16_e64 s11, v76, v75
	v_cndmask_b32_e64 v63, v63, v64, s8
	v_cndmask_b32_e64 v61, v61, v62, s8
	v_cmp_lt_i32_e64 s8, v90, v32
	v_perm_b32 v58, v58, v59, 0xc0c0004
	v_perm_b32 v57, v60, v57, 0xc0c0004
	;; [unrolled: 1-line block ×4, first 2 shown]
	v_cndmask_b32_e64 v65, v65, v66, s9
	v_cndmask_b32_e64 v66, v67, v68, s9
	s_or_b32 s9, s10, s11
	v_cndmask_b32_e64 v81, v81, v82, s13
	s_wait_alu 0xfffe
	s_and_b32 s8, s8, s9
	v_cndmask_b32_e64 v77, v77, v78, s12
	s_wait_alu 0xfffe
	v_cndmask_b32_e64 v4, v85, v87, s8
	v_lshl_or_b32 v2, v57, 16, v58
	v_lshl_or_b32 v1, v3, 16, v1
	s_wait_loadcnt 0x0
	s_barrier_signal -1
	s_barrier_wait -1
	global_inv scope:SCOPE_SE
	ds_store_b64 v5, v[1:2]
	v_lshlrev_b16 v1, 8, v65
	v_and_b32_e32 v2, 0xff, v63
	v_lshlrev_b16 v3, 8, v73
	v_and_b32_e32 v57, 0xff, v69
	;; [unrolled: 2-line block ×3, first 2 shown]
	v_and_b32_e32 v62, 0xff, v86
	v_lshlrev_b16 v4, 8, v4
	v_cndmask_b32_e64 v59, v89, v90, s8
	v_cndmask_b32_e64 v82, v83, v84, s13
	;; [unrolled: 1-line block ×3, first 2 shown]
	s_wait_loadcnt_dscnt 0x0
	s_barrier_signal -1
	s_barrier_wait -1
	global_inv scope:SCOPE_SE
	v_or_b32_e32 v63, v2, v1
	v_or_b32_e32 v64, v57, v3
	;; [unrolled: 1-line block ×4, first 2 shown]
	ds_load_u8 v1, v61
	ds_load_u8 v57, v59
	;; [unrolled: 1-line block ×8, first 2 shown]
	v_and_b32_e32 v61, 0xffff, v63
	v_lshlrev_b32_e32 v63, 16, v64
	v_and_b32_e32 v64, 0xffff, v65
	v_lshlrev_b32_e32 v62, 16, v62
	s_wait_loadcnt_dscnt 0x0
	s_barrier_signal -1
	v_or_b32_e32 v61, v61, v63
	s_barrier_wait -1
	v_or_b32_e32 v62, v64, v62
	global_inv scope:SCOPE_SE
	ds_store_b64 v5, v[61:62]
	v_mov_b32_e32 v61, v14
	s_wait_loadcnt_dscnt 0x0
	s_barrier_signal -1
	s_barrier_wait -1
	global_inv scope:SCOPE_SE
	s_and_saveexec_b32 s9, vcc_lo
	s_cbranch_execz .LBB119_262
; %bb.259:                              ;   in Loop: Header=BB119_2 Depth=1
	v_dual_mov_b32 v61, v14 :: v_dual_mov_b32 v62, v15
	s_mov_b32 s10, 0
.LBB119_260:                            ;   Parent Loop BB119_2 Depth=1
                                        ; =>  This Inner Loop Header: Depth=2
	s_delay_alu instid0(VALU_DEP_1) | instskip(NEXT) | instid1(VALU_DEP_1)
	v_sub_nc_u32_e32 v63, v62, v61
	v_lshrrev_b32_e32 v63, 1, v63
	s_delay_alu instid0(VALU_DEP_1) | instskip(NEXT) | instid1(VALU_DEP_1)
	v_add_nc_u32_e32 v63, v63, v61
	v_xad_u32 v64, v63, -1, v16
	v_add_nc_u32_e32 v66, 1, v63
	ds_load_u8 v65, v63
	ds_load_u8 v64, v64
	s_wait_dscnt 0x0
	v_cmp_lt_u16_e64 s8, v64, v65
	s_wait_alu 0xf1ff
	s_delay_alu instid0(VALU_DEP_1) | instskip(SKIP_1) | instid1(VALU_DEP_1)
	v_cndmask_b32_e64 v62, v62, v63, s8
	v_cndmask_b32_e64 v61, v66, v61, s8
	v_cmp_ge_i32_e64 s8, v61, v62
	s_wait_alu 0xfffe
	s_or_b32 s10, s8, s10
	s_wait_alu 0xfffe
	s_and_not1_b32 exec_lo, exec_lo, s10
	s_cbranch_execnz .LBB119_260
; %bb.261:                              ;   in Loop: Header=BB119_2 Depth=1
	s_or_b32 exec_lo, exec_lo, s10
.LBB119_262:                            ;   in Loop: Header=BB119_2 Depth=1
	s_wait_alu 0xfffe
	s_or_b32 exec_lo, exec_lo, s9
	v_sub_nc_u32_e32 v62, v16, v61
	v_cmp_le_i32_e64 s8, 0x800, v61
	ds_load_u8 v63, v61
	ds_load_u8 v64, v62
	v_cmp_gt_i32_e64 s10, 0x1000, v62
	s_wait_dscnt 0x1
	v_and_b32_e32 v65, 0xff, v63
	s_wait_dscnt 0x0
	v_and_b32_e32 v66, 0xff, v64
	s_delay_alu instid0(VALU_DEP_1)
	v_cmp_lt_u16_e64 s9, v66, v65
                                        ; implicit-def: $vgpr65
	s_or_b32 s8, s8, s9
	s_wait_alu 0xfffe
	s_and_b32 s8, s10, s8
	s_wait_alu 0xfffe
	s_xor_b32 s9, s8, -1
	s_wait_alu 0xfffe
	s_and_saveexec_b32 s10, s9
	s_wait_alu 0xfffe
	s_xor_b32 s9, exec_lo, s10
; %bb.263:                              ;   in Loop: Header=BB119_2 Depth=1
	ds_load_u8 v65, v61 offset:1
; %bb.264:                              ;   in Loop: Header=BB119_2 Depth=1
	s_wait_alu 0xfffe
	s_or_saveexec_b32 s9, s9
	v_mov_b32_e32 v68, v64
	s_wait_alu 0xfffe
	s_xor_b32 exec_lo, exec_lo, s9
	s_cbranch_execz .LBB119_266
; %bb.265:                              ;   in Loop: Header=BB119_2 Depth=1
	ds_load_u8 v68, v62 offset:1
	s_wait_dscnt 0x1
	v_mov_b32_e32 v65, v63
.LBB119_266:                            ;   in Loop: Header=BB119_2 Depth=1
	s_or_b32 exec_lo, exec_lo, s9
	v_add_nc_u32_e32 v66, 1, v61
	v_add_nc_u32_e32 v67, 1, v62
	s_wait_dscnt 0x0
	v_and_b32_e32 v69, 0xff, v65
	v_and_b32_e32 v70, 0xff, v68
	v_cndmask_b32_e64 v66, v66, v61, s8
	v_cndmask_b32_e64 v67, v62, v67, s8
	s_delay_alu instid0(VALU_DEP_3) | instskip(NEXT) | instid1(VALU_DEP_3)
	v_cmp_lt_u16_e64 s10, v70, v69
                                        ; implicit-def: $vgpr69
	v_cmp_le_i32_e64 s9, 0x800, v66
	s_delay_alu instid0(VALU_DEP_3)
	v_cmp_gt_i32_e64 s11, 0x1000, v67
	s_or_b32 s9, s9, s10
	s_wait_alu 0xfffe
	s_and_b32 s9, s11, s9
	s_wait_alu 0xfffe
	s_xor_b32 s10, s9, -1
	s_wait_alu 0xfffe
	s_and_saveexec_b32 s11, s10
	s_wait_alu 0xfffe
	s_xor_b32 s10, exec_lo, s11
; %bb.267:                              ;   in Loop: Header=BB119_2 Depth=1
	ds_load_u8 v69, v66 offset:1
; %bb.268:                              ;   in Loop: Header=BB119_2 Depth=1
	s_wait_alu 0xfffe
	s_or_saveexec_b32 s10, s10
	v_mov_b32_e32 v71, v68
	s_wait_alu 0xfffe
	s_xor_b32 exec_lo, exec_lo, s10
	s_cbranch_execz .LBB119_270
; %bb.269:                              ;   in Loop: Header=BB119_2 Depth=1
	ds_load_u8 v71, v67 offset:1
	s_wait_dscnt 0x1
	v_mov_b32_e32 v69, v65
.LBB119_270:                            ;   in Loop: Header=BB119_2 Depth=1
	s_or_b32 exec_lo, exec_lo, s10
	v_add_nc_u32_e32 v70, 1, v66
	v_add_nc_u32_e32 v72, 1, v67
	s_wait_dscnt 0x0
	v_and_b32_e32 v73, 0xff, v69
	v_and_b32_e32 v74, 0xff, v71
	v_cndmask_b32_e64 v70, v70, v66, s9
	v_cndmask_b32_e64 v72, v67, v72, s9
	s_delay_alu instid0(VALU_DEP_3) | instskip(NEXT) | instid1(VALU_DEP_3)
	v_cmp_lt_u16_e64 s11, v74, v73
                                        ; implicit-def: $vgpr73
	v_cmp_le_i32_e64 s10, 0x800, v70
	s_delay_alu instid0(VALU_DEP_3)
	v_cmp_gt_i32_e64 s12, 0x1000, v72
	s_or_b32 s10, s10, s11
	s_wait_alu 0xfffe
	s_and_b32 s10, s12, s10
	s_wait_alu 0xfffe
	s_xor_b32 s11, s10, -1
	s_wait_alu 0xfffe
	s_and_saveexec_b32 s12, s11
	s_wait_alu 0xfffe
	s_xor_b32 s11, exec_lo, s12
; %bb.271:                              ;   in Loop: Header=BB119_2 Depth=1
	ds_load_u8 v73, v70 offset:1
; %bb.272:                              ;   in Loop: Header=BB119_2 Depth=1
	s_wait_alu 0xfffe
	s_or_saveexec_b32 s11, s11
	v_mov_b32_e32 v74, v71
	s_wait_alu 0xfffe
	s_xor_b32 exec_lo, exec_lo, s11
	s_cbranch_execz .LBB119_274
; %bb.273:                              ;   in Loop: Header=BB119_2 Depth=1
	ds_load_u8 v74, v72 offset:1
	s_wait_dscnt 0x1
	v_mov_b32_e32 v73, v69
.LBB119_274:                            ;   in Loop: Header=BB119_2 Depth=1
	s_or_b32 exec_lo, exec_lo, s11
	v_add_nc_u32_e32 v75, 1, v70
	v_add_nc_u32_e32 v76, 1, v72
	s_wait_dscnt 0x0
	v_and_b32_e32 v77, 0xff, v73
	v_and_b32_e32 v78, 0xff, v74
	v_cndmask_b32_e64 v75, v75, v70, s10
	v_cndmask_b32_e64 v76, v72, v76, s10
	s_delay_alu instid0(VALU_DEP_3) | instskip(NEXT) | instid1(VALU_DEP_3)
	v_cmp_lt_u16_e64 s12, v78, v77
                                        ; implicit-def: $vgpr77
	v_cmp_le_i32_e64 s11, 0x800, v75
	s_delay_alu instid0(VALU_DEP_3)
	v_cmp_gt_i32_e64 s13, 0x1000, v76
	s_or_b32 s11, s11, s12
	s_wait_alu 0xfffe
	s_and_b32 s11, s13, s11
	s_wait_alu 0xfffe
	s_xor_b32 s12, s11, -1
	s_wait_alu 0xfffe
	s_and_saveexec_b32 s13, s12
	s_wait_alu 0xfffe
	s_xor_b32 s12, exec_lo, s13
; %bb.275:                              ;   in Loop: Header=BB119_2 Depth=1
	ds_load_u8 v77, v75 offset:1
; %bb.276:                              ;   in Loop: Header=BB119_2 Depth=1
	s_wait_alu 0xfffe
	s_or_saveexec_b32 s12, s12
	v_mov_b32_e32 v78, v74
	s_wait_alu 0xfffe
	s_xor_b32 exec_lo, exec_lo, s12
	s_cbranch_execz .LBB119_278
; %bb.277:                              ;   in Loop: Header=BB119_2 Depth=1
	ds_load_u8 v78, v76 offset:1
	s_wait_dscnt 0x1
	v_mov_b32_e32 v77, v73
.LBB119_278:                            ;   in Loop: Header=BB119_2 Depth=1
	s_or_b32 exec_lo, exec_lo, s12
	v_add_nc_u32_e32 v79, 1, v75
	v_add_nc_u32_e32 v80, 1, v76
	s_wait_dscnt 0x0
	v_and_b32_e32 v81, 0xff, v77
	v_and_b32_e32 v82, 0xff, v78
	v_cndmask_b32_e64 v79, v79, v75, s11
	v_cndmask_b32_e64 v80, v76, v80, s11
	s_delay_alu instid0(VALU_DEP_3) | instskip(NEXT) | instid1(VALU_DEP_3)
	v_cmp_lt_u16_e64 s13, v82, v81
                                        ; implicit-def: $vgpr81
	v_cmp_le_i32_e64 s12, 0x800, v79
	s_delay_alu instid0(VALU_DEP_3)
	v_cmp_gt_i32_e64 s14, 0x1000, v80
	s_or_b32 s12, s12, s13
	s_wait_alu 0xfffe
	s_and_b32 s12, s14, s12
	s_wait_alu 0xfffe
	s_xor_b32 s13, s12, -1
	s_wait_alu 0xfffe
	s_and_saveexec_b32 s14, s13
	s_wait_alu 0xfffe
	s_xor_b32 s13, exec_lo, s14
; %bb.279:                              ;   in Loop: Header=BB119_2 Depth=1
	ds_load_u8 v81, v79 offset:1
; %bb.280:                              ;   in Loop: Header=BB119_2 Depth=1
	s_wait_alu 0xfffe
	s_or_saveexec_b32 s13, s13
	v_mov_b32_e32 v82, v78
	s_wait_alu 0xfffe
	s_xor_b32 exec_lo, exec_lo, s13
	s_cbranch_execz .LBB119_282
; %bb.281:                              ;   in Loop: Header=BB119_2 Depth=1
	ds_load_u8 v82, v80 offset:1
	s_wait_dscnt 0x1
	v_mov_b32_e32 v81, v77
.LBB119_282:                            ;   in Loop: Header=BB119_2 Depth=1
	s_or_b32 exec_lo, exec_lo, s13
	v_add_nc_u32_e32 v83, 1, v79
	v_add_nc_u32_e32 v85, 1, v80
	s_wait_dscnt 0x0
	v_and_b32_e32 v86, 0xff, v81
	s_delay_alu instid0(VALU_DEP_3) | instskip(SKIP_2) | instid1(VALU_DEP_3)
	v_cndmask_b32_e64 v84, v83, v79, s12
	v_and_b32_e32 v83, 0xff, v82
	v_cndmask_b32_e64 v85, v80, v85, s12
	v_cmp_le_i32_e64 s13, 0x800, v84
	s_delay_alu instid0(VALU_DEP_3) | instskip(NEXT) | instid1(VALU_DEP_3)
	v_cmp_lt_u16_e64 s14, v83, v86
	v_cmp_gt_i32_e64 s15, 0x1000, v85
                                        ; implicit-def: $vgpr86
	s_or_b32 s13, s13, s14
	s_wait_alu 0xfffe
	s_and_b32 s13, s15, s13
	s_wait_alu 0xfffe
	s_xor_b32 s14, s13, -1
	s_wait_alu 0xfffe
	s_and_saveexec_b32 s15, s14
	s_wait_alu 0xfffe
	s_xor_b32 s14, exec_lo, s15
; %bb.283:                              ;   in Loop: Header=BB119_2 Depth=1
	ds_load_u8 v86, v84 offset:1
; %bb.284:                              ;   in Loop: Header=BB119_2 Depth=1
	s_wait_alu 0xfffe
	s_or_saveexec_b32 s14, s14
	v_mov_b32_e32 v89, v82
	s_wait_alu 0xfffe
	s_xor_b32 exec_lo, exec_lo, s14
	s_cbranch_execz .LBB119_286
; %bb.285:                              ;   in Loop: Header=BB119_2 Depth=1
	ds_load_u8 v89, v85 offset:1
	s_wait_dscnt 0x1
	v_mov_b32_e32 v86, v81
.LBB119_286:                            ;   in Loop: Header=BB119_2 Depth=1
	s_or_b32 exec_lo, exec_lo, s14
	v_add_nc_u32_e32 v83, 1, v84
	v_add_nc_u32_e32 v87, 1, v85
	s_wait_dscnt 0x0
	v_and_b32_e32 v88, 0xff, v86
	v_and_b32_e32 v90, 0xff, v89
                                        ; implicit-def: $vgpr91
	v_cndmask_b32_e64 v83, v83, v84, s13
	v_cndmask_b32_e64 v87, v85, v87, s13
	s_delay_alu instid0(VALU_DEP_3) | instskip(NEXT) | instid1(VALU_DEP_3)
	v_cmp_lt_u16_e64 s15, v90, v88
                                        ; implicit-def: $vgpr90
	v_cmp_le_i32_e64 s14, 0x800, v83
	s_delay_alu instid0(VALU_DEP_3)
	v_cmp_gt_i32_e64 s16, 0x1000, v87
	s_or_b32 s14, s14, s15
	s_wait_alu 0xfffe
	s_and_b32 s14, s16, s14
	s_wait_alu 0xfffe
	s_xor_b32 s15, s14, -1
	s_wait_alu 0xfffe
	s_and_saveexec_b32 s16, s15
	s_wait_alu 0xfffe
	s_xor_b32 s15, exec_lo, s16
; %bb.287:                              ;   in Loop: Header=BB119_2 Depth=1
	ds_load_u8 v91, v83 offset:1
	v_add_nc_u32_e32 v90, 1, v83
; %bb.288:                              ;   in Loop: Header=BB119_2 Depth=1
	s_wait_alu 0xfffe
	s_or_saveexec_b32 s15, s15
	v_mov_b32_e32 v88, v83
	v_mov_b32_e32 v92, v89
	s_wait_alu 0xfffe
	s_xor_b32 exec_lo, exec_lo, s15
	s_cbranch_execz .LBB119_1
; %bb.289:                              ;   in Loop: Header=BB119_2 Depth=1
	ds_load_u8 v92, v87 offset:1
	s_wait_dscnt 0x1
	v_dual_mov_b32 v88, v87 :: v_dual_add_nc_u32 v91, 1, v87
	s_delay_alu instid0(VALU_DEP_1)
	v_dual_mov_b32 v90, v83 :: v_dual_mov_b32 v87, v91
	v_mov_b32_e32 v91, v86
	s_branch .LBB119_1
.LBB119_290:
	s_add_nc_u64 s[0:1], s[46:47], s[48:49]
	v_add_nc_u16 v2, v83, v58
	s_wait_alu 0xfffe
	v_add_co_u32 v0, s0, s0, v0
	s_wait_alu 0xf1ff
	v_add_co_ci_u32_e64 v1, null, s1, 0, s0
	v_add_nc_u16 v5, v68, v62
	v_add_nc_u16 v6, v69, v66
	;; [unrolled: 1-line block ×7, first 2 shown]
	s_clause 0x7
	global_store_b8 v[0:1], v2, off
	global_store_b8 v[0:1], v5, off offset:512
	global_store_b8 v[0:1], v6, off offset:1024
	;; [unrolled: 1-line block ×7, first 2 shown]
	s_endpgm
	.section	.rodata,"a",@progbits
	.p2align	6, 0x0
	.amdhsa_kernel _Z17sort_pairs_kernelIhLj512ELj8EN10test_utils4lessELj10EEvPKT_PS2_T2_
		.amdhsa_group_segment_fixed_size 4097
		.amdhsa_private_segment_fixed_size 0
		.amdhsa_kernarg_size 20
		.amdhsa_user_sgpr_count 2
		.amdhsa_user_sgpr_dispatch_ptr 0
		.amdhsa_user_sgpr_queue_ptr 0
		.amdhsa_user_sgpr_kernarg_segment_ptr 1
		.amdhsa_user_sgpr_dispatch_id 0
		.amdhsa_user_sgpr_private_segment_size 0
		.amdhsa_wavefront_size32 1
		.amdhsa_uses_dynamic_stack 0
		.amdhsa_enable_private_segment 0
		.amdhsa_system_sgpr_workgroup_id_x 1
		.amdhsa_system_sgpr_workgroup_id_y 0
		.amdhsa_system_sgpr_workgroup_id_z 0
		.amdhsa_system_sgpr_workgroup_info 0
		.amdhsa_system_vgpr_workitem_id 0
		.amdhsa_next_free_vgpr 93
		.amdhsa_next_free_sgpr 51
		.amdhsa_reserve_vcc 1
		.amdhsa_float_round_mode_32 0
		.amdhsa_float_round_mode_16_64 0
		.amdhsa_float_denorm_mode_32 3
		.amdhsa_float_denorm_mode_16_64 3
		.amdhsa_fp16_overflow 0
		.amdhsa_workgroup_processor_mode 1
		.amdhsa_memory_ordered 1
		.amdhsa_forward_progress 1
		.amdhsa_inst_pref_size 166
		.amdhsa_round_robin_scheduling 0
		.amdhsa_exception_fp_ieee_invalid_op 0
		.amdhsa_exception_fp_denorm_src 0
		.amdhsa_exception_fp_ieee_div_zero 0
		.amdhsa_exception_fp_ieee_overflow 0
		.amdhsa_exception_fp_ieee_underflow 0
		.amdhsa_exception_fp_ieee_inexact 0
		.amdhsa_exception_int_div_zero 0
	.end_amdhsa_kernel
	.section	.text._Z17sort_pairs_kernelIhLj512ELj8EN10test_utils4lessELj10EEvPKT_PS2_T2_,"axG",@progbits,_Z17sort_pairs_kernelIhLj512ELj8EN10test_utils4lessELj10EEvPKT_PS2_T2_,comdat
.Lfunc_end119:
	.size	_Z17sort_pairs_kernelIhLj512ELj8EN10test_utils4lessELj10EEvPKT_PS2_T2_, .Lfunc_end119-_Z17sort_pairs_kernelIhLj512ELj8EN10test_utils4lessELj10EEvPKT_PS2_T2_
                                        ; -- End function
	.set _Z17sort_pairs_kernelIhLj512ELj8EN10test_utils4lessELj10EEvPKT_PS2_T2_.num_vgpr, 93
	.set _Z17sort_pairs_kernelIhLj512ELj8EN10test_utils4lessELj10EEvPKT_PS2_T2_.num_agpr, 0
	.set _Z17sort_pairs_kernelIhLj512ELj8EN10test_utils4lessELj10EEvPKT_PS2_T2_.numbered_sgpr, 51
	.set _Z17sort_pairs_kernelIhLj512ELj8EN10test_utils4lessELj10EEvPKT_PS2_T2_.num_named_barrier, 0
	.set _Z17sort_pairs_kernelIhLj512ELj8EN10test_utils4lessELj10EEvPKT_PS2_T2_.private_seg_size, 0
	.set _Z17sort_pairs_kernelIhLj512ELj8EN10test_utils4lessELj10EEvPKT_PS2_T2_.uses_vcc, 1
	.set _Z17sort_pairs_kernelIhLj512ELj8EN10test_utils4lessELj10EEvPKT_PS2_T2_.uses_flat_scratch, 0
	.set _Z17sort_pairs_kernelIhLj512ELj8EN10test_utils4lessELj10EEvPKT_PS2_T2_.has_dyn_sized_stack, 0
	.set _Z17sort_pairs_kernelIhLj512ELj8EN10test_utils4lessELj10EEvPKT_PS2_T2_.has_recursion, 0
	.set _Z17sort_pairs_kernelIhLj512ELj8EN10test_utils4lessELj10EEvPKT_PS2_T2_.has_indirect_call, 0
	.section	.AMDGPU.csdata,"",@progbits
; Kernel info:
; codeLenInByte = 21160
; TotalNumSgprs: 53
; NumVgprs: 93
; ScratchSize: 0
; MemoryBound: 0
; FloatMode: 240
; IeeeMode: 1
; LDSByteSize: 4097 bytes/workgroup (compile time only)
; SGPRBlocks: 0
; VGPRBlocks: 11
; NumSGPRsForWavesPerEU: 53
; NumVGPRsForWavesPerEU: 93
; Occupancy: 16
; WaveLimiterHint : 1
; COMPUTE_PGM_RSRC2:SCRATCH_EN: 0
; COMPUTE_PGM_RSRC2:USER_SGPR: 2
; COMPUTE_PGM_RSRC2:TRAP_HANDLER: 0
; COMPUTE_PGM_RSRC2:TGID_X_EN: 1
; COMPUTE_PGM_RSRC2:TGID_Y_EN: 0
; COMPUTE_PGM_RSRC2:TGID_Z_EN: 0
; COMPUTE_PGM_RSRC2:TIDIG_COMP_CNT: 0
	.section	.text._Z16sort_keys_kernelIxLj64ELj1EN10test_utils4lessELj10EEvPKT_PS2_T2_,"axG",@progbits,_Z16sort_keys_kernelIxLj64ELj1EN10test_utils4lessELj10EEvPKT_PS2_T2_,comdat
	.protected	_Z16sort_keys_kernelIxLj64ELj1EN10test_utils4lessELj10EEvPKT_PS2_T2_ ; -- Begin function _Z16sort_keys_kernelIxLj64ELj1EN10test_utils4lessELj10EEvPKT_PS2_T2_
	.globl	_Z16sort_keys_kernelIxLj64ELj1EN10test_utils4lessELj10EEvPKT_PS2_T2_
	.p2align	8
	.type	_Z16sort_keys_kernelIxLj64ELj1EN10test_utils4lessELj10EEvPKT_PS2_T2_,@function
_Z16sort_keys_kernelIxLj64ELj1EN10test_utils4lessELj10EEvPKT_PS2_T2_: ; @_Z16sort_keys_kernelIxLj64ELj1EN10test_utils4lessELj10EEvPKT_PS2_T2_
; %bb.0:
	s_load_b128 s[8:11], s[0:1], 0x0
	s_lshl_b32 s12, ttmp9, 6
	s_mov_b32 s13, 0
	v_lshlrev_b32_e32 v3, 3, v0
	s_lshl_b64 s[14:15], s[12:13], 3
	v_and_b32_e32 v15, 60, v0
	v_and_b32_e32 v21, 56, v0
	;; [unrolled: 1-line block ×5, first 2 shown]
	v_or_b32_e32 v38, 2, v15
	v_add_nc_u32_e32 v6, 4, v15
	v_or_b32_e32 v40, 4, v21
	v_add_nc_u32_e32 v12, 8, v21
	;; [unrolled: 2-line block ×4, first 2 shown]
	v_and_b32_e32 v37, 1, v0
	v_or_b32_e32 v4, 1, v9
	s_wait_kmcnt 0x0
	s_add_nc_u64 s[0:1], s[8:9], s[14:15]
	v_and_b32_e32 v39, 3, v0
	global_load_b64 v[1:2], v3, s[0:1]
	v_sub_nc_u32_e32 v13, v6, v38
	v_and_b32_e32 v41, 7, v0
	v_sub_nc_u32_e32 v19, v12, v40
	v_and_b32_e32 v43, 15, v0
	;; [unrolled: 2-line block ×3, first 2 shown]
	v_sub_nc_u32_e32 v29, v22, v44
	v_add_nc_u32_e32 v7, -1, v37
	v_sub_nc_u32_e32 v5, v4, v9
	v_cmp_lt_i32_e32 vcc_lo, 0, v37
	v_sub_nc_u32_e32 v14, v39, v13
	v_sub_nc_u32_e32 v11, v38, v15
	v_cmp_ge_i32_e64 s0, v39, v13
	v_sub_nc_u32_e32 v20, v41, v19
	v_sub_nc_u32_e32 v17, v40, v21
	v_cmp_ge_i32_e64 s1, v41, v19
	;; [unrolled: 3-line block ×4, first 2 shown]
	v_dual_cndmask_b32 v7, 0, v7 :: v_dual_add_nc_u32 v10, v4, v37
	v_min_i32_e32 v8, v37, v5
	v_cndmask_b32_e64 v13, 0, v14, s0
	v_min_i32_e32 v14, v39, v11
	v_add_nc_u32_e32 v16, v38, v39
	v_cndmask_b32_e64 v19, 0, v20, s1
	v_min_i32_e32 v20, v41, v17
	v_cndmask_b32_e64 v24, 0, v25, s2
	v_min_i32_e32 v25, v43, v23
	v_add_nc_u32_e32 v26, v40, v41
	v_cndmask_b32_e64 v29, 0, v30, s3
	v_min_i32_e32 v30, v45, v27
	v_sub_nc_u32_e64 v31, v0, 32 clamp
	v_min_i32_e32 v32, 32, v0
	v_add_nc_u32_e32 v33, v42, v43
	v_add_nc_u32_e32 v35, v44, v45
	v_lshlrev_b32_e32 v37, 3, v37
	v_lshlrev_b32_e32 v39, 3, v39
	;; [unrolled: 1-line block ×7, first 2 shown]
	v_cmp_lt_i32_e64 s0, v13, v14
	v_lshlrev_b32_e32 v21, 3, v21
	v_cmp_lt_i32_e64 s1, v19, v20
	v_lshlrev_b32_e32 v28, 3, v28
	;; [unrolled: 2-line block ×3, first 2 shown]
	v_cmp_lt_i32_e64 s3, v29, v30
	v_cmp_lt_i32_e64 s4, v31, v32
	v_add_nc_u32_e32 v36, 32, v0
	v_lshl_add_u32 v37, v4, 3, v37
	v_lshl_add_u32 v38, v38, 3, v39
	;; [unrolled: 1-line block ×5, first 2 shown]
	v_add_nc_u32_e32 v42, 0x100, v3
	v_cmp_lt_i32_e32 vcc_lo, v7, v8
	s_branch .LBB120_2
.LBB120_1:                              ;   in Loop: Header=BB120_2 Depth=1
	s_or_b32 exec_lo, exec_lo, s6
	v_sub_nc_u32_e32 v2, v36, v1
	v_lshlrev_b32_e32 v43, 3, v1
	v_cmp_le_i32_e64 s6, 32, v1
	s_add_co_i32 s13, s13, 1
	v_lshlrev_b32_e32 v45, 3, v2
	v_cmp_gt_i32_e64 s7, 64, v2
	ds_load_b64 v[43:44], v43
	ds_load_b64 v[45:46], v45
	s_wait_dscnt 0x0
	v_cmp_lt_i64_e64 s5, v[45:46], v[43:44]
	s_or_b32 s5, s6, s5
	s_wait_alu 0xfffe
	s_and_b32 s5, s7, s5
	s_cmp_eq_u32 s13, 10
	s_wait_alu 0xfffe
	v_cndmask_b32_e64 v2, v44, v46, s5
	v_cndmask_b32_e64 v1, v43, v45, s5
	s_cbranch_scc1 .LBB120_26
.LBB120_2:                              ; =>This Loop Header: Depth=1
                                        ;     Child Loop BB120_4 Depth 2
                                        ;     Child Loop BB120_8 Depth 2
	;; [unrolled: 1-line block ×6, first 2 shown]
	s_wait_loadcnt 0x0
	s_barrier_signal -1
	s_barrier_wait -1
	global_inv scope:SCOPE_SE
	ds_store_b64 v3, v[1:2]
	v_mov_b32_e32 v1, v7
	s_wait_loadcnt_dscnt 0x0
	s_barrier_signal -1
	s_barrier_wait -1
	global_inv scope:SCOPE_SE
	s_and_saveexec_b32 s6, vcc_lo
	s_cbranch_execz .LBB120_6
; %bb.3:                                ;   in Loop: Header=BB120_2 Depth=1
	v_dual_mov_b32 v1, v7 :: v_dual_mov_b32 v2, v8
	s_mov_b32 s7, 0
.LBB120_4:                              ;   Parent Loop BB120_2 Depth=1
                                        ; =>  This Inner Loop Header: Depth=2
	s_delay_alu instid0(VALU_DEP_1) | instskip(NEXT) | instid1(VALU_DEP_1)
	v_sub_nc_u32_e32 v43, v2, v1
	v_lshrrev_b32_e32 v43, 1, v43
	s_delay_alu instid0(VALU_DEP_1) | instskip(NEXT) | instid1(VALU_DEP_1)
	v_add_nc_u32_e32 v47, v43, v1
	v_not_b32_e32 v43, v47
	v_lshl_add_u32 v44, v47, 3, v9
	s_delay_alu instid0(VALU_DEP_2)
	v_lshl_add_u32 v45, v43, 3, v37
	ds_load_b64 v[43:44], v44
	ds_load_b64 v[45:46], v45
	s_wait_dscnt 0x0
	v_cmp_lt_i64_e64 s5, v[45:46], v[43:44]
	v_add_nc_u32_e32 v43, 1, v47
	s_wait_alu 0xf1ff
	s_delay_alu instid0(VALU_DEP_2) | instskip(NEXT) | instid1(VALU_DEP_2)
	v_cndmask_b32_e64 v2, v2, v47, s5
	v_cndmask_b32_e64 v1, v43, v1, s5
	s_delay_alu instid0(VALU_DEP_1) | instskip(SKIP_1) | instid1(SALU_CYCLE_1)
	v_cmp_ge_i32_e64 s5, v1, v2
	s_or_b32 s7, s5, s7
	s_and_not1_b32 exec_lo, exec_lo, s7
	s_cbranch_execnz .LBB120_4
; %bb.5:                                ;   in Loop: Header=BB120_2 Depth=1
	s_or_b32 exec_lo, exec_lo, s7
.LBB120_6:                              ;   in Loop: Header=BB120_2 Depth=1
	s_delay_alu instid0(SALU_CYCLE_1) | instskip(SKIP_4) | instid1(VALU_DEP_4)
	s_or_b32 exec_lo, exec_lo, s6
	v_sub_nc_u32_e32 v2, v10, v1
	v_lshl_add_u32 v43, v1, 3, v9
	v_cmp_ge_i32_e64 s6, v1, v5
	v_mov_b32_e32 v1, v13
	v_lshlrev_b32_e32 v45, 3, v2
	v_cmp_ge_i32_e64 s7, v4, v2
	ds_load_b64 v[43:44], v43
	ds_load_b64 v[45:46], v45
	s_wait_loadcnt_dscnt 0x0
	s_barrier_signal -1
	s_barrier_wait -1
	global_inv scope:SCOPE_SE
	v_cmp_lt_i64_e64 s5, v[45:46], v[43:44]
	s_or_b32 s5, s6, s5
	s_wait_alu 0xfffe
	s_and_b32 s5, s7, s5
	s_wait_alu 0xfffe
	v_cndmask_b32_e64 v44, v44, v46, s5
	v_cndmask_b32_e64 v43, v43, v45, s5
	ds_store_b64 v3, v[43:44]
	s_wait_loadcnt_dscnt 0x0
	s_barrier_signal -1
	s_barrier_wait -1
	global_inv scope:SCOPE_SE
	s_and_saveexec_b32 s6, s0
	s_cbranch_execz .LBB120_10
; %bb.7:                                ;   in Loop: Header=BB120_2 Depth=1
	v_dual_mov_b32 v1, v13 :: v_dual_mov_b32 v2, v14
	s_mov_b32 s7, 0
.LBB120_8:                              ;   Parent Loop BB120_2 Depth=1
                                        ; =>  This Inner Loop Header: Depth=2
	s_delay_alu instid0(VALU_DEP_1) | instskip(NEXT) | instid1(VALU_DEP_1)
	v_sub_nc_u32_e32 v43, v2, v1
	v_lshrrev_b32_e32 v43, 1, v43
	s_delay_alu instid0(VALU_DEP_1) | instskip(NEXT) | instid1(VALU_DEP_1)
	v_add_nc_u32_e32 v47, v43, v1
	v_not_b32_e32 v43, v47
	v_lshl_add_u32 v44, v47, 3, v15
	s_delay_alu instid0(VALU_DEP_2)
	v_lshl_add_u32 v45, v43, 3, v38
	ds_load_b64 v[43:44], v44
	ds_load_b64 v[45:46], v45
	s_wait_dscnt 0x0
	v_cmp_lt_i64_e64 s5, v[45:46], v[43:44]
	v_add_nc_u32_e32 v43, 1, v47
	s_wait_alu 0xf1ff
	s_delay_alu instid0(VALU_DEP_2) | instskip(NEXT) | instid1(VALU_DEP_2)
	v_cndmask_b32_e64 v2, v2, v47, s5
	v_cndmask_b32_e64 v1, v43, v1, s5
	s_delay_alu instid0(VALU_DEP_1) | instskip(SKIP_1) | instid1(SALU_CYCLE_1)
	v_cmp_ge_i32_e64 s5, v1, v2
	s_or_b32 s7, s5, s7
	s_and_not1_b32 exec_lo, exec_lo, s7
	s_cbranch_execnz .LBB120_8
; %bb.9:                                ;   in Loop: Header=BB120_2 Depth=1
	s_or_b32 exec_lo, exec_lo, s7
.LBB120_10:                             ;   in Loop: Header=BB120_2 Depth=1
	s_delay_alu instid0(SALU_CYCLE_1) | instskip(SKIP_4) | instid1(VALU_DEP_4)
	s_or_b32 exec_lo, exec_lo, s6
	v_sub_nc_u32_e32 v2, v16, v1
	v_lshl_add_u32 v43, v1, 3, v15
	v_cmp_ge_i32_e64 s6, v1, v11
	v_mov_b32_e32 v1, v19
	v_lshlrev_b32_e32 v45, 3, v2
	v_cmp_gt_i32_e64 s7, v6, v2
	ds_load_b64 v[43:44], v43
	ds_load_b64 v[45:46], v45
	s_wait_loadcnt_dscnt 0x0
	s_barrier_signal -1
	s_barrier_wait -1
	global_inv scope:SCOPE_SE
	v_cmp_lt_i64_e64 s5, v[45:46], v[43:44]
	s_or_b32 s5, s6, s5
	s_wait_alu 0xfffe
	s_and_b32 s5, s7, s5
	s_wait_alu 0xfffe
	v_cndmask_b32_e64 v44, v44, v46, s5
	v_cndmask_b32_e64 v43, v43, v45, s5
	ds_store_b64 v3, v[43:44]
	s_wait_loadcnt_dscnt 0x0
	s_barrier_signal -1
	s_barrier_wait -1
	global_inv scope:SCOPE_SE
	s_and_saveexec_b32 s6, s1
	s_cbranch_execz .LBB120_14
; %bb.11:                               ;   in Loop: Header=BB120_2 Depth=1
	v_dual_mov_b32 v1, v19 :: v_dual_mov_b32 v2, v20
	s_mov_b32 s7, 0
.LBB120_12:                             ;   Parent Loop BB120_2 Depth=1
                                        ; =>  This Inner Loop Header: Depth=2
	s_delay_alu instid0(VALU_DEP_1) | instskip(NEXT) | instid1(VALU_DEP_1)
	v_sub_nc_u32_e32 v43, v2, v1
	v_lshrrev_b32_e32 v43, 1, v43
	s_delay_alu instid0(VALU_DEP_1) | instskip(NEXT) | instid1(VALU_DEP_1)
	v_add_nc_u32_e32 v47, v43, v1
	v_not_b32_e32 v43, v47
	v_lshl_add_u32 v44, v47, 3, v21
	s_delay_alu instid0(VALU_DEP_2)
	v_lshl_add_u32 v45, v43, 3, v39
	ds_load_b64 v[43:44], v44
	ds_load_b64 v[45:46], v45
	s_wait_dscnt 0x0
	v_cmp_lt_i64_e64 s5, v[45:46], v[43:44]
	v_add_nc_u32_e32 v43, 1, v47
	s_wait_alu 0xf1ff
	s_delay_alu instid0(VALU_DEP_2) | instskip(NEXT) | instid1(VALU_DEP_2)
	v_cndmask_b32_e64 v2, v2, v47, s5
	v_cndmask_b32_e64 v1, v43, v1, s5
	s_delay_alu instid0(VALU_DEP_1) | instskip(SKIP_1) | instid1(SALU_CYCLE_1)
	v_cmp_ge_i32_e64 s5, v1, v2
	s_or_b32 s7, s5, s7
	s_and_not1_b32 exec_lo, exec_lo, s7
	s_cbranch_execnz .LBB120_12
; %bb.13:                               ;   in Loop: Header=BB120_2 Depth=1
	s_or_b32 exec_lo, exec_lo, s7
.LBB120_14:                             ;   in Loop: Header=BB120_2 Depth=1
	s_delay_alu instid0(SALU_CYCLE_1) | instskip(SKIP_4) | instid1(VALU_DEP_4)
	s_or_b32 exec_lo, exec_lo, s6
	v_sub_nc_u32_e32 v2, v26, v1
	v_lshl_add_u32 v43, v1, 3, v21
	v_cmp_ge_i32_e64 s6, v1, v17
	v_mov_b32_e32 v1, v24
	v_lshlrev_b32_e32 v45, 3, v2
	v_cmp_gt_i32_e64 s7, v12, v2
	ds_load_b64 v[43:44], v43
	ds_load_b64 v[45:46], v45
	s_wait_loadcnt_dscnt 0x0
	s_barrier_signal -1
	s_barrier_wait -1
	global_inv scope:SCOPE_SE
	v_cmp_lt_i64_e64 s5, v[45:46], v[43:44]
	s_or_b32 s5, s6, s5
	s_wait_alu 0xfffe
	s_and_b32 s5, s7, s5
	s_wait_alu 0xfffe
	v_cndmask_b32_e64 v44, v44, v46, s5
	v_cndmask_b32_e64 v43, v43, v45, s5
	ds_store_b64 v3, v[43:44]
	s_wait_loadcnt_dscnt 0x0
	s_barrier_signal -1
	s_barrier_wait -1
	global_inv scope:SCOPE_SE
	s_and_saveexec_b32 s6, s2
	s_cbranch_execz .LBB120_18
; %bb.15:                               ;   in Loop: Header=BB120_2 Depth=1
	v_dual_mov_b32 v1, v24 :: v_dual_mov_b32 v2, v25
	s_mov_b32 s7, 0
.LBB120_16:                             ;   Parent Loop BB120_2 Depth=1
                                        ; =>  This Inner Loop Header: Depth=2
	s_delay_alu instid0(VALU_DEP_1) | instskip(NEXT) | instid1(VALU_DEP_1)
	v_sub_nc_u32_e32 v43, v2, v1
	v_lshrrev_b32_e32 v43, 1, v43
	s_delay_alu instid0(VALU_DEP_1) | instskip(NEXT) | instid1(VALU_DEP_1)
	v_add_nc_u32_e32 v47, v43, v1
	v_not_b32_e32 v43, v47
	v_lshl_add_u32 v44, v47, 3, v28
	s_delay_alu instid0(VALU_DEP_2)
	v_lshl_add_u32 v45, v43, 3, v40
	ds_load_b64 v[43:44], v44
	ds_load_b64 v[45:46], v45
	s_wait_dscnt 0x0
	v_cmp_lt_i64_e64 s5, v[45:46], v[43:44]
	v_add_nc_u32_e32 v43, 1, v47
	s_wait_alu 0xf1ff
	s_delay_alu instid0(VALU_DEP_2) | instskip(NEXT) | instid1(VALU_DEP_2)
	v_cndmask_b32_e64 v2, v2, v47, s5
	v_cndmask_b32_e64 v1, v43, v1, s5
	s_delay_alu instid0(VALU_DEP_1) | instskip(SKIP_1) | instid1(SALU_CYCLE_1)
	v_cmp_ge_i32_e64 s5, v1, v2
	s_or_b32 s7, s5, s7
	s_and_not1_b32 exec_lo, exec_lo, s7
	s_cbranch_execnz .LBB120_16
; %bb.17:                               ;   in Loop: Header=BB120_2 Depth=1
	s_or_b32 exec_lo, exec_lo, s7
.LBB120_18:                             ;   in Loop: Header=BB120_2 Depth=1
	;; [unrolled: 59-line block ×3, first 2 shown]
	s_delay_alu instid0(SALU_CYCLE_1) | instskip(SKIP_4) | instid1(VALU_DEP_4)
	s_or_b32 exec_lo, exec_lo, s6
	v_sub_nc_u32_e32 v2, v35, v1
	v_lshl_add_u32 v43, v1, 3, v34
	v_cmp_ge_i32_e64 s6, v1, v27
	v_mov_b32_e32 v1, v31
	v_lshlrev_b32_e32 v45, 3, v2
	v_cmp_gt_i32_e64 s7, v22, v2
	ds_load_b64 v[43:44], v43
	ds_load_b64 v[45:46], v45
	s_wait_loadcnt_dscnt 0x0
	s_barrier_signal -1
	s_barrier_wait -1
	global_inv scope:SCOPE_SE
	v_cmp_lt_i64_e64 s5, v[45:46], v[43:44]
	s_or_b32 s5, s6, s5
	s_wait_alu 0xfffe
	s_and_b32 s5, s7, s5
	s_wait_alu 0xfffe
	v_cndmask_b32_e64 v44, v44, v46, s5
	v_cndmask_b32_e64 v43, v43, v45, s5
	ds_store_b64 v3, v[43:44]
	s_wait_loadcnt_dscnt 0x0
	s_barrier_signal -1
	s_barrier_wait -1
	global_inv scope:SCOPE_SE
	s_and_saveexec_b32 s6, s4
	s_cbranch_execz .LBB120_1
; %bb.23:                               ;   in Loop: Header=BB120_2 Depth=1
	v_dual_mov_b32 v1, v31 :: v_dual_mov_b32 v2, v32
	s_mov_b32 s7, 0
.LBB120_24:                             ;   Parent Loop BB120_2 Depth=1
                                        ; =>  This Inner Loop Header: Depth=2
	s_delay_alu instid0(VALU_DEP_1) | instskip(NEXT) | instid1(VALU_DEP_1)
	v_sub_nc_u32_e32 v43, v2, v1
	v_lshrrev_b32_e32 v43, 1, v43
	s_delay_alu instid0(VALU_DEP_1) | instskip(NEXT) | instid1(VALU_DEP_1)
	v_add_nc_u32_e32 v47, v43, v1
	v_not_b32_e32 v43, v47
	v_lshlrev_b32_e32 v44, 3, v47
	s_delay_alu instid0(VALU_DEP_2)
	v_lshl_add_u32 v45, v43, 3, v42
	ds_load_b64 v[43:44], v44
	ds_load_b64 v[45:46], v45
	s_wait_dscnt 0x0
	v_cmp_lt_i64_e64 s5, v[45:46], v[43:44]
	v_add_nc_u32_e32 v43, 1, v47
	s_wait_alu 0xf1ff
	s_delay_alu instid0(VALU_DEP_2) | instskip(NEXT) | instid1(VALU_DEP_2)
	v_cndmask_b32_e64 v2, v2, v47, s5
	v_cndmask_b32_e64 v1, v43, v1, s5
	s_delay_alu instid0(VALU_DEP_1) | instskip(SKIP_1) | instid1(SALU_CYCLE_1)
	v_cmp_ge_i32_e64 s5, v1, v2
	s_or_b32 s7, s5, s7
	s_and_not1_b32 exec_lo, exec_lo, s7
	s_cbranch_execnz .LBB120_24
; %bb.25:                               ;   in Loop: Header=BB120_2 Depth=1
	s_or_b32 exec_lo, exec_lo, s7
	s_branch .LBB120_1
.LBB120_26:
	v_lshlrev_b32_e32 v0, 3, v0
	s_add_nc_u64 s[0:1], s[10:11], s[14:15]
	global_store_b64 v0, v[1:2], s[0:1]
	s_endpgm
	.section	.rodata,"a",@progbits
	.p2align	6, 0x0
	.amdhsa_kernel _Z16sort_keys_kernelIxLj64ELj1EN10test_utils4lessELj10EEvPKT_PS2_T2_
		.amdhsa_group_segment_fixed_size 520
		.amdhsa_private_segment_fixed_size 0
		.amdhsa_kernarg_size 20
		.amdhsa_user_sgpr_count 2
		.amdhsa_user_sgpr_dispatch_ptr 0
		.amdhsa_user_sgpr_queue_ptr 0
		.amdhsa_user_sgpr_kernarg_segment_ptr 1
		.amdhsa_user_sgpr_dispatch_id 0
		.amdhsa_user_sgpr_private_segment_size 0
		.amdhsa_wavefront_size32 1
		.amdhsa_uses_dynamic_stack 0
		.amdhsa_enable_private_segment 0
		.amdhsa_system_sgpr_workgroup_id_x 1
		.amdhsa_system_sgpr_workgroup_id_y 0
		.amdhsa_system_sgpr_workgroup_id_z 0
		.amdhsa_system_sgpr_workgroup_info 0
		.amdhsa_system_vgpr_workitem_id 0
		.amdhsa_next_free_vgpr 48
		.amdhsa_next_free_sgpr 16
		.amdhsa_reserve_vcc 1
		.amdhsa_float_round_mode_32 0
		.amdhsa_float_round_mode_16_64 0
		.amdhsa_float_denorm_mode_32 3
		.amdhsa_float_denorm_mode_16_64 3
		.amdhsa_fp16_overflow 0
		.amdhsa_workgroup_processor_mode 1
		.amdhsa_memory_ordered 1
		.amdhsa_forward_progress 1
		.amdhsa_inst_pref_size 18
		.amdhsa_round_robin_scheduling 0
		.amdhsa_exception_fp_ieee_invalid_op 0
		.amdhsa_exception_fp_denorm_src 0
		.amdhsa_exception_fp_ieee_div_zero 0
		.amdhsa_exception_fp_ieee_overflow 0
		.amdhsa_exception_fp_ieee_underflow 0
		.amdhsa_exception_fp_ieee_inexact 0
		.amdhsa_exception_int_div_zero 0
	.end_amdhsa_kernel
	.section	.text._Z16sort_keys_kernelIxLj64ELj1EN10test_utils4lessELj10EEvPKT_PS2_T2_,"axG",@progbits,_Z16sort_keys_kernelIxLj64ELj1EN10test_utils4lessELj10EEvPKT_PS2_T2_,comdat
.Lfunc_end120:
	.size	_Z16sort_keys_kernelIxLj64ELj1EN10test_utils4lessELj10EEvPKT_PS2_T2_, .Lfunc_end120-_Z16sort_keys_kernelIxLj64ELj1EN10test_utils4lessELj10EEvPKT_PS2_T2_
                                        ; -- End function
	.set _Z16sort_keys_kernelIxLj64ELj1EN10test_utils4lessELj10EEvPKT_PS2_T2_.num_vgpr, 48
	.set _Z16sort_keys_kernelIxLj64ELj1EN10test_utils4lessELj10EEvPKT_PS2_T2_.num_agpr, 0
	.set _Z16sort_keys_kernelIxLj64ELj1EN10test_utils4lessELj10EEvPKT_PS2_T2_.numbered_sgpr, 16
	.set _Z16sort_keys_kernelIxLj64ELj1EN10test_utils4lessELj10EEvPKT_PS2_T2_.num_named_barrier, 0
	.set _Z16sort_keys_kernelIxLj64ELj1EN10test_utils4lessELj10EEvPKT_PS2_T2_.private_seg_size, 0
	.set _Z16sort_keys_kernelIxLj64ELj1EN10test_utils4lessELj10EEvPKT_PS2_T2_.uses_vcc, 1
	.set _Z16sort_keys_kernelIxLj64ELj1EN10test_utils4lessELj10EEvPKT_PS2_T2_.uses_flat_scratch, 0
	.set _Z16sort_keys_kernelIxLj64ELj1EN10test_utils4lessELj10EEvPKT_PS2_T2_.has_dyn_sized_stack, 0
	.set _Z16sort_keys_kernelIxLj64ELj1EN10test_utils4lessELj10EEvPKT_PS2_T2_.has_recursion, 0
	.set _Z16sort_keys_kernelIxLj64ELj1EN10test_utils4lessELj10EEvPKT_PS2_T2_.has_indirect_call, 0
	.section	.AMDGPU.csdata,"",@progbits
; Kernel info:
; codeLenInByte = 2296
; TotalNumSgprs: 18
; NumVgprs: 48
; ScratchSize: 0
; MemoryBound: 0
; FloatMode: 240
; IeeeMode: 1
; LDSByteSize: 520 bytes/workgroup (compile time only)
; SGPRBlocks: 0
; VGPRBlocks: 5
; NumSGPRsForWavesPerEU: 18
; NumVGPRsForWavesPerEU: 48
; Occupancy: 16
; WaveLimiterHint : 0
; COMPUTE_PGM_RSRC2:SCRATCH_EN: 0
; COMPUTE_PGM_RSRC2:USER_SGPR: 2
; COMPUTE_PGM_RSRC2:TRAP_HANDLER: 0
; COMPUTE_PGM_RSRC2:TGID_X_EN: 1
; COMPUTE_PGM_RSRC2:TGID_Y_EN: 0
; COMPUTE_PGM_RSRC2:TGID_Z_EN: 0
; COMPUTE_PGM_RSRC2:TIDIG_COMP_CNT: 0
	.section	.text._Z17sort_pairs_kernelIxLj64ELj1EN10test_utils4lessELj10EEvPKT_PS2_T2_,"axG",@progbits,_Z17sort_pairs_kernelIxLj64ELj1EN10test_utils4lessELj10EEvPKT_PS2_T2_,comdat
	.protected	_Z17sort_pairs_kernelIxLj64ELj1EN10test_utils4lessELj10EEvPKT_PS2_T2_ ; -- Begin function _Z17sort_pairs_kernelIxLj64ELj1EN10test_utils4lessELj10EEvPKT_PS2_T2_
	.globl	_Z17sort_pairs_kernelIxLj64ELj1EN10test_utils4lessELj10EEvPKT_PS2_T2_
	.p2align	8
	.type	_Z17sort_pairs_kernelIxLj64ELj1EN10test_utils4lessELj10EEvPKT_PS2_T2_,@function
_Z17sort_pairs_kernelIxLj64ELj1EN10test_utils4lessELj10EEvPKT_PS2_T2_: ; @_Z17sort_pairs_kernelIxLj64ELj1EN10test_utils4lessELj10EEvPKT_PS2_T2_
; %bb.0:
	s_load_b128 s[8:11], s[0:1], 0x0
	s_lshl_b32 s14, ttmp9, 6
	s_mov_b32 s15, 0
	v_lshlrev_b32_e32 v5, 3, v0
	s_lshl_b64 s[12:13], s[14:15], 3
	v_and_b32_e32 v6, 62, v0
	v_and_b32_e32 v7, 60, v0
	;; [unrolled: 1-line block ×5, first 2 shown]
	v_or_b32_e32 v14, 1, v6
	v_or_b32_e32 v16, 2, v7
	v_add_nc_u32_e32 v17, 4, v7
	v_and_b32_e32 v9, 48, v0
	v_add_nc_u32_e32 v28, -1, v3
	v_or_b32_e32 v19, 4, v8
	v_add_nc_u32_e32 v20, 8, v8
	v_sub_nc_u32_e32 v39, v14, v6
	v_sub_nc_u32_e32 v44, v17, v16
	v_and_b32_e32 v45, 7, v0
	s_wait_kmcnt 0x0
	s_add_nc_u64 s[0:1], s[8:9], s[12:13]
	v_and_b32_e32 v10, 32, v0
	global_load_b64 v[1:2], v5, s[0:1]
	v_cmp_lt_i32_e64 s0, 0, v3
	v_or_b32_e32 v22, 8, v9
	v_add_nc_u32_e32 v23, 16, v9
	v_lshlrev_b32_e32 v34, 3, v3
	v_add_nc_u32_e32 v29, v14, v3
	v_cndmask_b32_e64 v28, 0, v28, s0
	v_sub_nc_u32_e32 v48, v20, v19
	v_min_i32_e32 v39, v3, v39
	v_sub_nc_u32_e32 v3, v4, v44
	v_cmp_ge_i32_e64 s0, v4, v44
	v_and_b32_e32 v46, 15, v0
	v_or_b32_e32 v25, 16, v10
	v_add_nc_u32_e32 v26, 32, v10
	v_sub_nc_u32_e32 v41, v19, v8
	v_sub_nc_u32_e32 v49, v23, v22
	;; [unrolled: 1-line block ×3, first 2 shown]
	s_wait_alu 0xf1ff
	v_cndmask_b32_e64 v44, 0, v3, s0
	v_cmp_ge_i32_e64 s0, v45, v48
	v_and_b32_e32 v47, 31, v0
	v_lshlrev_b32_e32 v36, 3, v45
	v_add_nc_u32_e32 v31, v19, v45
	v_sub_nc_u32_e32 v42, v22, v9
	v_sub_nc_u32_e32 v50, v26, v25
	v_min_i32_e32 v41, v45, v41
	v_sub_nc_u32_e32 v52, v46, v49
	s_wait_alu 0xf1ff
	v_cndmask_b32_e64 v45, 0, v51, s0
	v_cmp_ge_i32_e64 s0, v46, v49
	v_lshlrev_b32_e32 v37, 3, v46
	v_sub_nc_u32_e32 v40, v16, v7
	v_add_nc_u32_e32 v32, v22, v46
	v_sub_nc_u32_e32 v43, v25, v10
	v_min_i32_e32 v42, v46, v42
	v_sub_nc_u32_e32 v53, v47, v50
	s_wait_alu 0xf1ff
	v_cndmask_b32_e64 v46, 0, v52, s0
	v_cmp_ge_i32_e64 s0, v47, v50
	v_lshlrev_b32_e32 v35, 3, v4
	v_lshlrev_b32_e32 v38, 3, v47
	v_add_nc_u32_e32 v33, v25, v47
	v_min_i32_e32 v40, v4, v40
	v_min_i32_e32 v43, v47, v43
	s_wait_alu 0xf1ff
	v_cndmask_b32_e64 v47, 0, v53, s0
	v_sub_nc_u32_e64 v11, v0, 32 clamp
	v_min_i32_e32 v12, 32, v0
	v_add_nc_u32_e32 v13, 32, v0
	v_lshlrev_b32_e32 v15, 3, v6
	v_lshlrev_b32_e32 v18, 3, v7
	;; [unrolled: 1-line block ×5, first 2 shown]
	v_add_nc_u32_e32 v30, v16, v4
	v_lshl_add_u32 v34, v14, 3, v34
	v_lshl_add_u32 v35, v16, 3, v35
	;; [unrolled: 1-line block ×5, first 2 shown]
	v_cmp_lt_i32_e64 s0, v28, v39
	v_cmp_lt_i32_e64 s1, v44, v40
	;; [unrolled: 1-line block ×5, first 2 shown]
	v_add_nc_u32_e32 v48, 0x100, v5
	v_cmp_lt_i32_e32 vcc_lo, v11, v12
	s_wait_loadcnt 0x0
	v_add_co_u32 v3, s5, v1, 1
	s_delay_alu instid0(VALU_DEP_1)
	v_add_co_ci_u32_e64 v4, null, 0, v2, s5
	s_branch .LBB121_2
.LBB121_1:                              ;   in Loop: Header=BB121_2 Depth=1
	s_or_b32 exec_lo, exec_lo, s6
	v_sub_nc_u32_e32 v53, v13, v1
	v_lshlrev_b32_e32 v2, 3, v1
	v_cmp_le_i32_e64 s6, 32, v1
	s_add_co_i32 s15, s15, 1
	v_lshlrev_b32_e32 v51, 3, v53
	v_cmp_gt_i32_e64 s7, 64, v53
	ds_load_b64 v[49:50], v2
	ds_load_b64 v[51:52], v51
	s_wait_loadcnt_dscnt 0x0
	s_barrier_signal -1
	s_barrier_wait -1
	global_inv scope:SCOPE_SE
	ds_store_b64 v5, v[3:4]
	s_wait_loadcnt_dscnt 0x0
	s_barrier_signal -1
	s_barrier_wait -1
	global_inv scope:SCOPE_SE
	v_cmp_lt_i64_e64 s5, v[51:52], v[49:50]
	s_or_b32 s5, s6, s5
	s_wait_alu 0xfffe
	s_and_b32 s5, s7, s5
	s_cmp_eq_u32 s15, 10
	s_wait_alu 0xfffe
	v_cndmask_b32_e64 v1, v1, v53, s5
	v_cndmask_b32_e64 v2, v50, v52, s5
	s_delay_alu instid0(VALU_DEP_2)
	v_lshlrev_b32_e32 v1, 3, v1
	ds_load_b64 v[3:4], v1
	v_cndmask_b32_e64 v1, v49, v51, s5
	s_cbranch_scc1 .LBB121_26
.LBB121_2:                              ; =>This Loop Header: Depth=1
                                        ;     Child Loop BB121_4 Depth 2
                                        ;     Child Loop BB121_8 Depth 2
	;; [unrolled: 1-line block ×6, first 2 shown]
	s_barrier_signal -1
	s_barrier_wait -1
	global_inv scope:SCOPE_SE
	ds_store_b64 v5, v[1:2]
	v_mov_b32_e32 v1, v28
	s_wait_loadcnt_dscnt 0x0
	s_barrier_signal -1
	s_barrier_wait -1
	global_inv scope:SCOPE_SE
	s_and_saveexec_b32 s6, s0
	s_cbranch_execz .LBB121_6
; %bb.3:                                ;   in Loop: Header=BB121_2 Depth=1
	v_dual_mov_b32 v1, v28 :: v_dual_mov_b32 v2, v39
	s_mov_b32 s7, 0
.LBB121_4:                              ;   Parent Loop BB121_2 Depth=1
                                        ; =>  This Inner Loop Header: Depth=2
	s_delay_alu instid0(VALU_DEP_1) | instskip(NEXT) | instid1(VALU_DEP_1)
	v_sub_nc_u32_e32 v49, v2, v1
	v_lshrrev_b32_e32 v49, 1, v49
	s_delay_alu instid0(VALU_DEP_1) | instskip(NEXT) | instid1(VALU_DEP_1)
	v_add_nc_u32_e32 v53, v49, v1
	v_not_b32_e32 v49, v53
	v_lshl_add_u32 v50, v53, 3, v15
	s_delay_alu instid0(VALU_DEP_2)
	v_lshl_add_u32 v51, v49, 3, v34
	ds_load_b64 v[49:50], v50
	ds_load_b64 v[51:52], v51
	s_wait_dscnt 0x0
	v_cmp_lt_i64_e64 s5, v[51:52], v[49:50]
	v_add_nc_u32_e32 v49, 1, v53
	s_wait_alu 0xf1ff
	s_delay_alu instid0(VALU_DEP_2) | instskip(NEXT) | instid1(VALU_DEP_2)
	v_cndmask_b32_e64 v2, v2, v53, s5
	v_cndmask_b32_e64 v1, v49, v1, s5
	s_delay_alu instid0(VALU_DEP_1) | instskip(SKIP_1) | instid1(SALU_CYCLE_1)
	v_cmp_ge_i32_e64 s5, v1, v2
	s_or_b32 s7, s5, s7
	s_and_not1_b32 exec_lo, exec_lo, s7
	s_cbranch_execnz .LBB121_4
; %bb.5:                                ;   in Loop: Header=BB121_2 Depth=1
	s_or_b32 exec_lo, exec_lo, s7
.LBB121_6:                              ;   in Loop: Header=BB121_2 Depth=1
	s_delay_alu instid0(SALU_CYCLE_1) | instskip(SKIP_3) | instid1(VALU_DEP_3)
	s_or_b32 exec_lo, exec_lo, s6
	v_sub_nc_u32_e32 v2, v29, v1
	v_lshl_add_u32 v49, v1, 3, v15
	v_add_nc_u32_e32 v1, v1, v6
	v_lshlrev_b32_e32 v51, 3, v2
	v_cmp_ge_i32_e64 s7, v14, v2
	s_delay_alu instid0(VALU_DEP_3)
	v_cmp_le_i32_e64 s6, v14, v1
	ds_load_b64 v[49:50], v49
	ds_load_b64 v[51:52], v51
	s_wait_loadcnt_dscnt 0x0
	s_barrier_signal -1
	s_barrier_wait -1
	global_inv scope:SCOPE_SE
	ds_store_b64 v5, v[3:4]
	s_wait_loadcnt_dscnt 0x0
	s_barrier_signal -1
	s_barrier_wait -1
	global_inv scope:SCOPE_SE
	v_mov_b32_e32 v3, v44
	v_cmp_lt_i64_e64 s5, v[51:52], v[49:50]
	s_or_b32 s5, s6, s5
	s_wait_alu 0xfffe
	s_and_b32 s5, s7, s5
	s_wait_alu 0xfffe
	v_cndmask_b32_e64 v1, v1, v2, s5
	v_cndmask_b32_e64 v50, v50, v52, s5
	;; [unrolled: 1-line block ×3, first 2 shown]
	s_delay_alu instid0(VALU_DEP_3)
	v_lshlrev_b32_e32 v1, 3, v1
	ds_load_b64 v[1:2], v1
	s_wait_loadcnt_dscnt 0x0
	s_barrier_signal -1
	s_barrier_wait -1
	global_inv scope:SCOPE_SE
	ds_store_b64 v5, v[49:50]
	s_wait_loadcnt_dscnt 0x0
	s_barrier_signal -1
	s_barrier_wait -1
	global_inv scope:SCOPE_SE
	s_and_saveexec_b32 s6, s1
	s_cbranch_execz .LBB121_10
; %bb.7:                                ;   in Loop: Header=BB121_2 Depth=1
	v_dual_mov_b32 v3, v44 :: v_dual_mov_b32 v4, v40
	s_mov_b32 s7, 0
.LBB121_8:                              ;   Parent Loop BB121_2 Depth=1
                                        ; =>  This Inner Loop Header: Depth=2
	s_delay_alu instid0(VALU_DEP_1) | instskip(NEXT) | instid1(VALU_DEP_1)
	v_sub_nc_u32_e32 v49, v4, v3
	v_lshrrev_b32_e32 v49, 1, v49
	s_delay_alu instid0(VALU_DEP_1) | instskip(NEXT) | instid1(VALU_DEP_1)
	v_add_nc_u32_e32 v53, v49, v3
	v_not_b32_e32 v49, v53
	v_lshl_add_u32 v50, v53, 3, v18
	s_delay_alu instid0(VALU_DEP_2)
	v_lshl_add_u32 v51, v49, 3, v35
	ds_load_b64 v[49:50], v50
	ds_load_b64 v[51:52], v51
	s_wait_dscnt 0x0
	v_cmp_lt_i64_e64 s5, v[51:52], v[49:50]
	v_add_nc_u32_e32 v49, 1, v53
	s_wait_alu 0xf1ff
	s_delay_alu instid0(VALU_DEP_2) | instskip(NEXT) | instid1(VALU_DEP_2)
	v_cndmask_b32_e64 v4, v4, v53, s5
	v_cndmask_b32_e64 v3, v49, v3, s5
	s_delay_alu instid0(VALU_DEP_1) | instskip(SKIP_1) | instid1(SALU_CYCLE_1)
	v_cmp_ge_i32_e64 s5, v3, v4
	s_or_b32 s7, s5, s7
	s_and_not1_b32 exec_lo, exec_lo, s7
	s_cbranch_execnz .LBB121_8
; %bb.9:                                ;   in Loop: Header=BB121_2 Depth=1
	s_or_b32 exec_lo, exec_lo, s7
.LBB121_10:                             ;   in Loop: Header=BB121_2 Depth=1
	s_delay_alu instid0(SALU_CYCLE_1) | instskip(SKIP_3) | instid1(VALU_DEP_3)
	s_or_b32 exec_lo, exec_lo, s6
	v_sub_nc_u32_e32 v53, v30, v3
	v_lshl_add_u32 v4, v3, 3, v18
	v_add_nc_u32_e32 v3, v3, v7
	v_lshlrev_b32_e32 v51, 3, v53
	v_cmp_gt_i32_e64 s7, v17, v53
	s_delay_alu instid0(VALU_DEP_3)
	v_cmp_le_i32_e64 s6, v16, v3
	ds_load_b64 v[49:50], v4
	ds_load_b64 v[51:52], v51
	s_wait_loadcnt_dscnt 0x0
	s_barrier_signal -1
	s_barrier_wait -1
	global_inv scope:SCOPE_SE
	ds_store_b64 v5, v[1:2]
	s_wait_loadcnt_dscnt 0x0
	s_barrier_signal -1
	s_barrier_wait -1
	global_inv scope:SCOPE_SE
	v_cmp_lt_i64_e64 s5, v[51:52], v[49:50]
	s_or_b32 s5, s6, s5
	s_wait_alu 0xfffe
	s_and_b32 s5, s7, s5
	s_wait_alu 0xfffe
	v_cndmask_b32_e64 v3, v3, v53, s5
	v_cndmask_b32_e64 v4, v50, v52, s5
	s_delay_alu instid0(VALU_DEP_2)
	v_lshlrev_b32_e32 v1, 3, v3
	v_cndmask_b32_e64 v3, v49, v51, s5
	ds_load_b64 v[1:2], v1
	s_wait_loadcnt_dscnt 0x0
	s_barrier_signal -1
	s_barrier_wait -1
	global_inv scope:SCOPE_SE
	ds_store_b64 v5, v[3:4]
	v_mov_b32_e32 v3, v45
	s_wait_loadcnt_dscnt 0x0
	s_barrier_signal -1
	s_barrier_wait -1
	global_inv scope:SCOPE_SE
	s_and_saveexec_b32 s6, s2
	s_cbranch_execz .LBB121_14
; %bb.11:                               ;   in Loop: Header=BB121_2 Depth=1
	v_dual_mov_b32 v3, v45 :: v_dual_mov_b32 v4, v41
	s_mov_b32 s7, 0
.LBB121_12:                             ;   Parent Loop BB121_2 Depth=1
                                        ; =>  This Inner Loop Header: Depth=2
	s_delay_alu instid0(VALU_DEP_1) | instskip(NEXT) | instid1(VALU_DEP_1)
	v_sub_nc_u32_e32 v49, v4, v3
	v_lshrrev_b32_e32 v49, 1, v49
	s_delay_alu instid0(VALU_DEP_1) | instskip(NEXT) | instid1(VALU_DEP_1)
	v_add_nc_u32_e32 v53, v49, v3
	v_not_b32_e32 v49, v53
	v_lshl_add_u32 v50, v53, 3, v21
	s_delay_alu instid0(VALU_DEP_2)
	v_lshl_add_u32 v51, v49, 3, v36
	ds_load_b64 v[49:50], v50
	ds_load_b64 v[51:52], v51
	s_wait_dscnt 0x0
	v_cmp_lt_i64_e64 s5, v[51:52], v[49:50]
	v_add_nc_u32_e32 v49, 1, v53
	s_wait_alu 0xf1ff
	s_delay_alu instid0(VALU_DEP_2) | instskip(NEXT) | instid1(VALU_DEP_2)
	v_cndmask_b32_e64 v4, v4, v53, s5
	v_cndmask_b32_e64 v3, v49, v3, s5
	s_delay_alu instid0(VALU_DEP_1) | instskip(SKIP_1) | instid1(SALU_CYCLE_1)
	v_cmp_ge_i32_e64 s5, v3, v4
	s_or_b32 s7, s5, s7
	s_and_not1_b32 exec_lo, exec_lo, s7
	s_cbranch_execnz .LBB121_12
; %bb.13:                               ;   in Loop: Header=BB121_2 Depth=1
	s_or_b32 exec_lo, exec_lo, s7
.LBB121_14:                             ;   in Loop: Header=BB121_2 Depth=1
	s_delay_alu instid0(SALU_CYCLE_1) | instskip(SKIP_3) | instid1(VALU_DEP_3)
	s_or_b32 exec_lo, exec_lo, s6
	v_sub_nc_u32_e32 v53, v31, v3
	v_lshl_add_u32 v4, v3, 3, v21
	v_add_nc_u32_e32 v3, v3, v8
	v_lshlrev_b32_e32 v51, 3, v53
	v_cmp_gt_i32_e64 s7, v20, v53
	s_delay_alu instid0(VALU_DEP_3)
	v_cmp_le_i32_e64 s6, v19, v3
	ds_load_b64 v[49:50], v4
	ds_load_b64 v[51:52], v51
	s_wait_loadcnt_dscnt 0x0
	s_barrier_signal -1
	s_barrier_wait -1
	global_inv scope:SCOPE_SE
	ds_store_b64 v5, v[1:2]
	s_wait_loadcnt_dscnt 0x0
	s_barrier_signal -1
	s_barrier_wait -1
	global_inv scope:SCOPE_SE
	v_cmp_lt_i64_e64 s5, v[51:52], v[49:50]
	s_or_b32 s5, s6, s5
	s_wait_alu 0xfffe
	s_and_b32 s5, s7, s5
	s_wait_alu 0xfffe
	v_cndmask_b32_e64 v3, v3, v53, s5
	v_cndmask_b32_e64 v4, v50, v52, s5
	s_delay_alu instid0(VALU_DEP_2)
	v_lshlrev_b32_e32 v1, 3, v3
	v_cndmask_b32_e64 v3, v49, v51, s5
	ds_load_b64 v[1:2], v1
	s_wait_loadcnt_dscnt 0x0
	s_barrier_signal -1
	s_barrier_wait -1
	global_inv scope:SCOPE_SE
	ds_store_b64 v5, v[3:4]
	v_mov_b32_e32 v3, v46
	s_wait_loadcnt_dscnt 0x0
	s_barrier_signal -1
	s_barrier_wait -1
	global_inv scope:SCOPE_SE
	s_and_saveexec_b32 s6, s3
	s_cbranch_execz .LBB121_18
; %bb.15:                               ;   in Loop: Header=BB121_2 Depth=1
	v_dual_mov_b32 v3, v46 :: v_dual_mov_b32 v4, v42
	s_mov_b32 s7, 0
.LBB121_16:                             ;   Parent Loop BB121_2 Depth=1
                                        ; =>  This Inner Loop Header: Depth=2
	s_delay_alu instid0(VALU_DEP_1) | instskip(NEXT) | instid1(VALU_DEP_1)
	v_sub_nc_u32_e32 v49, v4, v3
	v_lshrrev_b32_e32 v49, 1, v49
	s_delay_alu instid0(VALU_DEP_1) | instskip(NEXT) | instid1(VALU_DEP_1)
	v_add_nc_u32_e32 v53, v49, v3
	v_not_b32_e32 v49, v53
	v_lshl_add_u32 v50, v53, 3, v24
	s_delay_alu instid0(VALU_DEP_2)
	v_lshl_add_u32 v51, v49, 3, v37
	ds_load_b64 v[49:50], v50
	ds_load_b64 v[51:52], v51
	s_wait_dscnt 0x0
	v_cmp_lt_i64_e64 s5, v[51:52], v[49:50]
	v_add_nc_u32_e32 v49, 1, v53
	s_wait_alu 0xf1ff
	s_delay_alu instid0(VALU_DEP_2) | instskip(NEXT) | instid1(VALU_DEP_2)
	v_cndmask_b32_e64 v4, v4, v53, s5
	v_cndmask_b32_e64 v3, v49, v3, s5
	s_delay_alu instid0(VALU_DEP_1) | instskip(SKIP_1) | instid1(SALU_CYCLE_1)
	v_cmp_ge_i32_e64 s5, v3, v4
	s_or_b32 s7, s5, s7
	s_and_not1_b32 exec_lo, exec_lo, s7
	s_cbranch_execnz .LBB121_16
; %bb.17:                               ;   in Loop: Header=BB121_2 Depth=1
	s_or_b32 exec_lo, exec_lo, s7
.LBB121_18:                             ;   in Loop: Header=BB121_2 Depth=1
	s_delay_alu instid0(SALU_CYCLE_1) | instskip(SKIP_3) | instid1(VALU_DEP_3)
	s_or_b32 exec_lo, exec_lo, s6
	v_sub_nc_u32_e32 v53, v32, v3
	v_lshl_add_u32 v4, v3, 3, v24
	v_add_nc_u32_e32 v3, v3, v9
	v_lshlrev_b32_e32 v51, 3, v53
	v_cmp_gt_i32_e64 s7, v23, v53
	s_delay_alu instid0(VALU_DEP_3)
	v_cmp_le_i32_e64 s6, v22, v3
	ds_load_b64 v[49:50], v4
	ds_load_b64 v[51:52], v51
	s_wait_loadcnt_dscnt 0x0
	s_barrier_signal -1
	s_barrier_wait -1
	global_inv scope:SCOPE_SE
	ds_store_b64 v5, v[1:2]
	s_wait_loadcnt_dscnt 0x0
	s_barrier_signal -1
	s_barrier_wait -1
	global_inv scope:SCOPE_SE
	v_cmp_lt_i64_e64 s5, v[51:52], v[49:50]
	s_or_b32 s5, s6, s5
	s_wait_alu 0xfffe
	s_and_b32 s5, s7, s5
	s_wait_alu 0xfffe
	v_cndmask_b32_e64 v3, v3, v53, s5
	v_cndmask_b32_e64 v4, v50, v52, s5
	s_delay_alu instid0(VALU_DEP_2)
	v_lshlrev_b32_e32 v1, 3, v3
	v_cndmask_b32_e64 v3, v49, v51, s5
	ds_load_b64 v[1:2], v1
	s_wait_loadcnt_dscnt 0x0
	s_barrier_signal -1
	s_barrier_wait -1
	global_inv scope:SCOPE_SE
	ds_store_b64 v5, v[3:4]
	v_mov_b32_e32 v3, v47
	s_wait_loadcnt_dscnt 0x0
	s_barrier_signal -1
	s_barrier_wait -1
	global_inv scope:SCOPE_SE
	s_and_saveexec_b32 s6, s4
	s_cbranch_execz .LBB121_22
; %bb.19:                               ;   in Loop: Header=BB121_2 Depth=1
	v_dual_mov_b32 v3, v47 :: v_dual_mov_b32 v4, v43
	s_mov_b32 s7, 0
.LBB121_20:                             ;   Parent Loop BB121_2 Depth=1
                                        ; =>  This Inner Loop Header: Depth=2
	s_delay_alu instid0(VALU_DEP_1) | instskip(NEXT) | instid1(VALU_DEP_1)
	v_sub_nc_u32_e32 v49, v4, v3
	v_lshrrev_b32_e32 v49, 1, v49
	s_delay_alu instid0(VALU_DEP_1) | instskip(NEXT) | instid1(VALU_DEP_1)
	v_add_nc_u32_e32 v53, v49, v3
	v_not_b32_e32 v49, v53
	v_lshl_add_u32 v50, v53, 3, v27
	s_delay_alu instid0(VALU_DEP_2)
	v_lshl_add_u32 v51, v49, 3, v38
	ds_load_b64 v[49:50], v50
	ds_load_b64 v[51:52], v51
	s_wait_dscnt 0x0
	v_cmp_lt_i64_e64 s5, v[51:52], v[49:50]
	v_add_nc_u32_e32 v49, 1, v53
	s_wait_alu 0xf1ff
	s_delay_alu instid0(VALU_DEP_2) | instskip(NEXT) | instid1(VALU_DEP_2)
	v_cndmask_b32_e64 v4, v4, v53, s5
	v_cndmask_b32_e64 v3, v49, v3, s5
	s_delay_alu instid0(VALU_DEP_1) | instskip(SKIP_1) | instid1(SALU_CYCLE_1)
	v_cmp_ge_i32_e64 s5, v3, v4
	s_or_b32 s7, s5, s7
	s_and_not1_b32 exec_lo, exec_lo, s7
	s_cbranch_execnz .LBB121_20
; %bb.21:                               ;   in Loop: Header=BB121_2 Depth=1
	s_or_b32 exec_lo, exec_lo, s7
.LBB121_22:                             ;   in Loop: Header=BB121_2 Depth=1
	s_delay_alu instid0(SALU_CYCLE_1) | instskip(SKIP_3) | instid1(VALU_DEP_3)
	s_or_b32 exec_lo, exec_lo, s6
	v_sub_nc_u32_e32 v4, v33, v3
	v_lshl_add_u32 v49, v3, 3, v27
	v_add_nc_u32_e32 v3, v3, v10
	v_lshlrev_b32_e32 v51, 3, v4
	v_cmp_gt_i32_e64 s7, v26, v4
	s_delay_alu instid0(VALU_DEP_3)
	v_cmp_le_i32_e64 s6, v25, v3
	ds_load_b64 v[49:50], v49
	ds_load_b64 v[51:52], v51
	s_wait_loadcnt_dscnt 0x0
	s_barrier_signal -1
	s_barrier_wait -1
	global_inv scope:SCOPE_SE
	ds_store_b64 v5, v[1:2]
	s_wait_loadcnt_dscnt 0x0
	s_barrier_signal -1
	s_barrier_wait -1
	global_inv scope:SCOPE_SE
	v_cmp_lt_i64_e64 s5, v[51:52], v[49:50]
	s_or_b32 s5, s6, s5
	s_wait_alu 0xfffe
	s_and_b32 s5, s7, s5
	s_wait_alu 0xfffe
	v_cndmask_b32_e64 v3, v3, v4, s5
	v_cndmask_b32_e64 v50, v50, v52, s5
	;; [unrolled: 1-line block ×3, first 2 shown]
	s_delay_alu instid0(VALU_DEP_3)
	v_lshlrev_b32_e32 v1, 3, v3
	ds_load_b64 v[3:4], v1
	v_mov_b32_e32 v1, v11
	s_wait_loadcnt_dscnt 0x0
	s_barrier_signal -1
	s_barrier_wait -1
	global_inv scope:SCOPE_SE
	ds_store_b64 v5, v[49:50]
	s_wait_loadcnt_dscnt 0x0
	s_barrier_signal -1
	s_barrier_wait -1
	global_inv scope:SCOPE_SE
	s_and_saveexec_b32 s6, vcc_lo
	s_cbranch_execz .LBB121_1
; %bb.23:                               ;   in Loop: Header=BB121_2 Depth=1
	v_dual_mov_b32 v1, v11 :: v_dual_mov_b32 v2, v12
	s_mov_b32 s7, 0
.LBB121_24:                             ;   Parent Loop BB121_2 Depth=1
                                        ; =>  This Inner Loop Header: Depth=2
	s_delay_alu instid0(VALU_DEP_1) | instskip(NEXT) | instid1(VALU_DEP_1)
	v_sub_nc_u32_e32 v49, v2, v1
	v_lshrrev_b32_e32 v49, 1, v49
	s_delay_alu instid0(VALU_DEP_1) | instskip(NEXT) | instid1(VALU_DEP_1)
	v_add_nc_u32_e32 v53, v49, v1
	v_not_b32_e32 v49, v53
	v_lshlrev_b32_e32 v50, 3, v53
	s_delay_alu instid0(VALU_DEP_2)
	v_lshl_add_u32 v51, v49, 3, v48
	ds_load_b64 v[49:50], v50
	ds_load_b64 v[51:52], v51
	s_wait_dscnt 0x0
	v_cmp_lt_i64_e64 s5, v[51:52], v[49:50]
	v_add_nc_u32_e32 v49, 1, v53
	s_wait_alu 0xf1ff
	s_delay_alu instid0(VALU_DEP_2) | instskip(NEXT) | instid1(VALU_DEP_2)
	v_cndmask_b32_e64 v2, v2, v53, s5
	v_cndmask_b32_e64 v1, v49, v1, s5
	s_delay_alu instid0(VALU_DEP_1) | instskip(SKIP_1) | instid1(SALU_CYCLE_1)
	v_cmp_ge_i32_e64 s5, v1, v2
	s_or_b32 s7, s5, s7
	s_and_not1_b32 exec_lo, exec_lo, s7
	s_cbranch_execnz .LBB121_24
; %bb.25:                               ;   in Loop: Header=BB121_2 Depth=1
	s_or_b32 exec_lo, exec_lo, s7
	s_branch .LBB121_1
.LBB121_26:
	s_wait_dscnt 0x0
	s_delay_alu instid0(VALU_DEP_1) | instskip(NEXT) | instid1(VALU_DEP_1)
	v_add_co_u32 v1, vcc_lo, v1, v3
	v_add_co_ci_u32_e64 v2, null, v2, v4, vcc_lo
	v_lshlrev_b32_e32 v0, 3, v0
	s_add_nc_u64 s[0:1], s[10:11], s[12:13]
	global_store_b64 v0, v[1:2], s[0:1]
	s_endpgm
	.section	.rodata,"a",@progbits
	.p2align	6, 0x0
	.amdhsa_kernel _Z17sort_pairs_kernelIxLj64ELj1EN10test_utils4lessELj10EEvPKT_PS2_T2_
		.amdhsa_group_segment_fixed_size 520
		.amdhsa_private_segment_fixed_size 0
		.amdhsa_kernarg_size 20
		.amdhsa_user_sgpr_count 2
		.amdhsa_user_sgpr_dispatch_ptr 0
		.amdhsa_user_sgpr_queue_ptr 0
		.amdhsa_user_sgpr_kernarg_segment_ptr 1
		.amdhsa_user_sgpr_dispatch_id 0
		.amdhsa_user_sgpr_private_segment_size 0
		.amdhsa_wavefront_size32 1
		.amdhsa_uses_dynamic_stack 0
		.amdhsa_enable_private_segment 0
		.amdhsa_system_sgpr_workgroup_id_x 1
		.amdhsa_system_sgpr_workgroup_id_y 0
		.amdhsa_system_sgpr_workgroup_id_z 0
		.amdhsa_system_sgpr_workgroup_info 0
		.amdhsa_system_vgpr_workitem_id 0
		.amdhsa_next_free_vgpr 54
		.amdhsa_next_free_sgpr 16
		.amdhsa_reserve_vcc 1
		.amdhsa_float_round_mode_32 0
		.amdhsa_float_round_mode_16_64 0
		.amdhsa_float_denorm_mode_32 3
		.amdhsa_float_denorm_mode_16_64 3
		.amdhsa_fp16_overflow 0
		.amdhsa_workgroup_processor_mode 1
		.amdhsa_memory_ordered 1
		.amdhsa_forward_progress 1
		.amdhsa_inst_pref_size 23
		.amdhsa_round_robin_scheduling 0
		.amdhsa_exception_fp_ieee_invalid_op 0
		.amdhsa_exception_fp_denorm_src 0
		.amdhsa_exception_fp_ieee_div_zero 0
		.amdhsa_exception_fp_ieee_overflow 0
		.amdhsa_exception_fp_ieee_underflow 0
		.amdhsa_exception_fp_ieee_inexact 0
		.amdhsa_exception_int_div_zero 0
	.end_amdhsa_kernel
	.section	.text._Z17sort_pairs_kernelIxLj64ELj1EN10test_utils4lessELj10EEvPKT_PS2_T2_,"axG",@progbits,_Z17sort_pairs_kernelIxLj64ELj1EN10test_utils4lessELj10EEvPKT_PS2_T2_,comdat
.Lfunc_end121:
	.size	_Z17sort_pairs_kernelIxLj64ELj1EN10test_utils4lessELj10EEvPKT_PS2_T2_, .Lfunc_end121-_Z17sort_pairs_kernelIxLj64ELj1EN10test_utils4lessELj10EEvPKT_PS2_T2_
                                        ; -- End function
	.set _Z17sort_pairs_kernelIxLj64ELj1EN10test_utils4lessELj10EEvPKT_PS2_T2_.num_vgpr, 54
	.set _Z17sort_pairs_kernelIxLj64ELj1EN10test_utils4lessELj10EEvPKT_PS2_T2_.num_agpr, 0
	.set _Z17sort_pairs_kernelIxLj64ELj1EN10test_utils4lessELj10EEvPKT_PS2_T2_.numbered_sgpr, 16
	.set _Z17sort_pairs_kernelIxLj64ELj1EN10test_utils4lessELj10EEvPKT_PS2_T2_.num_named_barrier, 0
	.set _Z17sort_pairs_kernelIxLj64ELj1EN10test_utils4lessELj10EEvPKT_PS2_T2_.private_seg_size, 0
	.set _Z17sort_pairs_kernelIxLj64ELj1EN10test_utils4lessELj10EEvPKT_PS2_T2_.uses_vcc, 1
	.set _Z17sort_pairs_kernelIxLj64ELj1EN10test_utils4lessELj10EEvPKT_PS2_T2_.uses_flat_scratch, 0
	.set _Z17sort_pairs_kernelIxLj64ELj1EN10test_utils4lessELj10EEvPKT_PS2_T2_.has_dyn_sized_stack, 0
	.set _Z17sort_pairs_kernelIxLj64ELj1EN10test_utils4lessELj10EEvPKT_PS2_T2_.has_recursion, 0
	.set _Z17sort_pairs_kernelIxLj64ELj1EN10test_utils4lessELj10EEvPKT_PS2_T2_.has_indirect_call, 0
	.section	.AMDGPU.csdata,"",@progbits
; Kernel info:
; codeLenInByte = 2880
; TotalNumSgprs: 18
; NumVgprs: 54
; ScratchSize: 0
; MemoryBound: 0
; FloatMode: 240
; IeeeMode: 1
; LDSByteSize: 520 bytes/workgroup (compile time only)
; SGPRBlocks: 0
; VGPRBlocks: 6
; NumSGPRsForWavesPerEU: 18
; NumVGPRsForWavesPerEU: 54
; Occupancy: 16
; WaveLimiterHint : 0
; COMPUTE_PGM_RSRC2:SCRATCH_EN: 0
; COMPUTE_PGM_RSRC2:USER_SGPR: 2
; COMPUTE_PGM_RSRC2:TRAP_HANDLER: 0
; COMPUTE_PGM_RSRC2:TGID_X_EN: 1
; COMPUTE_PGM_RSRC2:TGID_Y_EN: 0
; COMPUTE_PGM_RSRC2:TGID_Z_EN: 0
; COMPUTE_PGM_RSRC2:TIDIG_COMP_CNT: 0
	.section	.text._Z16sort_keys_kernelIxLj64ELj2EN10test_utils4lessELj10EEvPKT_PS2_T2_,"axG",@progbits,_Z16sort_keys_kernelIxLj64ELj2EN10test_utils4lessELj10EEvPKT_PS2_T2_,comdat
	.protected	_Z16sort_keys_kernelIxLj64ELj2EN10test_utils4lessELj10EEvPKT_PS2_T2_ ; -- Begin function _Z16sort_keys_kernelIxLj64ELj2EN10test_utils4lessELj10EEvPKT_PS2_T2_
	.globl	_Z16sort_keys_kernelIxLj64ELj2EN10test_utils4lessELj10EEvPKT_PS2_T2_
	.p2align	8
	.type	_Z16sort_keys_kernelIxLj64ELj2EN10test_utils4lessELj10EEvPKT_PS2_T2_,@function
_Z16sort_keys_kernelIxLj64ELj2EN10test_utils4lessELj10EEvPKT_PS2_T2_: ; @_Z16sort_keys_kernelIxLj64ELj2EN10test_utils4lessELj10EEvPKT_PS2_T2_
; %bb.0:
	s_load_b128 s[8:11], s[0:1], 0x0
	s_lshl_b32 s12, ttmp9, 7
	s_mov_b32 s13, 0
	v_lshlrev_b32_e32 v3, 3, v0
	s_lshl_b64 s[14:15], s[12:13], 3
	v_lshlrev_b32_e32 v5, 1, v0
	v_lshlrev_b32_e32 v13, 4, v0
	s_delay_alu instid0(VALU_DEP_2)
	v_and_b32_e32 v9, 0x7c, v5
	v_and_b32_e32 v6, 2, v5
	;; [unrolled: 1-line block ×5, first 2 shown]
	v_or_b32_e32 v10, 2, v9
	v_add_nc_u32_e32 v11, 4, v9
	v_or_b32_e32 v14, 4, v12
	v_add_nc_u32_e32 v15, 8, v12
	v_or_b32_e32 v21, 8, v19
	s_wait_kmcnt 0x0
	s_add_nc_u64 s[0:1], s[8:9], s[14:15]
	v_sub_nc_u32_e32 v7, v11, v10
	s_clause 0x1
	global_load_b64 v[1:2], v3, s[0:1]
	global_load_b64 v[3:4], v3, s[0:1] offset:512
	v_add_nc_u32_e32 v22, 16, v19
	v_or_b32_e32 v28, 16, v26
	v_add_nc_u32_e32 v29, 32, v26
	v_sub_nc_u32_e32 v8, v6, v7
	v_cmp_ge_i32_e32 vcc_lo, v6, v7
	v_and_b32_e32 v7, 6, v5
	v_sub_nc_u32_e32 v30, v22, v21
	v_and_b32_e32 v48, 30, v5
	v_sub_nc_u32_e32 v36, v29, v28
	v_cndmask_b32_e32 v16, 0, v8, vcc_lo
	v_sub_nc_u32_e32 v8, v15, v14
	v_and_b32_e32 v49, 62, v5
	v_sub_nc_u32_e32 v17, v10, v9
	v_sub_nc_u32_e32 v24, v14, v12
	;; [unrolled: 1-line block ×4, first 2 shown]
	v_cmp_ge_i32_e64 s0, v7, v8
	v_and_b32_e32 v8, 14, v5
	v_sub_nc_u32_e32 v37, v48, v36
	v_sub_nc_u32_e32 v38, v28, v26
	v_cmp_ge_i32_e64 s2, v48, v36
	v_min_i32_e32 v17, v6, v17
	v_sub_nc_u32_e32 v31, v8, v30
	v_cmp_ge_i32_e64 s1, v8, v30
	v_add_nc_u32_e32 v20, v10, v6
	v_cndmask_b32_e64 v23, 0, v23, s0
	v_min_i32_e32 v24, v7, v24
	v_add_nc_u32_e32 v27, v14, v7
	v_cndmask_b32_e64 v30, 0, v31, s1
	v_and_b32_e32 v31, 64, v5
	v_min_i32_e32 v32, v8, v32
	v_cndmask_b32_e64 v36, 0, v37, s2
	v_min_i32_e32 v37, v48, v38
	v_add_nc_u32_e32 v38, v21, v8
	v_or_b32_e32 v34, 32, v31
	v_add_nc_u32_e32 v35, 64, v31
	v_min_i32_e32 v43, 64, v5
	v_add_nc_u32_e32 v47, 64, v5
	v_lshlrev_b32_e32 v52, 3, v49
	v_sub_nc_u32_e32 v42, v34, v31
	v_sub_nc_u32_e32 v40, v35, v34
	v_lshlrev_b32_e32 v18, 3, v9
	v_lshlrev_b32_e32 v25, 3, v12
	v_cmp_lt_i32_e64 s0, v23, v24
	v_lshlrev_b32_e32 v33, 3, v19
	v_sub_nc_u32_e32 v41, v49, v40
	v_cmp_ge_i32_e64 s3, v49, v40
	v_cmp_lt_i32_e64 s1, v30, v32
	v_lshlrev_b32_e32 v39, 3, v26
	v_cmp_lt_i32_e64 s2, v36, v37
	v_add_nc_u32_e32 v44, v28, v48
	s_wait_alu 0xf1ff
	v_cndmask_b32_e64 v40, 0, v41, s3
	v_min_i32_e32 v41, v49, v42
	v_sub_nc_u32_e64 v42, v5, 64 clamp
	v_lshlrev_b32_e32 v5, 3, v6
	v_lshlrev_b32_e32 v6, 3, v7
	;; [unrolled: 1-line block ×5, first 2 shown]
	v_cmp_lt_i32_e64 s3, v40, v41
	v_add_nc_u32_e32 v46, v34, v49
	v_cmp_lt_i32_e64 s4, v42, v43
	v_lshl_add_u32 v48, v10, 3, v5
	v_lshl_add_u32 v49, v14, 3, v6
	;; [unrolled: 1-line block ×5, first 2 shown]
	v_add_nc_u32_e32 v53, 0x200, v13
	v_cmp_lt_i32_e32 vcc_lo, v16, v17
	s_branch .LBB122_2
.LBB122_1:                              ;   in Loop: Header=BB122_2 Depth=1
	s_or_b32 exec_lo, exec_lo, s6
	s_wait_dscnt 0x0
	s_delay_alu instid0(VALU_DEP_1)
	v_cmp_lt_i64_e64 s6, v[7:8], v[5:6]
	v_cmp_le_i32_e64 s7, 64, v54
	v_cmp_gt_i32_e64 s8, 0x80, v55
	v_cndmask_b32_e64 v2, v2, v4, s5
	v_cndmask_b32_e64 v1, v1, v3, s5
	s_add_co_i32 s13, s13, 1
	s_or_b32 s6, s7, s6
	s_delay_alu instid0(SALU_CYCLE_1)
	s_and_b32 s5, s8, s6
	s_cmp_eq_u32 s13, 10
	s_wait_alu 0xfffe
	v_cndmask_b32_e64 v4, v6, v8, s5
	v_cndmask_b32_e64 v3, v5, v7, s5
	s_cbranch_scc1 .LBB122_50
.LBB122_2:                              ; =>This Loop Header: Depth=1
                                        ;     Child Loop BB122_4 Depth 2
                                        ;     Child Loop BB122_12 Depth 2
	;; [unrolled: 1-line block ×6, first 2 shown]
	s_wait_loadcnt 0x0
	s_delay_alu instid0(VALU_DEP_1)
	v_cmp_lt_i64_e64 s5, v[3:4], v[1:2]
	v_mov_b32_e32 v5, v16
	s_barrier_signal -1
	s_barrier_wait -1
	global_inv scope:SCOPE_SE
	s_wait_alu 0xf1ff
	v_cndmask_b32_e64 v7, v4, v2, s5
	v_cndmask_b32_e64 v6, v3, v1, s5
	;; [unrolled: 1-line block ×4, first 2 shown]
	ds_store_2addr_b64 v13, v[1:2], v[6:7] offset1:1
	s_wait_loadcnt_dscnt 0x0
	s_barrier_signal -1
	s_barrier_wait -1
	global_inv scope:SCOPE_SE
	s_and_saveexec_b32 s6, vcc_lo
	s_cbranch_execz .LBB122_6
; %bb.3:                                ;   in Loop: Header=BB122_2 Depth=1
	v_mov_b32_e32 v5, v16
	v_mov_b32_e32 v1, v17
	s_mov_b32 s7, 0
.LBB122_4:                              ;   Parent Loop BB122_2 Depth=1
                                        ; =>  This Inner Loop Header: Depth=2
	s_delay_alu instid0(VALU_DEP_1) | instskip(NEXT) | instid1(VALU_DEP_1)
	v_sub_nc_u32_e32 v2, v1, v5
	v_lshrrev_b32_e32 v2, 1, v2
	s_delay_alu instid0(VALU_DEP_1) | instskip(NEXT) | instid1(VALU_DEP_1)
	v_add_nc_u32_e32 v4, v2, v5
	v_not_b32_e32 v2, v4
	v_lshl_add_u32 v3, v4, 3, v18
	s_delay_alu instid0(VALU_DEP_2)
	v_lshl_add_u32 v6, v2, 3, v48
	ds_load_b64 v[2:3], v3
	ds_load_b64 v[6:7], v6
	s_wait_dscnt 0x0
	v_cmp_lt_i64_e64 s5, v[6:7], v[2:3]
	v_add_nc_u32_e32 v2, 1, v4
	s_wait_alu 0xf1ff
	s_delay_alu instid0(VALU_DEP_2) | instskip(NEXT) | instid1(VALU_DEP_2)
	v_cndmask_b32_e64 v1, v1, v4, s5
	v_cndmask_b32_e64 v5, v2, v5, s5
	s_delay_alu instid0(VALU_DEP_1) | instskip(SKIP_1) | instid1(SALU_CYCLE_1)
	v_cmp_ge_i32_e64 s5, v5, v1
	s_or_b32 s7, s5, s7
	s_and_not1_b32 exec_lo, exec_lo, s7
	s_cbranch_execnz .LBB122_4
; %bb.5:                                ;   in Loop: Header=BB122_2 Depth=1
	s_or_b32 exec_lo, exec_lo, s7
.LBB122_6:                              ;   in Loop: Header=BB122_2 Depth=1
	s_delay_alu instid0(SALU_CYCLE_1) | instskip(SKIP_3) | instid1(VALU_DEP_3)
	s_or_b32 exec_lo, exec_lo, s6
	v_sub_nc_u32_e32 v54, v20, v5
	v_lshl_add_u32 v7, v5, 3, v18
	v_add_nc_u32_e32 v55, v5, v9
                                        ; implicit-def: $vgpr5_vgpr6
	v_lshlrev_b32_e32 v56, 3, v54
	v_cmp_gt_i32_e64 s7, v11, v54
	s_delay_alu instid0(VALU_DEP_3)
	v_cmp_le_i32_e64 s6, v10, v55
	ds_load_b64 v[1:2], v7
	ds_load_b64 v[3:4], v56
	s_wait_dscnt 0x0
	v_cmp_lt_i64_e64 s5, v[3:4], v[1:2]
	s_or_b32 s5, s6, s5
	s_wait_alu 0xfffe
	s_and_b32 s5, s7, s5
	s_wait_alu 0xfffe
	s_xor_b32 s6, s5, -1
	s_delay_alu instid0(SALU_CYCLE_1) | instskip(NEXT) | instid1(SALU_CYCLE_1)
	s_and_saveexec_b32 s7, s6
	s_xor_b32 s6, exec_lo, s7
; %bb.7:                                ;   in Loop: Header=BB122_2 Depth=1
	ds_load_b64 v[5:6], v7 offset:8
                                        ; implicit-def: $vgpr56
; %bb.8:                                ;   in Loop: Header=BB122_2 Depth=1
	s_or_saveexec_b32 s6, s6
	v_dual_mov_b32 v8, v4 :: v_dual_mov_b32 v7, v3
	s_xor_b32 exec_lo, exec_lo, s6
	s_cbranch_execz .LBB122_10
; %bb.9:                                ;   in Loop: Header=BB122_2 Depth=1
	ds_load_b64 v[7:8], v56 offset:8
	s_wait_dscnt 0x1
	v_dual_mov_b32 v6, v2 :: v_dual_mov_b32 v5, v1
.LBB122_10:                             ;   in Loop: Header=BB122_2 Depth=1
	s_or_b32 exec_lo, exec_lo, s6
	v_add_nc_u32_e32 v56, 1, v55
	v_add_nc_u32_e32 v57, 1, v54
	s_wait_dscnt 0x0
	v_cmp_lt_i64_e64 s6, v[7:8], v[5:6]
	v_cndmask_b32_e64 v2, v2, v4, s5
	v_cndmask_b32_e64 v1, v1, v3, s5
	;; [unrolled: 1-line block ×4, first 2 shown]
	s_wait_loadcnt 0x0
	s_barrier_signal -1
	s_barrier_wait -1
	v_cmp_ge_i32_e64 s7, v55, v10
	v_cmp_lt_i32_e64 s8, v54, v11
	global_inv scope:SCOPE_SE
	s_or_b32 s5, s7, s6
	s_wait_alu 0xfffe
	s_and_b32 s5, s8, s5
	s_wait_alu 0xfffe
	v_cndmask_b32_e64 v4, v6, v8, s5
	v_cndmask_b32_e64 v3, v5, v7, s5
	v_mov_b32_e32 v5, v23
	ds_store_2addr_b64 v13, v[1:2], v[3:4] offset1:1
	s_wait_loadcnt_dscnt 0x0
	s_barrier_signal -1
	s_barrier_wait -1
	global_inv scope:SCOPE_SE
	s_and_saveexec_b32 s6, s0
	s_cbranch_execz .LBB122_14
; %bb.11:                               ;   in Loop: Header=BB122_2 Depth=1
	v_mov_b32_e32 v5, v23
	v_mov_b32_e32 v1, v24
	s_mov_b32 s7, 0
.LBB122_12:                             ;   Parent Loop BB122_2 Depth=1
                                        ; =>  This Inner Loop Header: Depth=2
	s_delay_alu instid0(VALU_DEP_1) | instskip(NEXT) | instid1(VALU_DEP_1)
	v_sub_nc_u32_e32 v2, v1, v5
	v_lshrrev_b32_e32 v2, 1, v2
	s_delay_alu instid0(VALU_DEP_1) | instskip(NEXT) | instid1(VALU_DEP_1)
	v_add_nc_u32_e32 v4, v2, v5
	v_not_b32_e32 v2, v4
	v_lshl_add_u32 v3, v4, 3, v25
	s_delay_alu instid0(VALU_DEP_2)
	v_lshl_add_u32 v6, v2, 3, v49
	ds_load_b64 v[2:3], v3
	ds_load_b64 v[6:7], v6
	s_wait_dscnt 0x0
	v_cmp_lt_i64_e64 s5, v[6:7], v[2:3]
	v_add_nc_u32_e32 v2, 1, v4
	s_wait_alu 0xf1ff
	s_delay_alu instid0(VALU_DEP_2) | instskip(NEXT) | instid1(VALU_DEP_2)
	v_cndmask_b32_e64 v1, v1, v4, s5
	v_cndmask_b32_e64 v5, v2, v5, s5
	s_delay_alu instid0(VALU_DEP_1) | instskip(SKIP_1) | instid1(SALU_CYCLE_1)
	v_cmp_ge_i32_e64 s5, v5, v1
	s_or_b32 s7, s5, s7
	s_and_not1_b32 exec_lo, exec_lo, s7
	s_cbranch_execnz .LBB122_12
; %bb.13:                               ;   in Loop: Header=BB122_2 Depth=1
	s_or_b32 exec_lo, exec_lo, s7
.LBB122_14:                             ;   in Loop: Header=BB122_2 Depth=1
	s_delay_alu instid0(SALU_CYCLE_1) | instskip(SKIP_3) | instid1(VALU_DEP_3)
	s_or_b32 exec_lo, exec_lo, s6
	v_sub_nc_u32_e32 v54, v27, v5
	v_lshl_add_u32 v7, v5, 3, v25
	v_add_nc_u32_e32 v55, v5, v12
                                        ; implicit-def: $vgpr5_vgpr6
	v_lshlrev_b32_e32 v56, 3, v54
	v_cmp_gt_i32_e64 s7, v15, v54
	s_delay_alu instid0(VALU_DEP_3)
	v_cmp_le_i32_e64 s6, v14, v55
	ds_load_b64 v[1:2], v7
	ds_load_b64 v[3:4], v56
	s_wait_dscnt 0x0
	v_cmp_lt_i64_e64 s5, v[3:4], v[1:2]
	s_or_b32 s5, s6, s5
	s_wait_alu 0xfffe
	s_and_b32 s5, s7, s5
	s_wait_alu 0xfffe
	s_xor_b32 s6, s5, -1
	s_delay_alu instid0(SALU_CYCLE_1) | instskip(NEXT) | instid1(SALU_CYCLE_1)
	s_and_saveexec_b32 s7, s6
	s_xor_b32 s6, exec_lo, s7
; %bb.15:                               ;   in Loop: Header=BB122_2 Depth=1
	ds_load_b64 v[5:6], v7 offset:8
                                        ; implicit-def: $vgpr56
; %bb.16:                               ;   in Loop: Header=BB122_2 Depth=1
	s_or_saveexec_b32 s6, s6
	v_dual_mov_b32 v8, v4 :: v_dual_mov_b32 v7, v3
	s_xor_b32 exec_lo, exec_lo, s6
	s_cbranch_execz .LBB122_18
; %bb.17:                               ;   in Loop: Header=BB122_2 Depth=1
	ds_load_b64 v[7:8], v56 offset:8
	s_wait_dscnt 0x1
	v_dual_mov_b32 v6, v2 :: v_dual_mov_b32 v5, v1
.LBB122_18:                             ;   in Loop: Header=BB122_2 Depth=1
	s_or_b32 exec_lo, exec_lo, s6
	v_add_nc_u32_e32 v56, 1, v55
	v_add_nc_u32_e32 v57, 1, v54
	s_wait_dscnt 0x0
	v_cmp_lt_i64_e64 s6, v[7:8], v[5:6]
	v_cndmask_b32_e64 v2, v2, v4, s5
	v_cndmask_b32_e64 v1, v1, v3, s5
	;; [unrolled: 1-line block ×4, first 2 shown]
	s_wait_loadcnt 0x0
	s_barrier_signal -1
	s_barrier_wait -1
	v_cmp_ge_i32_e64 s7, v55, v14
	v_cmp_lt_i32_e64 s8, v54, v15
	global_inv scope:SCOPE_SE
	s_or_b32 s5, s7, s6
	s_wait_alu 0xfffe
	s_and_b32 s5, s8, s5
	s_wait_alu 0xfffe
	v_cndmask_b32_e64 v4, v6, v8, s5
	v_cndmask_b32_e64 v3, v5, v7, s5
	v_mov_b32_e32 v5, v30
	ds_store_2addr_b64 v13, v[1:2], v[3:4] offset1:1
	s_wait_loadcnt_dscnt 0x0
	s_barrier_signal -1
	s_barrier_wait -1
	global_inv scope:SCOPE_SE
	s_and_saveexec_b32 s6, s1
	s_cbranch_execz .LBB122_22
; %bb.19:                               ;   in Loop: Header=BB122_2 Depth=1
	v_mov_b32_e32 v5, v30
	v_mov_b32_e32 v1, v32
	s_mov_b32 s7, 0
.LBB122_20:                             ;   Parent Loop BB122_2 Depth=1
                                        ; =>  This Inner Loop Header: Depth=2
	s_delay_alu instid0(VALU_DEP_1) | instskip(NEXT) | instid1(VALU_DEP_1)
	v_sub_nc_u32_e32 v2, v1, v5
	v_lshrrev_b32_e32 v2, 1, v2
	s_delay_alu instid0(VALU_DEP_1) | instskip(NEXT) | instid1(VALU_DEP_1)
	v_add_nc_u32_e32 v4, v2, v5
	v_not_b32_e32 v2, v4
	v_lshl_add_u32 v3, v4, 3, v33
	s_delay_alu instid0(VALU_DEP_2)
	v_lshl_add_u32 v6, v2, 3, v50
	ds_load_b64 v[2:3], v3
	ds_load_b64 v[6:7], v6
	s_wait_dscnt 0x0
	v_cmp_lt_i64_e64 s5, v[6:7], v[2:3]
	v_add_nc_u32_e32 v2, 1, v4
	s_wait_alu 0xf1ff
	s_delay_alu instid0(VALU_DEP_2) | instskip(NEXT) | instid1(VALU_DEP_2)
	v_cndmask_b32_e64 v1, v1, v4, s5
	v_cndmask_b32_e64 v5, v2, v5, s5
	s_delay_alu instid0(VALU_DEP_1) | instskip(SKIP_1) | instid1(SALU_CYCLE_1)
	v_cmp_ge_i32_e64 s5, v5, v1
	s_or_b32 s7, s5, s7
	s_and_not1_b32 exec_lo, exec_lo, s7
	s_cbranch_execnz .LBB122_20
; %bb.21:                               ;   in Loop: Header=BB122_2 Depth=1
	s_or_b32 exec_lo, exec_lo, s7
.LBB122_22:                             ;   in Loop: Header=BB122_2 Depth=1
	s_delay_alu instid0(SALU_CYCLE_1) | instskip(SKIP_3) | instid1(VALU_DEP_3)
	s_or_b32 exec_lo, exec_lo, s6
	v_sub_nc_u32_e32 v54, v38, v5
	v_lshl_add_u32 v7, v5, 3, v33
	v_add_nc_u32_e32 v55, v5, v19
                                        ; implicit-def: $vgpr5_vgpr6
	v_lshlrev_b32_e32 v56, 3, v54
	v_cmp_gt_i32_e64 s7, v22, v54
	s_delay_alu instid0(VALU_DEP_3)
	v_cmp_le_i32_e64 s6, v21, v55
	ds_load_b64 v[1:2], v7
	ds_load_b64 v[3:4], v56
	s_wait_dscnt 0x0
	v_cmp_lt_i64_e64 s5, v[3:4], v[1:2]
	s_or_b32 s5, s6, s5
	s_wait_alu 0xfffe
	s_and_b32 s5, s7, s5
	s_wait_alu 0xfffe
	s_xor_b32 s6, s5, -1
	s_delay_alu instid0(SALU_CYCLE_1) | instskip(NEXT) | instid1(SALU_CYCLE_1)
	s_and_saveexec_b32 s7, s6
	s_xor_b32 s6, exec_lo, s7
; %bb.23:                               ;   in Loop: Header=BB122_2 Depth=1
	ds_load_b64 v[5:6], v7 offset:8
                                        ; implicit-def: $vgpr56
; %bb.24:                               ;   in Loop: Header=BB122_2 Depth=1
	s_or_saveexec_b32 s6, s6
	v_dual_mov_b32 v8, v4 :: v_dual_mov_b32 v7, v3
	s_xor_b32 exec_lo, exec_lo, s6
	s_cbranch_execz .LBB122_26
; %bb.25:                               ;   in Loop: Header=BB122_2 Depth=1
	ds_load_b64 v[7:8], v56 offset:8
	s_wait_dscnt 0x1
	v_dual_mov_b32 v6, v2 :: v_dual_mov_b32 v5, v1
.LBB122_26:                             ;   in Loop: Header=BB122_2 Depth=1
	s_or_b32 exec_lo, exec_lo, s6
	v_add_nc_u32_e32 v56, 1, v55
	v_add_nc_u32_e32 v57, 1, v54
	s_wait_dscnt 0x0
	v_cmp_lt_i64_e64 s6, v[7:8], v[5:6]
	v_cndmask_b32_e64 v2, v2, v4, s5
	v_cndmask_b32_e64 v1, v1, v3, s5
	;; [unrolled: 1-line block ×4, first 2 shown]
	s_wait_loadcnt 0x0
	s_barrier_signal -1
	s_barrier_wait -1
	v_cmp_ge_i32_e64 s7, v55, v21
	v_cmp_lt_i32_e64 s8, v54, v22
	global_inv scope:SCOPE_SE
	s_or_b32 s5, s7, s6
	s_wait_alu 0xfffe
	s_and_b32 s5, s8, s5
	s_wait_alu 0xfffe
	v_cndmask_b32_e64 v4, v6, v8, s5
	v_cndmask_b32_e64 v3, v5, v7, s5
	v_mov_b32_e32 v5, v36
	ds_store_2addr_b64 v13, v[1:2], v[3:4] offset1:1
	s_wait_loadcnt_dscnt 0x0
	s_barrier_signal -1
	s_barrier_wait -1
	global_inv scope:SCOPE_SE
	s_and_saveexec_b32 s6, s2
	s_cbranch_execz .LBB122_30
; %bb.27:                               ;   in Loop: Header=BB122_2 Depth=1
	v_mov_b32_e32 v5, v36
	v_mov_b32_e32 v1, v37
	s_mov_b32 s7, 0
.LBB122_28:                             ;   Parent Loop BB122_2 Depth=1
                                        ; =>  This Inner Loop Header: Depth=2
	s_delay_alu instid0(VALU_DEP_1) | instskip(NEXT) | instid1(VALU_DEP_1)
	v_sub_nc_u32_e32 v2, v1, v5
	v_lshrrev_b32_e32 v2, 1, v2
	s_delay_alu instid0(VALU_DEP_1) | instskip(NEXT) | instid1(VALU_DEP_1)
	v_add_nc_u32_e32 v4, v2, v5
	v_not_b32_e32 v2, v4
	v_lshl_add_u32 v3, v4, 3, v39
	s_delay_alu instid0(VALU_DEP_2)
	v_lshl_add_u32 v6, v2, 3, v51
	ds_load_b64 v[2:3], v3
	ds_load_b64 v[6:7], v6
	s_wait_dscnt 0x0
	v_cmp_lt_i64_e64 s5, v[6:7], v[2:3]
	v_add_nc_u32_e32 v2, 1, v4
	s_wait_alu 0xf1ff
	s_delay_alu instid0(VALU_DEP_2) | instskip(NEXT) | instid1(VALU_DEP_2)
	v_cndmask_b32_e64 v1, v1, v4, s5
	v_cndmask_b32_e64 v5, v2, v5, s5
	s_delay_alu instid0(VALU_DEP_1) | instskip(SKIP_1) | instid1(SALU_CYCLE_1)
	v_cmp_ge_i32_e64 s5, v5, v1
	s_or_b32 s7, s5, s7
	s_and_not1_b32 exec_lo, exec_lo, s7
	s_cbranch_execnz .LBB122_28
; %bb.29:                               ;   in Loop: Header=BB122_2 Depth=1
	s_or_b32 exec_lo, exec_lo, s7
.LBB122_30:                             ;   in Loop: Header=BB122_2 Depth=1
	s_delay_alu instid0(SALU_CYCLE_1) | instskip(SKIP_3) | instid1(VALU_DEP_3)
	s_or_b32 exec_lo, exec_lo, s6
	v_sub_nc_u32_e32 v54, v44, v5
	v_lshl_add_u32 v7, v5, 3, v39
	v_add_nc_u32_e32 v55, v5, v26
                                        ; implicit-def: $vgpr5_vgpr6
	v_lshlrev_b32_e32 v56, 3, v54
	v_cmp_gt_i32_e64 s7, v29, v54
	s_delay_alu instid0(VALU_DEP_3)
	v_cmp_le_i32_e64 s6, v28, v55
	ds_load_b64 v[1:2], v7
	ds_load_b64 v[3:4], v56
	s_wait_dscnt 0x0
	v_cmp_lt_i64_e64 s5, v[3:4], v[1:2]
	s_or_b32 s5, s6, s5
	s_wait_alu 0xfffe
	s_and_b32 s5, s7, s5
	s_wait_alu 0xfffe
	s_xor_b32 s6, s5, -1
	s_delay_alu instid0(SALU_CYCLE_1) | instskip(NEXT) | instid1(SALU_CYCLE_1)
	s_and_saveexec_b32 s7, s6
	s_xor_b32 s6, exec_lo, s7
; %bb.31:                               ;   in Loop: Header=BB122_2 Depth=1
	ds_load_b64 v[5:6], v7 offset:8
                                        ; implicit-def: $vgpr56
; %bb.32:                               ;   in Loop: Header=BB122_2 Depth=1
	s_or_saveexec_b32 s6, s6
	v_dual_mov_b32 v8, v4 :: v_dual_mov_b32 v7, v3
	s_xor_b32 exec_lo, exec_lo, s6
	s_cbranch_execz .LBB122_34
; %bb.33:                               ;   in Loop: Header=BB122_2 Depth=1
	ds_load_b64 v[7:8], v56 offset:8
	s_wait_dscnt 0x1
	v_dual_mov_b32 v6, v2 :: v_dual_mov_b32 v5, v1
.LBB122_34:                             ;   in Loop: Header=BB122_2 Depth=1
	s_or_b32 exec_lo, exec_lo, s6
	v_add_nc_u32_e32 v56, 1, v55
	v_add_nc_u32_e32 v57, 1, v54
	s_wait_dscnt 0x0
	v_cmp_lt_i64_e64 s6, v[7:8], v[5:6]
	v_cndmask_b32_e64 v2, v2, v4, s5
	v_cndmask_b32_e64 v1, v1, v3, s5
	;; [unrolled: 1-line block ×4, first 2 shown]
	s_wait_loadcnt 0x0
	s_barrier_signal -1
	s_barrier_wait -1
	v_cmp_ge_i32_e64 s7, v55, v28
	v_cmp_lt_i32_e64 s8, v54, v29
	global_inv scope:SCOPE_SE
	s_or_b32 s5, s7, s6
	s_wait_alu 0xfffe
	s_and_b32 s5, s8, s5
	s_wait_alu 0xfffe
	v_cndmask_b32_e64 v4, v6, v8, s5
	v_cndmask_b32_e64 v3, v5, v7, s5
	v_mov_b32_e32 v5, v40
	ds_store_2addr_b64 v13, v[1:2], v[3:4] offset1:1
	s_wait_loadcnt_dscnt 0x0
	s_barrier_signal -1
	s_barrier_wait -1
	global_inv scope:SCOPE_SE
	s_and_saveexec_b32 s6, s3
	s_cbranch_execz .LBB122_38
; %bb.35:                               ;   in Loop: Header=BB122_2 Depth=1
	v_mov_b32_e32 v5, v40
	v_mov_b32_e32 v1, v41
	s_mov_b32 s7, 0
.LBB122_36:                             ;   Parent Loop BB122_2 Depth=1
                                        ; =>  This Inner Loop Header: Depth=2
	s_delay_alu instid0(VALU_DEP_1) | instskip(NEXT) | instid1(VALU_DEP_1)
	v_sub_nc_u32_e32 v2, v1, v5
	v_lshrrev_b32_e32 v2, 1, v2
	s_delay_alu instid0(VALU_DEP_1) | instskip(NEXT) | instid1(VALU_DEP_1)
	v_add_nc_u32_e32 v4, v2, v5
	v_not_b32_e32 v2, v4
	v_lshl_add_u32 v3, v4, 3, v45
	s_delay_alu instid0(VALU_DEP_2)
	v_lshl_add_u32 v6, v2, 3, v52
	ds_load_b64 v[2:3], v3
	ds_load_b64 v[6:7], v6
	s_wait_dscnt 0x0
	v_cmp_lt_i64_e64 s5, v[6:7], v[2:3]
	v_add_nc_u32_e32 v2, 1, v4
	s_wait_alu 0xf1ff
	s_delay_alu instid0(VALU_DEP_2) | instskip(NEXT) | instid1(VALU_DEP_2)
	v_cndmask_b32_e64 v1, v1, v4, s5
	v_cndmask_b32_e64 v5, v2, v5, s5
	s_delay_alu instid0(VALU_DEP_1) | instskip(SKIP_1) | instid1(SALU_CYCLE_1)
	v_cmp_ge_i32_e64 s5, v5, v1
	s_or_b32 s7, s5, s7
	s_and_not1_b32 exec_lo, exec_lo, s7
	s_cbranch_execnz .LBB122_36
; %bb.37:                               ;   in Loop: Header=BB122_2 Depth=1
	s_or_b32 exec_lo, exec_lo, s7
.LBB122_38:                             ;   in Loop: Header=BB122_2 Depth=1
	s_delay_alu instid0(SALU_CYCLE_1) | instskip(SKIP_3) | instid1(VALU_DEP_3)
	s_or_b32 exec_lo, exec_lo, s6
	v_sub_nc_u32_e32 v54, v46, v5
	v_lshl_add_u32 v7, v5, 3, v45
	v_add_nc_u32_e32 v55, v5, v31
                                        ; implicit-def: $vgpr5_vgpr6
	v_lshlrev_b32_e32 v56, 3, v54
	v_cmp_gt_i32_e64 s7, v35, v54
	s_delay_alu instid0(VALU_DEP_3)
	v_cmp_le_i32_e64 s6, v34, v55
	ds_load_b64 v[1:2], v7
	ds_load_b64 v[3:4], v56
	s_wait_dscnt 0x0
	v_cmp_lt_i64_e64 s5, v[3:4], v[1:2]
	s_or_b32 s5, s6, s5
	s_wait_alu 0xfffe
	s_and_b32 s5, s7, s5
	s_wait_alu 0xfffe
	s_xor_b32 s6, s5, -1
	s_delay_alu instid0(SALU_CYCLE_1) | instskip(NEXT) | instid1(SALU_CYCLE_1)
	s_and_saveexec_b32 s7, s6
	s_xor_b32 s6, exec_lo, s7
; %bb.39:                               ;   in Loop: Header=BB122_2 Depth=1
	ds_load_b64 v[5:6], v7 offset:8
                                        ; implicit-def: $vgpr56
; %bb.40:                               ;   in Loop: Header=BB122_2 Depth=1
	s_or_saveexec_b32 s6, s6
	v_dual_mov_b32 v8, v4 :: v_dual_mov_b32 v7, v3
	s_xor_b32 exec_lo, exec_lo, s6
	s_cbranch_execz .LBB122_42
; %bb.41:                               ;   in Loop: Header=BB122_2 Depth=1
	ds_load_b64 v[7:8], v56 offset:8
	s_wait_dscnt 0x1
	v_dual_mov_b32 v6, v2 :: v_dual_mov_b32 v5, v1
.LBB122_42:                             ;   in Loop: Header=BB122_2 Depth=1
	s_or_b32 exec_lo, exec_lo, s6
	v_add_nc_u32_e32 v56, 1, v55
	v_add_nc_u32_e32 v57, 1, v54
	s_wait_dscnt 0x0
	v_cmp_lt_i64_e64 s6, v[7:8], v[5:6]
	v_cndmask_b32_e64 v2, v2, v4, s5
	v_cndmask_b32_e64 v1, v1, v3, s5
	;; [unrolled: 1-line block ×4, first 2 shown]
	s_wait_loadcnt 0x0
	s_barrier_signal -1
	s_barrier_wait -1
	v_cmp_ge_i32_e64 s7, v55, v34
	v_cmp_lt_i32_e64 s8, v54, v35
	v_mov_b32_e32 v54, v42
	global_inv scope:SCOPE_SE
	s_or_b32 s5, s7, s6
	s_wait_alu 0xfffe
	s_and_b32 s5, s8, s5
	s_wait_alu 0xfffe
	v_cndmask_b32_e64 v4, v6, v8, s5
	v_cndmask_b32_e64 v3, v5, v7, s5
	ds_store_2addr_b64 v13, v[1:2], v[3:4] offset1:1
	s_wait_loadcnt_dscnt 0x0
	s_barrier_signal -1
	s_barrier_wait -1
	global_inv scope:SCOPE_SE
	s_and_saveexec_b32 s6, s4
	s_cbranch_execz .LBB122_46
; %bb.43:                               ;   in Loop: Header=BB122_2 Depth=1
	v_dual_mov_b32 v54, v42 :: v_dual_mov_b32 v1, v43
	s_mov_b32 s7, 0
.LBB122_44:                             ;   Parent Loop BB122_2 Depth=1
                                        ; =>  This Inner Loop Header: Depth=2
	s_delay_alu instid0(VALU_DEP_1) | instskip(NEXT) | instid1(VALU_DEP_1)
	v_sub_nc_u32_e32 v2, v1, v54
	v_lshrrev_b32_e32 v2, 1, v2
	s_delay_alu instid0(VALU_DEP_1) | instskip(NEXT) | instid1(VALU_DEP_1)
	v_add_nc_u32_e32 v6, v2, v54
	v_not_b32_e32 v2, v6
	v_lshlrev_b32_e32 v3, 3, v6
	s_delay_alu instid0(VALU_DEP_2)
	v_lshl_add_u32 v4, v2, 3, v53
	ds_load_b64 v[2:3], v3
	ds_load_b64 v[4:5], v4
	s_wait_dscnt 0x0
	v_cmp_lt_i64_e64 s5, v[4:5], v[2:3]
	v_add_nc_u32_e32 v2, 1, v6
	s_wait_alu 0xf1ff
	s_delay_alu instid0(VALU_DEP_2) | instskip(NEXT) | instid1(VALU_DEP_2)
	v_cndmask_b32_e64 v1, v1, v6, s5
	v_cndmask_b32_e64 v54, v2, v54, s5
	s_delay_alu instid0(VALU_DEP_1) | instskip(SKIP_1) | instid1(SALU_CYCLE_1)
	v_cmp_ge_i32_e64 s5, v54, v1
	s_or_b32 s7, s5, s7
	s_and_not1_b32 exec_lo, exec_lo, s7
	s_cbranch_execnz .LBB122_44
; %bb.45:                               ;   in Loop: Header=BB122_2 Depth=1
	s_or_b32 exec_lo, exec_lo, s7
.LBB122_46:                             ;   in Loop: Header=BB122_2 Depth=1
	s_delay_alu instid0(SALU_CYCLE_1) | instskip(SKIP_3) | instid1(VALU_DEP_3)
	s_or_b32 exec_lo, exec_lo, s6
	v_sub_nc_u32_e32 v55, v47, v54
	v_lshlrev_b32_e32 v7, 3, v54
	v_cmp_le_i32_e64 s6, 64, v54
                                        ; implicit-def: $vgpr5_vgpr6
	v_lshlrev_b32_e32 v56, 3, v55
	v_cmp_gt_i32_e64 s7, 0x80, v55
	ds_load_b64 v[1:2], v7
	ds_load_b64 v[3:4], v56
	s_wait_dscnt 0x0
	v_cmp_lt_i64_e64 s5, v[3:4], v[1:2]
	s_or_b32 s5, s6, s5
	s_wait_alu 0xfffe
	s_and_b32 s5, s7, s5
	s_wait_alu 0xfffe
	s_xor_b32 s6, s5, -1
	s_delay_alu instid0(SALU_CYCLE_1) | instskip(NEXT) | instid1(SALU_CYCLE_1)
	s_and_saveexec_b32 s7, s6
	s_xor_b32 s6, exec_lo, s7
; %bb.47:                               ;   in Loop: Header=BB122_2 Depth=1
	ds_load_b64 v[5:6], v7 offset:8
	v_add_nc_u32_e32 v54, 1, v54
                                        ; implicit-def: $vgpr56
; %bb.48:                               ;   in Loop: Header=BB122_2 Depth=1
	s_or_saveexec_b32 s6, s6
	v_dual_mov_b32 v8, v4 :: v_dual_mov_b32 v7, v3
	s_xor_b32 exec_lo, exec_lo, s6
	s_cbranch_execz .LBB122_1
; %bb.49:                               ;   in Loop: Header=BB122_2 Depth=1
	ds_load_b64 v[7:8], v56 offset:8
	s_wait_dscnt 0x1
	v_dual_mov_b32 v6, v2 :: v_dual_add_nc_u32 v55, 1, v55
	v_mov_b32_e32 v5, v1
	s_branch .LBB122_1
.LBB122_50:
	v_lshlrev_b32_e32 v0, 3, v0
	s_add_nc_u64 s[0:1], s[10:11], s[14:15]
	s_clause 0x1
	global_store_b64 v0, v[1:2], s[0:1]
	global_store_b64 v0, v[3:4], s[0:1] offset:512
	s_endpgm
	.section	.rodata,"a",@progbits
	.p2align	6, 0x0
	.amdhsa_kernel _Z16sort_keys_kernelIxLj64ELj2EN10test_utils4lessELj10EEvPKT_PS2_T2_
		.amdhsa_group_segment_fixed_size 1032
		.amdhsa_private_segment_fixed_size 0
		.amdhsa_kernarg_size 20
		.amdhsa_user_sgpr_count 2
		.amdhsa_user_sgpr_dispatch_ptr 0
		.amdhsa_user_sgpr_queue_ptr 0
		.amdhsa_user_sgpr_kernarg_segment_ptr 1
		.amdhsa_user_sgpr_dispatch_id 0
		.amdhsa_user_sgpr_private_segment_size 0
		.amdhsa_wavefront_size32 1
		.amdhsa_uses_dynamic_stack 0
		.amdhsa_enable_private_segment 0
		.amdhsa_system_sgpr_workgroup_id_x 1
		.amdhsa_system_sgpr_workgroup_id_y 0
		.amdhsa_system_sgpr_workgroup_id_z 0
		.amdhsa_system_sgpr_workgroup_info 0
		.amdhsa_system_vgpr_workitem_id 0
		.amdhsa_next_free_vgpr 58
		.amdhsa_next_free_sgpr 16
		.amdhsa_reserve_vcc 1
		.amdhsa_float_round_mode_32 0
		.amdhsa_float_round_mode_16_64 0
		.amdhsa_float_denorm_mode_32 3
		.amdhsa_float_denorm_mode_16_64 3
		.amdhsa_fp16_overflow 0
		.amdhsa_workgroup_processor_mode 1
		.amdhsa_memory_ordered 1
		.amdhsa_forward_progress 1
		.amdhsa_inst_pref_size 27
		.amdhsa_round_robin_scheduling 0
		.amdhsa_exception_fp_ieee_invalid_op 0
		.amdhsa_exception_fp_denorm_src 0
		.amdhsa_exception_fp_ieee_div_zero 0
		.amdhsa_exception_fp_ieee_overflow 0
		.amdhsa_exception_fp_ieee_underflow 0
		.amdhsa_exception_fp_ieee_inexact 0
		.amdhsa_exception_int_div_zero 0
	.end_amdhsa_kernel
	.section	.text._Z16sort_keys_kernelIxLj64ELj2EN10test_utils4lessELj10EEvPKT_PS2_T2_,"axG",@progbits,_Z16sort_keys_kernelIxLj64ELj2EN10test_utils4lessELj10EEvPKT_PS2_T2_,comdat
.Lfunc_end122:
	.size	_Z16sort_keys_kernelIxLj64ELj2EN10test_utils4lessELj10EEvPKT_PS2_T2_, .Lfunc_end122-_Z16sort_keys_kernelIxLj64ELj2EN10test_utils4lessELj10EEvPKT_PS2_T2_
                                        ; -- End function
	.set _Z16sort_keys_kernelIxLj64ELj2EN10test_utils4lessELj10EEvPKT_PS2_T2_.num_vgpr, 58
	.set _Z16sort_keys_kernelIxLj64ELj2EN10test_utils4lessELj10EEvPKT_PS2_T2_.num_agpr, 0
	.set _Z16sort_keys_kernelIxLj64ELj2EN10test_utils4lessELj10EEvPKT_PS2_T2_.numbered_sgpr, 16
	.set _Z16sort_keys_kernelIxLj64ELj2EN10test_utils4lessELj10EEvPKT_PS2_T2_.num_named_barrier, 0
	.set _Z16sort_keys_kernelIxLj64ELj2EN10test_utils4lessELj10EEvPKT_PS2_T2_.private_seg_size, 0
	.set _Z16sort_keys_kernelIxLj64ELj2EN10test_utils4lessELj10EEvPKT_PS2_T2_.uses_vcc, 1
	.set _Z16sort_keys_kernelIxLj64ELj2EN10test_utils4lessELj10EEvPKT_PS2_T2_.uses_flat_scratch, 0
	.set _Z16sort_keys_kernelIxLj64ELj2EN10test_utils4lessELj10EEvPKT_PS2_T2_.has_dyn_sized_stack, 0
	.set _Z16sort_keys_kernelIxLj64ELj2EN10test_utils4lessELj10EEvPKT_PS2_T2_.has_recursion, 0
	.set _Z16sort_keys_kernelIxLj64ELj2EN10test_utils4lessELj10EEvPKT_PS2_T2_.has_indirect_call, 0
	.section	.AMDGPU.csdata,"",@progbits
; Kernel info:
; codeLenInByte = 3388
; TotalNumSgprs: 18
; NumVgprs: 58
; ScratchSize: 0
; MemoryBound: 0
; FloatMode: 240
; IeeeMode: 1
; LDSByteSize: 1032 bytes/workgroup (compile time only)
; SGPRBlocks: 0
; VGPRBlocks: 7
; NumSGPRsForWavesPerEU: 18
; NumVGPRsForWavesPerEU: 58
; Occupancy: 16
; WaveLimiterHint : 1
; COMPUTE_PGM_RSRC2:SCRATCH_EN: 0
; COMPUTE_PGM_RSRC2:USER_SGPR: 2
; COMPUTE_PGM_RSRC2:TRAP_HANDLER: 0
; COMPUTE_PGM_RSRC2:TGID_X_EN: 1
; COMPUTE_PGM_RSRC2:TGID_Y_EN: 0
; COMPUTE_PGM_RSRC2:TGID_Z_EN: 0
; COMPUTE_PGM_RSRC2:TIDIG_COMP_CNT: 0
	.section	.text._Z17sort_pairs_kernelIxLj64ELj2EN10test_utils4lessELj10EEvPKT_PS2_T2_,"axG",@progbits,_Z17sort_pairs_kernelIxLj64ELj2EN10test_utils4lessELj10EEvPKT_PS2_T2_,comdat
	.protected	_Z17sort_pairs_kernelIxLj64ELj2EN10test_utils4lessELj10EEvPKT_PS2_T2_ ; -- Begin function _Z17sort_pairs_kernelIxLj64ELj2EN10test_utils4lessELj10EEvPKT_PS2_T2_
	.globl	_Z17sort_pairs_kernelIxLj64ELj2EN10test_utils4lessELj10EEvPKT_PS2_T2_
	.p2align	8
	.type	_Z17sort_pairs_kernelIxLj64ELj2EN10test_utils4lessELj10EEvPKT_PS2_T2_,@function
_Z17sort_pairs_kernelIxLj64ELj2EN10test_utils4lessELj10EEvPKT_PS2_T2_: ; @_Z17sort_pairs_kernelIxLj64ELj2EN10test_utils4lessELj10EEvPKT_PS2_T2_
; %bb.0:
	s_load_b128 s[8:11], s[0:1], 0x0
	s_lshl_b32 s14, ttmp9, 7
	s_mov_b32 s15, 0
	v_lshlrev_b32_e32 v1, 3, v0
	s_lshl_b64 s[12:13], s[14:15], 3
	v_lshlrev_b32_e32 v5, 1, v0
	v_lshlrev_b32_e32 v17, 4, v0
	s_delay_alu instid0(VALU_DEP_2)
	v_and_b32_e32 v18, 0x7c, v5
	v_and_b32_e32 v6, 2, v5
	;; [unrolled: 1-line block ×5, first 2 shown]
	v_or_b32_e32 v26, 2, v18
	v_add_nc_u32_e32 v27, 4, v18
	v_and_b32_e32 v8, 14, v5
	v_and_b32_e32 v21, 0x60, v5
	;; [unrolled: 1-line block ×3, first 2 shown]
	s_wait_kmcnt 0x0
	s_add_nc_u64 s[0:1], s[8:9], s[12:13]
	v_and_b32_e32 v22, 64, v5
	s_clause 0x1
	global_load_b64 v[3:4], v1, s[0:1]
	global_load_b64 v[1:2], v1, s[0:1] offset:512
	v_and_b32_e32 v10, 62, v5
	v_sub_nc_u32_e64 v23, v5, 64 clamp
	v_min_i32_e32 v24, 64, v5
	v_add_nc_u32_e32 v25, 64, v5
	v_or_b32_e32 v29, 4, v19
	v_add_nc_u32_e32 v30, 8, v19
	v_lshlrev_b32_e32 v5, 3, v6
	v_sub_nc_u32_e32 v16, v27, v26
	v_or_b32_e32 v32, 8, v20
	v_add_nc_u32_e32 v33, 16, v20
	v_lshlrev_b32_e32 v11, 3, v7
	v_sub_nc_u32_e32 v57, v30, v29
	v_lshl_add_u32 v46, v26, 3, v5
	v_sub_nc_u32_e32 v5, v6, v16
	v_cmp_ge_i32_e64 s0, v6, v16
	v_or_b32_e32 v35, 16, v21
	v_add_nc_u32_e32 v36, 32, v21
	v_lshlrev_b32_e32 v12, 3, v8
	v_sub_nc_u32_e32 v58, v33, v32
	v_lshl_add_u32 v47, v29, 3, v11
	v_sub_nc_u32_e32 v11, v7, v57
	v_cndmask_b32_e64 v56, 0, v5, s0
	v_cmp_ge_i32_e64 s0, v7, v57
	v_or_b32_e32 v38, 32, v22
	v_add_nc_u32_e32 v39, 64, v22
	v_lshlrev_b32_e32 v13, 3, v9
	v_sub_nc_u32_e32 v59, v36, v35
	v_lshl_add_u32 v48, v32, 3, v12
	v_sub_nc_u32_e32 v12, v8, v58
	s_wait_alu 0xf1ff
	v_cndmask_b32_e64 v57, 0, v11, s0
	v_cmp_ge_i32_e64 s0, v8, v58
	v_lshlrev_b32_e32 v14, 3, v10
	v_sub_nc_u32_e32 v60, v39, v38
	v_lshl_add_u32 v49, v35, 3, v13
	v_sub_nc_u32_e32 v13, v9, v59
	s_wait_alu 0xf1ff
	v_cndmask_b32_e64 v58, 0, v12, s0
	v_cmp_ge_i32_e64 s0, v9, v59
	v_sub_nc_u32_e32 v15, v26, v18
	v_sub_nc_u32_e32 v52, v29, v19
	v_sub_nc_u32_e32 v53, v32, v20
	v_sub_nc_u32_e32 v54, v35, v21
	v_sub_nc_u32_e32 v55, v38, v22
	v_lshl_add_u32 v50, v38, 3, v14
	v_sub_nc_u32_e32 v14, v10, v60
	s_wait_alu 0xf1ff
	v_cndmask_b32_e64 v59, 0, v13, s0
	v_cmp_ge_i32_e64 s0, v10, v60
	v_min_i32_e32 v51, v6, v15
	v_min_i32_e32 v52, v7, v52
	;; [unrolled: 1-line block ×5, first 2 shown]
	s_wait_alu 0xf1ff
	v_cndmask_b32_e64 v60, 0, v14, s0
	v_add_nc_u32_e32 v42, v29, v7
	v_add_nc_u32_e32 v43, v32, v8
	v_lshlrev_b32_e32 v28, 3, v18
	v_lshlrev_b32_e32 v31, 3, v19
	;; [unrolled: 1-line block ×5, first 2 shown]
	v_add_nc_u32_e32 v41, v26, v6
	v_add_nc_u32_e32 v44, v35, v9
	;; [unrolled: 1-line block ×3, first 2 shown]
	v_cmp_lt_i32_e64 s0, v56, v51
	v_cmp_lt_i32_e64 s1, v57, v52
	;; [unrolled: 1-line block ×5, first 2 shown]
	v_add_nc_u32_e32 v61, 0x200, v17
	v_cmp_lt_i32_e32 vcc_lo, v23, v24
	s_wait_loadcnt 0x1
	v_add_co_u32 v7, s5, v3, 1
	s_delay_alu instid0(VALU_DEP_1)
	v_add_co_ci_u32_e64 v8, null, 0, v4, s5
	s_wait_loadcnt 0x0
	v_add_co_u32 v5, s5, v1, 1
	s_wait_alu 0xf1ff
	v_add_co_ci_u32_e64 v6, null, 0, v2, s5
	s_branch .LBB123_2
.LBB123_1:                              ;   in Loop: Header=BB123_2 Depth=1
	s_or_b32 exec_lo, exec_lo, s6
	s_wait_dscnt 0x0
	s_delay_alu instid0(VALU_DEP_1)
	v_cmp_lt_i64_e64 s6, v[13:14], v[1:2]
	v_cmp_le_i32_e64 s7, 64, v15
	v_cmp_gt_i32_e64 s8, 0x80, v8
	s_wait_loadcnt 0x0
	s_barrier_signal -1
	s_barrier_wait -1
	s_or_b32 s6, s7, s6
	global_inv scope:SCOPE_SE
	s_wait_alu 0xfffe
	s_and_b32 s6, s8, s6
	ds_store_2addr_b64 v17, v[3:4], v[5:6] offset1:1
	s_wait_alu 0xfffe
	v_cndmask_b32_e64 v7, v15, v8, s6
	v_lshlrev_b32_e32 v3, 3, v16
	s_wait_loadcnt_dscnt 0x0
	s_barrier_signal -1
	s_barrier_wait -1
	v_lshlrev_b32_e32 v4, 3, v7
	global_inv scope:SCOPE_SE
	v_cndmask_b32_e64 v2, v2, v14, s6
	v_cndmask_b32_e64 v1, v1, v13, s6
	ds_load_b64 v[7:8], v3
	ds_load_b64 v[5:6], v4
	v_cndmask_b32_e64 v4, v10, v12, s5
	v_cndmask_b32_e64 v3, v9, v11, s5
	s_add_co_i32 s15, s15, 1
	s_delay_alu instid0(SALU_CYCLE_1)
	s_cmp_eq_u32 s15, 10
	s_cbranch_scc1 .LBB123_50
.LBB123_2:                              ; =>This Loop Header: Depth=1
                                        ;     Child Loop BB123_4 Depth 2
                                        ;     Child Loop BB123_12 Depth 2
	;; [unrolled: 1-line block ×6, first 2 shown]
	s_delay_alu instid0(VALU_DEP_1)
	v_cmp_lt_i64_e64 s5, v[1:2], v[3:4]
	s_barrier_signal -1
	s_barrier_wait -1
	global_inv scope:SCOPE_SE
	s_wait_alu 0xf1ff
	v_cndmask_b32_e64 v10, v2, v4, s5
	v_cndmask_b32_e64 v9, v1, v3, s5
	v_cndmask_b32_e64 v4, v4, v2, s5
	v_cndmask_b32_e64 v3, v3, v1, s5
	v_mov_b32_e32 v2, v56
	ds_store_2addr_b64 v17, v[3:4], v[9:10] offset1:1
	s_wait_loadcnt_dscnt 0x0
	s_barrier_signal -1
	s_barrier_wait -1
	global_inv scope:SCOPE_SE
	s_and_saveexec_b32 s7, s0
	s_cbranch_execz .LBB123_6
; %bb.3:                                ;   in Loop: Header=BB123_2 Depth=1
	v_dual_mov_b32 v2, v56 :: v_dual_mov_b32 v1, v51
	s_mov_b32 s8, 0
.LBB123_4:                              ;   Parent Loop BB123_2 Depth=1
                                        ; =>  This Inner Loop Header: Depth=2
	s_delay_alu instid0(VALU_DEP_1) | instskip(NEXT) | instid1(VALU_DEP_1)
	v_sub_nc_u32_e32 v3, v1, v2
	v_lshrrev_b32_e32 v3, 1, v3
	s_delay_alu instid0(VALU_DEP_1) | instskip(NEXT) | instid1(VALU_DEP_1)
	v_add_nc_u32_e32 v11, v3, v2
	v_not_b32_e32 v3, v11
	v_lshl_add_u32 v4, v11, 3, v28
	s_delay_alu instid0(VALU_DEP_2)
	v_lshl_add_u32 v9, v3, 3, v46
	ds_load_b64 v[3:4], v4
	ds_load_b64 v[9:10], v9
	s_wait_dscnt 0x0
	v_cmp_lt_i64_e64 s6, v[9:10], v[3:4]
	v_add_nc_u32_e32 v3, 1, v11
	s_wait_alu 0xf1ff
	s_delay_alu instid0(VALU_DEP_2) | instskip(NEXT) | instid1(VALU_DEP_2)
	v_cndmask_b32_e64 v1, v1, v11, s6
	v_cndmask_b32_e64 v2, v3, v2, s6
	s_delay_alu instid0(VALU_DEP_1) | instskip(SKIP_1) | instid1(SALU_CYCLE_1)
	v_cmp_ge_i32_e64 s6, v2, v1
	s_or_b32 s8, s6, s8
	s_and_not1_b32 exec_lo, exec_lo, s8
	s_cbranch_execnz .LBB123_4
; %bb.5:                                ;   in Loop: Header=BB123_2 Depth=1
	s_or_b32 exec_lo, exec_lo, s8
.LBB123_6:                              ;   in Loop: Header=BB123_2 Depth=1
	s_wait_alu 0xfffe
	s_or_b32 exec_lo, exec_lo, s7
	v_sub_nc_u32_e32 v1, v41, v2
	v_lshl_add_u32 v4, v2, 3, v28
	v_add_nc_u32_e32 v2, v2, v18
                                        ; implicit-def: $vgpr13_vgpr14
	s_delay_alu instid0(VALU_DEP_3) | instskip(SKIP_1) | instid1(VALU_DEP_3)
	v_lshlrev_b32_e32 v3, 3, v1
	v_cmp_gt_i32_e64 s8, v27, v1
	v_cmp_le_i32_e64 s7, v26, v2
	ds_load_b64 v[9:10], v4
	ds_load_b64 v[11:12], v3
	s_wait_dscnt 0x0
	v_cmp_lt_i64_e64 s6, v[11:12], v[9:10]
	s_or_b32 s6, s7, s6
	s_wait_alu 0xfffe
	s_and_b32 s6, s8, s6
	s_wait_alu 0xfffe
	s_xor_b32 s7, s6, -1
	s_wait_alu 0xfffe
	s_and_saveexec_b32 s8, s7
	s_delay_alu instid0(SALU_CYCLE_1)
	s_xor_b32 s7, exec_lo, s8
; %bb.7:                                ;   in Loop: Header=BB123_2 Depth=1
	ds_load_b64 v[13:14], v4 offset:8
                                        ; implicit-def: $vgpr3
; %bb.8:                                ;   in Loop: Header=BB123_2 Depth=1
	s_wait_alu 0xfffe
	s_or_saveexec_b32 s7, s7
	v_dual_mov_b32 v16, v12 :: v_dual_mov_b32 v15, v11
	s_wait_alu 0xfffe
	s_xor_b32 exec_lo, exec_lo, s7
	s_cbranch_execz .LBB123_10
; %bb.9:                                ;   in Loop: Header=BB123_2 Depth=1
	ds_load_b64 v[15:16], v3 offset:8
	s_wait_dscnt 0x1
	v_dual_mov_b32 v14, v10 :: v_dual_mov_b32 v13, v9
.LBB123_10:                             ;   in Loop: Header=BB123_2 Depth=1
	s_or_b32 exec_lo, exec_lo, s7
	v_add_nc_u32_e32 v3, 1, v2
	v_add_nc_u32_e32 v4, 1, v1
	s_wait_dscnt 0x0
	v_cmp_lt_i64_e64 s7, v[15:16], v[13:14]
	v_cndmask_b32_e64 v62, v2, v1, s6
	s_wait_loadcnt 0x0
	v_cndmask_b32_e64 v63, v3, v2, s6
	v_cndmask_b32_e64 v64, v1, v4, s6
	;; [unrolled: 1-line block ×5, first 2 shown]
	v_cmp_ge_i32_e64 s8, v63, v26
	v_cmp_lt_i32_e64 s9, v64, v27
	v_cndmask_b32_e64 v3, v7, v5, s5
	s_barrier_signal -1
	s_barrier_wait -1
	s_or_b32 s5, s8, s7
	global_inv scope:SCOPE_SE
	s_wait_alu 0xfffe
	s_and_b32 s5, s9, s5
	ds_store_2addr_b64 v17, v[3:4], v[1:2] offset1:1
	s_wait_alu 0xfffe
	v_cndmask_b32_e64 v5, v63, v64, s5
	v_lshlrev_b32_e32 v1, 3, v62
	s_wait_loadcnt_dscnt 0x0
	s_barrier_signal -1
	s_barrier_wait -1
	v_lshlrev_b32_e32 v3, 3, v5
	global_inv scope:SCOPE_SE
	v_cndmask_b32_e64 v6, v14, v16, s5
	v_cndmask_b32_e64 v8, v10, v12, s6
	ds_load_b64 v[1:2], v1
	ds_load_b64 v[3:4], v3
	v_cndmask_b32_e64 v7, v9, v11, s6
	v_cndmask_b32_e64 v5, v13, v15, s5
	v_mov_b32_e32 v9, v57
	s_wait_loadcnt_dscnt 0x0
	s_barrier_signal -1
	s_barrier_wait -1
	global_inv scope:SCOPE_SE
	ds_store_2addr_b64 v17, v[7:8], v[5:6] offset1:1
	s_wait_loadcnt_dscnt 0x0
	s_barrier_signal -1
	s_barrier_wait -1
	global_inv scope:SCOPE_SE
	s_and_saveexec_b32 s6, s1
	s_cbranch_execz .LBB123_14
; %bb.11:                               ;   in Loop: Header=BB123_2 Depth=1
	v_mov_b32_e32 v9, v57
	v_mov_b32_e32 v5, v52
	s_mov_b32 s7, 0
.LBB123_12:                             ;   Parent Loop BB123_2 Depth=1
                                        ; =>  This Inner Loop Header: Depth=2
	s_delay_alu instid0(VALU_DEP_1) | instskip(NEXT) | instid1(VALU_DEP_1)
	v_sub_nc_u32_e32 v6, v5, v9
	v_lshrrev_b32_e32 v6, 1, v6
	s_delay_alu instid0(VALU_DEP_1) | instskip(NEXT) | instid1(VALU_DEP_1)
	v_add_nc_u32_e32 v8, v6, v9
	v_not_b32_e32 v6, v8
	v_lshl_add_u32 v7, v8, 3, v31
	s_delay_alu instid0(VALU_DEP_2)
	v_lshl_add_u32 v10, v6, 3, v47
	ds_load_b64 v[6:7], v7
	ds_load_b64 v[10:11], v10
	s_wait_dscnt 0x0
	v_cmp_lt_i64_e64 s5, v[10:11], v[6:7]
	v_add_nc_u32_e32 v6, 1, v8
	s_wait_alu 0xf1ff
	s_delay_alu instid0(VALU_DEP_2) | instskip(NEXT) | instid1(VALU_DEP_2)
	v_cndmask_b32_e64 v5, v5, v8, s5
	v_cndmask_b32_e64 v9, v6, v9, s5
	s_delay_alu instid0(VALU_DEP_1)
	v_cmp_ge_i32_e64 s5, v9, v5
	s_wait_alu 0xfffe
	s_or_b32 s7, s5, s7
	s_wait_alu 0xfffe
	s_and_not1_b32 exec_lo, exec_lo, s7
	s_cbranch_execnz .LBB123_12
; %bb.13:                               ;   in Loop: Header=BB123_2 Depth=1
	s_or_b32 exec_lo, exec_lo, s7
.LBB123_14:                             ;   in Loop: Header=BB123_2 Depth=1
	s_wait_alu 0xfffe
	s_or_b32 exec_lo, exec_lo, s6
	v_sub_nc_u32_e32 v13, v42, v9
	v_lshl_add_u32 v11, v9, 3, v31
	v_add_nc_u32_e32 v14, v9, v19
                                        ; implicit-def: $vgpr9_vgpr10
	s_delay_alu instid0(VALU_DEP_3) | instskip(SKIP_1) | instid1(VALU_DEP_3)
	v_lshlrev_b32_e32 v15, 3, v13
	v_cmp_gt_i32_e64 s7, v30, v13
	v_cmp_le_i32_e64 s6, v29, v14
	ds_load_b64 v[5:6], v11
	ds_load_b64 v[7:8], v15
	s_wait_dscnt 0x0
	v_cmp_lt_i64_e64 s5, v[7:8], v[5:6]
	s_or_b32 s5, s6, s5
	s_wait_alu 0xfffe
	s_and_b32 s5, s7, s5
	s_wait_alu 0xfffe
	s_xor_b32 s6, s5, -1
	s_wait_alu 0xfffe
	s_and_saveexec_b32 s7, s6
	s_wait_alu 0xfffe
	s_xor_b32 s6, exec_lo, s7
; %bb.15:                               ;   in Loop: Header=BB123_2 Depth=1
	ds_load_b64 v[9:10], v11 offset:8
                                        ; implicit-def: $vgpr15
; %bb.16:                               ;   in Loop: Header=BB123_2 Depth=1
	s_wait_alu 0xfffe
	s_or_saveexec_b32 s6, s6
	v_dual_mov_b32 v12, v8 :: v_dual_mov_b32 v11, v7
	s_wait_alu 0xfffe
	s_xor_b32 exec_lo, exec_lo, s6
	s_cbranch_execz .LBB123_18
; %bb.17:                               ;   in Loop: Header=BB123_2 Depth=1
	ds_load_b64 v[11:12], v15 offset:8
	s_wait_dscnt 0x1
	v_dual_mov_b32 v10, v6 :: v_dual_mov_b32 v9, v5
.LBB123_18:                             ;   in Loop: Header=BB123_2 Depth=1
	s_or_b32 exec_lo, exec_lo, s6
	v_add_nc_u32_e32 v15, 1, v14
	v_add_nc_u32_e32 v16, 1, v13
	s_wait_dscnt 0x0
	v_cmp_lt_i64_e64 s6, v[11:12], v[9:10]
	s_wait_loadcnt 0x0
	s_barrier_signal -1
	v_cndmask_b32_e64 v15, v15, v14, s5
	v_cndmask_b32_e64 v16, v13, v16, s5
	;; [unrolled: 1-line block ×3, first 2 shown]
	s_barrier_wait -1
	global_inv scope:SCOPE_SE
	v_cmp_ge_i32_e64 s7, v15, v29
	v_cmp_lt_i32_e64 s8, v16, v30
	ds_store_2addr_b64 v17, v[1:2], v[3:4] offset1:1
	v_lshlrev_b32_e32 v1, 3, v13
	s_wait_loadcnt_dscnt 0x0
	s_or_b32 s6, s7, s6
	s_barrier_signal -1
	s_wait_alu 0xfffe
	s_and_b32 s6, s8, s6
	s_barrier_wait -1
	s_wait_alu 0xfffe
	v_cndmask_b32_e64 v10, v10, v12, s6
	v_cndmask_b32_e64 v12, v15, v16, s6
	global_inv scope:SCOPE_SE
	v_cndmask_b32_e64 v6, v6, v8, s5
	v_cndmask_b32_e64 v5, v5, v7, s5
	;; [unrolled: 1-line block ×3, first 2 shown]
	v_lshlrev_b32_e32 v3, 3, v12
	ds_load_b64 v[1:2], v1
	ds_load_b64 v[3:4], v3
	s_wait_loadcnt_dscnt 0x0
	s_barrier_signal -1
	s_barrier_wait -1
	global_inv scope:SCOPE_SE
	ds_store_2addr_b64 v17, v[5:6], v[9:10] offset1:1
	v_mov_b32_e32 v9, v58
	s_wait_loadcnt_dscnt 0x0
	s_barrier_signal -1
	s_barrier_wait -1
	global_inv scope:SCOPE_SE
	s_and_saveexec_b32 s6, s2
	s_cbranch_execz .LBB123_22
; %bb.19:                               ;   in Loop: Header=BB123_2 Depth=1
	v_mov_b32_e32 v9, v58
	v_mov_b32_e32 v5, v53
	s_mov_b32 s7, 0
.LBB123_20:                             ;   Parent Loop BB123_2 Depth=1
                                        ; =>  This Inner Loop Header: Depth=2
	s_delay_alu instid0(VALU_DEP_1) | instskip(NEXT) | instid1(VALU_DEP_1)
	v_sub_nc_u32_e32 v6, v5, v9
	v_lshrrev_b32_e32 v6, 1, v6
	s_delay_alu instid0(VALU_DEP_1) | instskip(NEXT) | instid1(VALU_DEP_1)
	v_add_nc_u32_e32 v8, v6, v9
	v_not_b32_e32 v6, v8
	v_lshl_add_u32 v7, v8, 3, v34
	s_delay_alu instid0(VALU_DEP_2)
	v_lshl_add_u32 v10, v6, 3, v48
	ds_load_b64 v[6:7], v7
	ds_load_b64 v[10:11], v10
	s_wait_dscnt 0x0
	v_cmp_lt_i64_e64 s5, v[10:11], v[6:7]
	v_add_nc_u32_e32 v6, 1, v8
	s_wait_alu 0xf1ff
	s_delay_alu instid0(VALU_DEP_2) | instskip(NEXT) | instid1(VALU_DEP_2)
	v_cndmask_b32_e64 v5, v5, v8, s5
	v_cndmask_b32_e64 v9, v6, v9, s5
	s_delay_alu instid0(VALU_DEP_1)
	v_cmp_ge_i32_e64 s5, v9, v5
	s_wait_alu 0xfffe
	s_or_b32 s7, s5, s7
	s_wait_alu 0xfffe
	s_and_not1_b32 exec_lo, exec_lo, s7
	s_cbranch_execnz .LBB123_20
; %bb.21:                               ;   in Loop: Header=BB123_2 Depth=1
	s_or_b32 exec_lo, exec_lo, s7
.LBB123_22:                             ;   in Loop: Header=BB123_2 Depth=1
	s_wait_alu 0xfffe
	s_or_b32 exec_lo, exec_lo, s6
	v_sub_nc_u32_e32 v13, v43, v9
	v_lshl_add_u32 v11, v9, 3, v34
	v_add_nc_u32_e32 v14, v9, v20
                                        ; implicit-def: $vgpr9_vgpr10
	s_delay_alu instid0(VALU_DEP_3) | instskip(SKIP_1) | instid1(VALU_DEP_3)
	v_lshlrev_b32_e32 v15, 3, v13
	v_cmp_gt_i32_e64 s7, v33, v13
	v_cmp_le_i32_e64 s6, v32, v14
	ds_load_b64 v[5:6], v11
	ds_load_b64 v[7:8], v15
	s_wait_dscnt 0x0
	v_cmp_lt_i64_e64 s5, v[7:8], v[5:6]
	s_or_b32 s5, s6, s5
	s_wait_alu 0xfffe
	s_and_b32 s5, s7, s5
	s_wait_alu 0xfffe
	s_xor_b32 s6, s5, -1
	s_wait_alu 0xfffe
	s_and_saveexec_b32 s7, s6
	s_wait_alu 0xfffe
	s_xor_b32 s6, exec_lo, s7
; %bb.23:                               ;   in Loop: Header=BB123_2 Depth=1
	ds_load_b64 v[9:10], v11 offset:8
                                        ; implicit-def: $vgpr15
; %bb.24:                               ;   in Loop: Header=BB123_2 Depth=1
	s_wait_alu 0xfffe
	s_or_saveexec_b32 s6, s6
	v_dual_mov_b32 v12, v8 :: v_dual_mov_b32 v11, v7
	s_wait_alu 0xfffe
	s_xor_b32 exec_lo, exec_lo, s6
	s_cbranch_execz .LBB123_26
; %bb.25:                               ;   in Loop: Header=BB123_2 Depth=1
	ds_load_b64 v[11:12], v15 offset:8
	s_wait_dscnt 0x1
	v_dual_mov_b32 v10, v6 :: v_dual_mov_b32 v9, v5
.LBB123_26:                             ;   in Loop: Header=BB123_2 Depth=1
	s_or_b32 exec_lo, exec_lo, s6
	v_add_nc_u32_e32 v15, 1, v14
	v_add_nc_u32_e32 v16, 1, v13
	s_wait_dscnt 0x0
	v_cmp_lt_i64_e64 s6, v[11:12], v[9:10]
	s_wait_loadcnt 0x0
	s_barrier_signal -1
	v_cndmask_b32_e64 v15, v15, v14, s5
	v_cndmask_b32_e64 v16, v13, v16, s5
	;; [unrolled: 1-line block ×3, first 2 shown]
	s_barrier_wait -1
	global_inv scope:SCOPE_SE
	v_cmp_ge_i32_e64 s7, v15, v32
	v_cmp_lt_i32_e64 s8, v16, v33
	ds_store_2addr_b64 v17, v[1:2], v[3:4] offset1:1
	v_lshlrev_b32_e32 v1, 3, v13
	s_wait_loadcnt_dscnt 0x0
	s_or_b32 s6, s7, s6
	s_barrier_signal -1
	s_wait_alu 0xfffe
	s_and_b32 s6, s8, s6
	s_barrier_wait -1
	s_wait_alu 0xfffe
	v_cndmask_b32_e64 v10, v10, v12, s6
	v_cndmask_b32_e64 v12, v15, v16, s6
	global_inv scope:SCOPE_SE
	v_cndmask_b32_e64 v6, v6, v8, s5
	v_cndmask_b32_e64 v5, v5, v7, s5
	;; [unrolled: 1-line block ×3, first 2 shown]
	v_lshlrev_b32_e32 v3, 3, v12
	ds_load_b64 v[1:2], v1
	ds_load_b64 v[3:4], v3
	s_wait_loadcnt_dscnt 0x0
	s_barrier_signal -1
	s_barrier_wait -1
	global_inv scope:SCOPE_SE
	ds_store_2addr_b64 v17, v[5:6], v[9:10] offset1:1
	v_mov_b32_e32 v9, v59
	s_wait_loadcnt_dscnt 0x0
	s_barrier_signal -1
	s_barrier_wait -1
	global_inv scope:SCOPE_SE
	s_and_saveexec_b32 s6, s3
	s_cbranch_execz .LBB123_30
; %bb.27:                               ;   in Loop: Header=BB123_2 Depth=1
	v_mov_b32_e32 v9, v59
	v_mov_b32_e32 v5, v54
	s_mov_b32 s7, 0
.LBB123_28:                             ;   Parent Loop BB123_2 Depth=1
                                        ; =>  This Inner Loop Header: Depth=2
	s_delay_alu instid0(VALU_DEP_1) | instskip(NEXT) | instid1(VALU_DEP_1)
	v_sub_nc_u32_e32 v6, v5, v9
	v_lshrrev_b32_e32 v6, 1, v6
	s_delay_alu instid0(VALU_DEP_1) | instskip(NEXT) | instid1(VALU_DEP_1)
	v_add_nc_u32_e32 v8, v6, v9
	v_not_b32_e32 v6, v8
	v_lshl_add_u32 v7, v8, 3, v37
	s_delay_alu instid0(VALU_DEP_2)
	v_lshl_add_u32 v10, v6, 3, v49
	ds_load_b64 v[6:7], v7
	ds_load_b64 v[10:11], v10
	s_wait_dscnt 0x0
	v_cmp_lt_i64_e64 s5, v[10:11], v[6:7]
	v_add_nc_u32_e32 v6, 1, v8
	s_wait_alu 0xf1ff
	s_delay_alu instid0(VALU_DEP_2) | instskip(NEXT) | instid1(VALU_DEP_2)
	v_cndmask_b32_e64 v5, v5, v8, s5
	v_cndmask_b32_e64 v9, v6, v9, s5
	s_delay_alu instid0(VALU_DEP_1)
	v_cmp_ge_i32_e64 s5, v9, v5
	s_wait_alu 0xfffe
	s_or_b32 s7, s5, s7
	s_wait_alu 0xfffe
	s_and_not1_b32 exec_lo, exec_lo, s7
	s_cbranch_execnz .LBB123_28
; %bb.29:                               ;   in Loop: Header=BB123_2 Depth=1
	s_or_b32 exec_lo, exec_lo, s7
.LBB123_30:                             ;   in Loop: Header=BB123_2 Depth=1
	s_wait_alu 0xfffe
	s_or_b32 exec_lo, exec_lo, s6
	v_sub_nc_u32_e32 v13, v44, v9
	v_lshl_add_u32 v11, v9, 3, v37
	v_add_nc_u32_e32 v14, v9, v21
                                        ; implicit-def: $vgpr9_vgpr10
	s_delay_alu instid0(VALU_DEP_3) | instskip(SKIP_1) | instid1(VALU_DEP_3)
	v_lshlrev_b32_e32 v15, 3, v13
	v_cmp_gt_i32_e64 s7, v36, v13
	v_cmp_le_i32_e64 s6, v35, v14
	ds_load_b64 v[5:6], v11
	ds_load_b64 v[7:8], v15
	s_wait_dscnt 0x0
	v_cmp_lt_i64_e64 s5, v[7:8], v[5:6]
	s_or_b32 s5, s6, s5
	s_wait_alu 0xfffe
	s_and_b32 s5, s7, s5
	s_wait_alu 0xfffe
	s_xor_b32 s6, s5, -1
	s_wait_alu 0xfffe
	s_and_saveexec_b32 s7, s6
	s_wait_alu 0xfffe
	s_xor_b32 s6, exec_lo, s7
; %bb.31:                               ;   in Loop: Header=BB123_2 Depth=1
	ds_load_b64 v[9:10], v11 offset:8
                                        ; implicit-def: $vgpr15
; %bb.32:                               ;   in Loop: Header=BB123_2 Depth=1
	s_wait_alu 0xfffe
	s_or_saveexec_b32 s6, s6
	v_dual_mov_b32 v12, v8 :: v_dual_mov_b32 v11, v7
	s_wait_alu 0xfffe
	s_xor_b32 exec_lo, exec_lo, s6
	s_cbranch_execz .LBB123_34
; %bb.33:                               ;   in Loop: Header=BB123_2 Depth=1
	ds_load_b64 v[11:12], v15 offset:8
	s_wait_dscnt 0x1
	v_dual_mov_b32 v10, v6 :: v_dual_mov_b32 v9, v5
.LBB123_34:                             ;   in Loop: Header=BB123_2 Depth=1
	s_or_b32 exec_lo, exec_lo, s6
	v_add_nc_u32_e32 v15, 1, v14
	v_add_nc_u32_e32 v16, 1, v13
	s_wait_dscnt 0x0
	v_cmp_lt_i64_e64 s6, v[11:12], v[9:10]
	s_wait_loadcnt 0x0
	s_barrier_signal -1
	v_cndmask_b32_e64 v15, v15, v14, s5
	v_cndmask_b32_e64 v16, v13, v16, s5
	v_cndmask_b32_e64 v13, v14, v13, s5
	s_barrier_wait -1
	global_inv scope:SCOPE_SE
	v_cmp_ge_i32_e64 s7, v15, v35
	v_cmp_lt_i32_e64 s8, v16, v36
	ds_store_2addr_b64 v17, v[1:2], v[3:4] offset1:1
	v_lshlrev_b32_e32 v1, 3, v13
	s_wait_loadcnt_dscnt 0x0
	s_or_b32 s6, s7, s6
	s_barrier_signal -1
	s_wait_alu 0xfffe
	s_and_b32 s6, s8, s6
	s_barrier_wait -1
	s_wait_alu 0xfffe
	v_cndmask_b32_e64 v10, v10, v12, s6
	v_cndmask_b32_e64 v12, v15, v16, s6
	global_inv scope:SCOPE_SE
	v_cndmask_b32_e64 v6, v6, v8, s5
	v_cndmask_b32_e64 v5, v5, v7, s5
	;; [unrolled: 1-line block ×3, first 2 shown]
	v_lshlrev_b32_e32 v3, 3, v12
	ds_load_b64 v[1:2], v1
	ds_load_b64 v[3:4], v3
	s_wait_loadcnt_dscnt 0x0
	s_barrier_signal -1
	s_barrier_wait -1
	global_inv scope:SCOPE_SE
	ds_store_2addr_b64 v17, v[5:6], v[9:10] offset1:1
	v_mov_b32_e32 v6, v60
	s_wait_loadcnt_dscnt 0x0
	s_barrier_signal -1
	s_barrier_wait -1
	global_inv scope:SCOPE_SE
	s_and_saveexec_b32 s6, s4
	s_cbranch_execz .LBB123_38
; %bb.35:                               ;   in Loop: Header=BB123_2 Depth=1
	v_dual_mov_b32 v6, v60 :: v_dual_mov_b32 v5, v55
	s_mov_b32 s7, 0
.LBB123_36:                             ;   Parent Loop BB123_2 Depth=1
                                        ; =>  This Inner Loop Header: Depth=2
	s_delay_alu instid0(VALU_DEP_1) | instskip(NEXT) | instid1(VALU_DEP_1)
	v_sub_nc_u32_e32 v7, v5, v6
	v_lshrrev_b32_e32 v7, 1, v7
	s_delay_alu instid0(VALU_DEP_1) | instskip(NEXT) | instid1(VALU_DEP_1)
	v_add_nc_u32_e32 v11, v7, v6
	v_not_b32_e32 v7, v11
	v_lshl_add_u32 v8, v11, 3, v40
	s_delay_alu instid0(VALU_DEP_2)
	v_lshl_add_u32 v9, v7, 3, v50
	ds_load_b64 v[7:8], v8
	ds_load_b64 v[9:10], v9
	s_wait_dscnt 0x0
	v_cmp_lt_i64_e64 s5, v[9:10], v[7:8]
	v_add_nc_u32_e32 v7, 1, v11
	s_wait_alu 0xf1ff
	s_delay_alu instid0(VALU_DEP_2) | instskip(NEXT) | instid1(VALU_DEP_2)
	v_cndmask_b32_e64 v5, v5, v11, s5
	v_cndmask_b32_e64 v6, v7, v6, s5
	s_delay_alu instid0(VALU_DEP_1)
	v_cmp_ge_i32_e64 s5, v6, v5
	s_wait_alu 0xfffe
	s_or_b32 s7, s5, s7
	s_wait_alu 0xfffe
	s_and_not1_b32 exec_lo, exec_lo, s7
	s_cbranch_execnz .LBB123_36
; %bb.37:                               ;   in Loop: Header=BB123_2 Depth=1
	s_or_b32 exec_lo, exec_lo, s7
.LBB123_38:                             ;   in Loop: Header=BB123_2 Depth=1
	s_wait_alu 0xfffe
	s_or_b32 exec_lo, exec_lo, s6
	v_sub_nc_u32_e32 v5, v45, v6
	v_lshl_add_u32 v13, v6, 3, v40
	v_add_nc_u32_e32 v6, v6, v22
                                        ; implicit-def: $vgpr11_vgpr12
	s_delay_alu instid0(VALU_DEP_3) | instskip(SKIP_1) | instid1(VALU_DEP_3)
	v_lshlrev_b32_e32 v15, 3, v5
	v_cmp_gt_i32_e64 s7, v39, v5
	v_cmp_le_i32_e64 s6, v38, v6
	ds_load_b64 v[7:8], v13
	ds_load_b64 v[9:10], v15
	s_wait_dscnt 0x0
	v_cmp_lt_i64_e64 s5, v[9:10], v[7:8]
	s_or_b32 s5, s6, s5
	s_wait_alu 0xfffe
	s_and_b32 s5, s7, s5
	s_wait_alu 0xfffe
	s_xor_b32 s6, s5, -1
	s_wait_alu 0xfffe
	s_and_saveexec_b32 s7, s6
	s_wait_alu 0xfffe
	s_xor_b32 s6, exec_lo, s7
; %bb.39:                               ;   in Loop: Header=BB123_2 Depth=1
	ds_load_b64 v[11:12], v13 offset:8
                                        ; implicit-def: $vgpr15
; %bb.40:                               ;   in Loop: Header=BB123_2 Depth=1
	s_wait_alu 0xfffe
	s_or_saveexec_b32 s6, s6
	v_dual_mov_b32 v14, v10 :: v_dual_mov_b32 v13, v9
	s_wait_alu 0xfffe
	s_xor_b32 exec_lo, exec_lo, s6
	s_cbranch_execz .LBB123_42
; %bb.41:                               ;   in Loop: Header=BB123_2 Depth=1
	ds_load_b64 v[13:14], v15 offset:8
	s_wait_dscnt 0x1
	v_dual_mov_b32 v12, v8 :: v_dual_mov_b32 v11, v7
.LBB123_42:                             ;   in Loop: Header=BB123_2 Depth=1
	s_or_b32 exec_lo, exec_lo, s6
	v_add_nc_u32_e32 v15, 1, v6
	v_add_nc_u32_e32 v16, 1, v5
	s_wait_dscnt 0x0
	v_cmp_lt_i64_e64 s6, v[13:14], v[11:12]
	s_wait_loadcnt 0x0
	s_barrier_signal -1
	v_cndmask_b32_e64 v15, v15, v6, s5
	v_cndmask_b32_e64 v16, v5, v16, s5
	;; [unrolled: 1-line block ×3, first 2 shown]
	s_barrier_wait -1
	global_inv scope:SCOPE_SE
	v_cmp_ge_i32_e64 s7, v15, v38
	v_cmp_lt_i32_e64 s8, v16, v39
	ds_store_2addr_b64 v17, v[1:2], v[3:4] offset1:1
	v_lshlrev_b32_e32 v1, 3, v5
	s_wait_loadcnt_dscnt 0x0
	s_or_b32 s6, s7, s6
	s_barrier_signal -1
	s_wait_alu 0xfffe
	s_and_b32 s6, s8, s6
	s_barrier_wait -1
	s_wait_alu 0xfffe
	v_cndmask_b32_e64 v6, v15, v16, s6
	global_inv scope:SCOPE_SE
	v_cndmask_b32_e64 v12, v12, v14, s6
	v_cndmask_b32_e64 v11, v11, v13, s6
	v_lshlrev_b32_e32 v2, 3, v6
	ds_load_b64 v[3:4], v1
	ds_load_b64 v[5:6], v2
	v_cndmask_b32_e64 v2, v8, v10, s5
	v_cndmask_b32_e64 v1, v7, v9, s5
	v_mov_b32_e32 v7, v23
	s_wait_loadcnt_dscnt 0x0
	s_barrier_signal -1
	s_barrier_wait -1
	global_inv scope:SCOPE_SE
	ds_store_2addr_b64 v17, v[1:2], v[11:12] offset1:1
	s_wait_loadcnt_dscnt 0x0
	s_barrier_signal -1
	s_barrier_wait -1
	global_inv scope:SCOPE_SE
	s_and_saveexec_b32 s6, vcc_lo
	s_cbranch_execz .LBB123_46
; %bb.43:                               ;   in Loop: Header=BB123_2 Depth=1
	v_mov_b32_e32 v7, v23
	v_mov_b32_e32 v1, v24
	s_mov_b32 s7, 0
.LBB123_44:                             ;   Parent Loop BB123_2 Depth=1
                                        ; =>  This Inner Loop Header: Depth=2
	s_delay_alu instid0(VALU_DEP_1) | instskip(NEXT) | instid1(VALU_DEP_1)
	v_sub_nc_u32_e32 v2, v1, v7
	v_lshrrev_b32_e32 v2, 1, v2
	s_delay_alu instid0(VALU_DEP_1) | instskip(NEXT) | instid1(VALU_DEP_1)
	v_add_nc_u32_e32 v2, v2, v7
	v_not_b32_e32 v8, v2
	v_lshlrev_b32_e32 v9, 3, v2
	s_delay_alu instid0(VALU_DEP_2)
	v_lshl_add_u32 v10, v8, 3, v61
	ds_load_b64 v[8:9], v9
	ds_load_b64 v[10:11], v10
	s_wait_dscnt 0x0
	v_cmp_lt_i64_e64 s5, v[10:11], v[8:9]
	v_add_nc_u32_e32 v8, 1, v2
	s_wait_alu 0xf1ff
	s_delay_alu instid0(VALU_DEP_2) | instskip(NEXT) | instid1(VALU_DEP_2)
	v_cndmask_b32_e64 v1, v1, v2, s5
	v_cndmask_b32_e64 v7, v8, v7, s5
	s_delay_alu instid0(VALU_DEP_1)
	v_cmp_ge_i32_e64 s5, v7, v1
	s_wait_alu 0xfffe
	s_or_b32 s7, s5, s7
	s_wait_alu 0xfffe
	s_and_not1_b32 exec_lo, exec_lo, s7
	s_cbranch_execnz .LBB123_44
; %bb.45:                               ;   in Loop: Header=BB123_2 Depth=1
	s_or_b32 exec_lo, exec_lo, s7
.LBB123_46:                             ;   in Loop: Header=BB123_2 Depth=1
	s_wait_alu 0xfffe
	s_or_b32 exec_lo, exec_lo, s6
	v_sub_nc_u32_e32 v8, v25, v7
	v_lshlrev_b32_e32 v13, 3, v7
	v_cmp_le_i32_e64 s6, 64, v7
                                        ; implicit-def: $vgpr1_vgpr2
                                        ; implicit-def: $vgpr15
	s_delay_alu instid0(VALU_DEP_3)
	v_lshlrev_b32_e32 v62, 3, v8
	v_cmp_gt_i32_e64 s7, 0x80, v8
	ds_load_b64 v[9:10], v13
	ds_load_b64 v[11:12], v62
	s_wait_dscnt 0x0
	v_cmp_lt_i64_e64 s5, v[11:12], v[9:10]
	s_or_b32 s5, s6, s5
	s_wait_alu 0xfffe
	s_and_b32 s5, s7, s5
	s_wait_alu 0xfffe
	s_xor_b32 s6, s5, -1
	s_wait_alu 0xfffe
	s_and_saveexec_b32 s7, s6
	s_wait_alu 0xfffe
	s_xor_b32 s6, exec_lo, s7
; %bb.47:                               ;   in Loop: Header=BB123_2 Depth=1
	ds_load_b64 v[1:2], v13 offset:8
	v_add_nc_u32_e32 v15, 1, v7
                                        ; implicit-def: $vgpr62
; %bb.48:                               ;   in Loop: Header=BB123_2 Depth=1
	s_wait_alu 0xfffe
	s_or_saveexec_b32 s6, s6
	v_mov_b32_e32 v14, v12
	v_dual_mov_b32 v16, v7 :: v_dual_mov_b32 v13, v11
	s_wait_alu 0xfffe
	s_xor_b32 exec_lo, exec_lo, s6
	s_cbranch_execz .LBB123_1
; %bb.49:                               ;   in Loop: Header=BB123_2 Depth=1
	ds_load_b64 v[13:14], v62 offset:8
	s_wait_dscnt 0x1
	v_dual_mov_b32 v16, v8 :: v_dual_add_nc_u32 v1, 1, v8
	s_delay_alu instid0(VALU_DEP_1)
	v_dual_mov_b32 v15, v7 :: v_dual_mov_b32 v8, v1
	v_dual_mov_b32 v1, v9 :: v_dual_mov_b32 v2, v10
	s_branch .LBB123_1
.LBB123_50:
	s_wait_dscnt 0x1
	v_add_co_u32 v3, vcc_lo, v3, v7
	s_delay_alu instid0(VALU_DEP_1)
	v_add_co_ci_u32_e64 v4, null, v4, v8, vcc_lo
	v_lshlrev_b32_e32 v7, 3, v0
	s_wait_dscnt 0x0
	v_add_co_u32 v0, vcc_lo, v1, v5
	s_wait_alu 0xfffd
	v_add_co_ci_u32_e64 v1, null, v2, v6, vcc_lo
	s_add_nc_u64 s[0:1], s[10:11], s[12:13]
	s_clause 0x1
	global_store_b64 v7, v[3:4], s[0:1]
	global_store_b64 v7, v[0:1], s[0:1] offset:512
	s_endpgm
	.section	.rodata,"a",@progbits
	.p2align	6, 0x0
	.amdhsa_kernel _Z17sort_pairs_kernelIxLj64ELj2EN10test_utils4lessELj10EEvPKT_PS2_T2_
		.amdhsa_group_segment_fixed_size 1032
		.amdhsa_private_segment_fixed_size 0
		.amdhsa_kernarg_size 20
		.amdhsa_user_sgpr_count 2
		.amdhsa_user_sgpr_dispatch_ptr 0
		.amdhsa_user_sgpr_queue_ptr 0
		.amdhsa_user_sgpr_kernarg_segment_ptr 1
		.amdhsa_user_sgpr_dispatch_id 0
		.amdhsa_user_sgpr_private_segment_size 0
		.amdhsa_wavefront_size32 1
		.amdhsa_uses_dynamic_stack 0
		.amdhsa_enable_private_segment 0
		.amdhsa_system_sgpr_workgroup_id_x 1
		.amdhsa_system_sgpr_workgroup_id_y 0
		.amdhsa_system_sgpr_workgroup_id_z 0
		.amdhsa_system_sgpr_workgroup_info 0
		.amdhsa_system_vgpr_workitem_id 0
		.amdhsa_next_free_vgpr 65
		.amdhsa_next_free_sgpr 16
		.amdhsa_reserve_vcc 1
		.amdhsa_float_round_mode_32 0
		.amdhsa_float_round_mode_16_64 0
		.amdhsa_float_denorm_mode_32 3
		.amdhsa_float_denorm_mode_16_64 3
		.amdhsa_fp16_overflow 0
		.amdhsa_workgroup_processor_mode 1
		.amdhsa_memory_ordered 1
		.amdhsa_forward_progress 1
		.amdhsa_inst_pref_size 34
		.amdhsa_round_robin_scheduling 0
		.amdhsa_exception_fp_ieee_invalid_op 0
		.amdhsa_exception_fp_denorm_src 0
		.amdhsa_exception_fp_ieee_div_zero 0
		.amdhsa_exception_fp_ieee_overflow 0
		.amdhsa_exception_fp_ieee_underflow 0
		.amdhsa_exception_fp_ieee_inexact 0
		.amdhsa_exception_int_div_zero 0
	.end_amdhsa_kernel
	.section	.text._Z17sort_pairs_kernelIxLj64ELj2EN10test_utils4lessELj10EEvPKT_PS2_T2_,"axG",@progbits,_Z17sort_pairs_kernelIxLj64ELj2EN10test_utils4lessELj10EEvPKT_PS2_T2_,comdat
.Lfunc_end123:
	.size	_Z17sort_pairs_kernelIxLj64ELj2EN10test_utils4lessELj10EEvPKT_PS2_T2_, .Lfunc_end123-_Z17sort_pairs_kernelIxLj64ELj2EN10test_utils4lessELj10EEvPKT_PS2_T2_
                                        ; -- End function
	.set _Z17sort_pairs_kernelIxLj64ELj2EN10test_utils4lessELj10EEvPKT_PS2_T2_.num_vgpr, 65
	.set _Z17sort_pairs_kernelIxLj64ELj2EN10test_utils4lessELj10EEvPKT_PS2_T2_.num_agpr, 0
	.set _Z17sort_pairs_kernelIxLj64ELj2EN10test_utils4lessELj10EEvPKT_PS2_T2_.numbered_sgpr, 16
	.set _Z17sort_pairs_kernelIxLj64ELj2EN10test_utils4lessELj10EEvPKT_PS2_T2_.num_named_barrier, 0
	.set _Z17sort_pairs_kernelIxLj64ELj2EN10test_utils4lessELj10EEvPKT_PS2_T2_.private_seg_size, 0
	.set _Z17sort_pairs_kernelIxLj64ELj2EN10test_utils4lessELj10EEvPKT_PS2_T2_.uses_vcc, 1
	.set _Z17sort_pairs_kernelIxLj64ELj2EN10test_utils4lessELj10EEvPKT_PS2_T2_.uses_flat_scratch, 0
	.set _Z17sort_pairs_kernelIxLj64ELj2EN10test_utils4lessELj10EEvPKT_PS2_T2_.has_dyn_sized_stack, 0
	.set _Z17sort_pairs_kernelIxLj64ELj2EN10test_utils4lessELj10EEvPKT_PS2_T2_.has_recursion, 0
	.set _Z17sort_pairs_kernelIxLj64ELj2EN10test_utils4lessELj10EEvPKT_PS2_T2_.has_indirect_call, 0
	.section	.AMDGPU.csdata,"",@progbits
; Kernel info:
; codeLenInByte = 4240
; TotalNumSgprs: 18
; NumVgprs: 65
; ScratchSize: 0
; MemoryBound: 0
; FloatMode: 240
; IeeeMode: 1
; LDSByteSize: 1032 bytes/workgroup (compile time only)
; SGPRBlocks: 0
; VGPRBlocks: 8
; NumSGPRsForWavesPerEU: 18
; NumVGPRsForWavesPerEU: 65
; Occupancy: 16
; WaveLimiterHint : 1
; COMPUTE_PGM_RSRC2:SCRATCH_EN: 0
; COMPUTE_PGM_RSRC2:USER_SGPR: 2
; COMPUTE_PGM_RSRC2:TRAP_HANDLER: 0
; COMPUTE_PGM_RSRC2:TGID_X_EN: 1
; COMPUTE_PGM_RSRC2:TGID_Y_EN: 0
; COMPUTE_PGM_RSRC2:TGID_Z_EN: 0
; COMPUTE_PGM_RSRC2:TIDIG_COMP_CNT: 0
	.section	.text._Z16sort_keys_kernelIxLj64ELj3EN10test_utils4lessELj10EEvPKT_PS2_T2_,"axG",@progbits,_Z16sort_keys_kernelIxLj64ELj3EN10test_utils4lessELj10EEvPKT_PS2_T2_,comdat
	.protected	_Z16sort_keys_kernelIxLj64ELj3EN10test_utils4lessELj10EEvPKT_PS2_T2_ ; -- Begin function _Z16sort_keys_kernelIxLj64ELj3EN10test_utils4lessELj10EEvPKT_PS2_T2_
	.globl	_Z16sort_keys_kernelIxLj64ELj3EN10test_utils4lessELj10EEvPKT_PS2_T2_
	.p2align	8
	.type	_Z16sort_keys_kernelIxLj64ELj3EN10test_utils4lessELj10EEvPKT_PS2_T2_,@function
_Z16sort_keys_kernelIxLj64ELj3EN10test_utils4lessELj10EEvPKT_PS2_T2_: ; @_Z16sort_keys_kernelIxLj64ELj3EN10test_utils4lessELj10EEvPKT_PS2_T2_
; %bb.0:
	v_and_b32_e32 v7, 62, v0
	s_load_b128 s[8:11], s[0:1], 0x0
	v_and_b32_e32 v10, 1, v0
	s_mul_i32 s12, ttmp9, 0xc0
	s_mov_b32 s13, 0
	v_mul_u32_u24_e32 v7, 3, v7
	s_lshl_b64 s[14:15], s[12:13], 3
	v_cmp_eq_u32_e32 vcc_lo, 1, v10
	v_and_b32_e32 v12, 60, v0
	v_and_b32_e32 v60, 3, v0
	v_min_u32_e32 v8, 0xbd, v7
	v_min_u32_e32 v9, 0xba, v7
	;; [unrolled: 1-line block ×3, first 2 shown]
	v_and_b32_e32 v62, 7, v0
	v_and_b32_e32 v32, 48, v0
	v_add_nc_u32_e32 v13, 3, v8
	v_add_nc_u32_e32 v14, 6, v9
	v_cndmask_b32_e64 v9, 0, 3, vcc_lo
	v_mul_u32_u24_e32 v53, 3, v62
	v_and_b32_e32 v64, 15, v0
	v_sub_nc_u32_e32 v11, v13, v15
	v_sub_nc_u32_e32 v10, v14, v13
	s_wait_kmcnt 0x0
	s_add_nc_u64 s[0:1], s[8:9], s[14:15]
	v_and_b32_e32 v66, 31, v0
	v_mul_u32_u24_e32 v54, 3, v64
	v_min_i32_e32 v17, v9, v11
	v_sub_nc_u32_e32 v7, v9, v10
	v_cmp_ge_i32_e32 vcc_lo, v9, v10
	v_lshlrev_b32_e32 v1, 3, v0
	v_and_b32_e32 v10, 56, v0
	v_mul_u32_u24_e32 v55, 3, v66
	v_mul_u32_u24_e32 v44, 3, v0
	s_wait_alu 0xfffd
	v_cndmask_b32_e32 v16, 0, v7, vcc_lo
	s_clause 0x2
	global_load_b64 v[3:4], v1, s[0:1]
	global_load_b64 v[5:6], v1, s[0:1] offset:512
	global_load_b64 v[1:2], v1, s[0:1] offset:1024
	v_mul_u32_u24_e32 v7, 3, v12
	v_mul_u32_u24_e32 v10, 3, v10
	v_subrev_nc_u32_e64 v47, 0x60, v44 clamp
	v_min_i32_e32 v48, 0x60, v44
	v_lshlrev_b32_e32 v56, 3, v54
	v_min_u32_e32 v11, 0xba, v7
	v_min_u32_e32 v12, 0xb4, v7
	;; [unrolled: 1-line block ×5, first 2 shown]
	v_add_nc_u32_e32 v21, 6, v11
	v_add_nc_u32_e32 v22, 12, v12
	;; [unrolled: 1-line block ×4, first 2 shown]
	v_mul_u32_u24_e32 v12, 3, v60
	v_min_u32_e32 v26, 0xc0, v10
	v_sub_nc_u32_e32 v7, v22, v21
	v_sub_nc_u32_e32 v28, v21, v23
	;; [unrolled: 1-line block ×3, first 2 shown]
	v_lshlrev_b32_e32 v57, 3, v55
	v_sub_nc_u32_e32 v31, v24, v26
	v_sub_nc_u32_e32 v27, v12, v7
	v_cmp_ge_i32_e64 s0, v12, v7
	v_sub_nc_u32_e32 v7, v53, v10
	v_cmp_ge_i32_e64 s1, v53, v10
	v_and_b32_e32 v10, 32, v0
	v_min_i32_e32 v28, v12, v28
	v_cndmask_b32_e64 v27, 0, v27, s0
	v_min_i32_e32 v31, v53, v31
	v_cndmask_b32_e64 v30, 0, v7, s1
	v_mul_u32_u24_e32 v7, 3, v32
	v_mul_u32_u24_e32 v10, 3, v10
	;; [unrolled: 1-line block ×3, first 2 shown]
	v_lshlrev_b32_e32 v19, 3, v15
	v_add_nc_u32_e32 v20, v13, v9
	v_min_u32_e32 v63, 0xa8, v7
	v_min_u32_e32 v36, 0x90, v7
	;; [unrolled: 1-line block ×5, first 2 shown]
	v_add_nc_u32_e32 v35, 24, v63
	v_add_nc_u32_e32 v36, 48, v36
	;; [unrolled: 1-line block ×4, first 2 shown]
	v_min_u32_e32 v40, 0xc0, v10
	v_sub_nc_u32_e32 v42, v35, v37
	v_sub_nc_u32_e32 v7, v36, v35
	v_lshlrev_b32_e32 v29, 3, v23
	v_sub_nc_u32_e32 v10, v39, v38
	v_sub_nc_u32_e32 v46, v38, v40
	v_min_i32_e32 v42, v54, v42
	v_sub_nc_u32_e32 v41, v54, v7
	v_cmp_ge_i32_e64 s2, v54, v7
	v_sub_nc_u32_e32 v7, v55, v10
	v_cmp_ge_i32_e64 s3, v55, v10
	v_min_i32_e32 v46, v55, v46
	v_lshlrev_b32_e32 v10, 3, v12
	v_cndmask_b32_e64 v41, 0, v41, s2
	v_lshlrev_b32_e32 v12, 3, v53
	v_cndmask_b32_e64 v45, 0, v7, s3
	v_lshlrev_b32_e32 v7, 3, v9
	v_cmp_lt_i32_e64 s0, v27, v28
	v_mad_u32_u24 v32, v60, 3, v21
	v_lshlrev_b32_e32 v33, 3, v26
	v_cmp_lt_i32_e64 s1, v30, v31
	v_mad_u32_u24 v34, v62, 3, v24
	;; [unrolled: 3-line block ×4, first 2 shown]
	v_cmp_lt_i32_e64 s4, v47, v48
	v_mad_u32_u24 v52, v0, 3, 0x60
	v_lshl_add_u32 v53, v8, 3, v7
	v_lshl_add_u32 v54, v11, 3, v10
	;; [unrolled: 1-line block ×5, first 2 shown]
	v_lshlrev_b32_e32 v58, 3, v44
	v_add_nc_u32_e32 v59, v8, v9
	v_mad_u32_u24 v60, v60, 3, v11
	v_mad_u32_u24 v61, v62, 3, v61
	;; [unrolled: 1-line block ×4, first 2 shown]
	v_cmp_lt_i32_e32 vcc_lo, v16, v17
	s_branch .LBB124_2
.LBB124_1:                              ;   in Loop: Header=BB124_2 Depth=1
	s_or_b32 exec_lo, exec_lo, s7
	s_wait_dscnt 0x0
	s_delay_alu instid0(VALU_DEP_1)
	v_cmp_lt_i64_e64 s7, v[11:12], v[9:10]
	v_cmp_le_i32_e64 s8, 0x60, v65
	v_cmp_gt_i32_e64 s9, 0xc0, v64
	v_cndmask_b32_e64 v4, v2, v4, s5
	v_cndmask_b32_e64 v3, v1, v3, s5
	;; [unrolled: 1-line block ×3, first 2 shown]
	s_or_b32 s5, s8, s7
	v_cndmask_b32_e64 v5, v5, v7, s6
	s_wait_alu 0xfffe
	s_and_b32 s5, s9, s5
	s_add_co_i32 s13, s13, 1
	s_wait_alu 0xfffe
	v_cndmask_b32_e64 v2, v10, v12, s5
	v_cndmask_b32_e64 v1, v9, v11, s5
	s_cmp_eq_u32 s13, 10
	s_cbranch_scc1 .LBB124_74
.LBB124_2:                              ; =>This Loop Header: Depth=1
                                        ;     Child Loop BB124_4 Depth 2
                                        ;     Child Loop BB124_16 Depth 2
	;; [unrolled: 1-line block ×6, first 2 shown]
	s_wait_loadcnt 0x1
	v_cmp_gt_i64_e64 s5, v[5:6], v[3:4]
	s_wait_loadcnt 0x0
	s_barrier_signal -1
	s_barrier_wait -1
	global_inv scope:SCOPE_SE
	s_wait_alu 0xf1ff
	v_cndmask_b32_e64 v8, v4, v6, s5
	v_cndmask_b32_e64 v7, v3, v5, s5
	v_cmp_lt_i64_e64 s5, v[5:6], v[3:4]
	s_delay_alu instid0(VALU_DEP_2) | instskip(SKIP_1) | instid1(VALU_DEP_2)
	v_cmp_lt_i64_e64 s6, v[1:2], v[7:8]
	s_wait_alu 0xf1ff
	v_cndmask_b32_e64 v10, v4, v6, s5
	v_cndmask_b32_e64 v9, v3, v5, s5
	;; [unrolled: 1-line block ×6, first 2 shown]
	v_cmp_lt_i64_e64 s5, v[1:2], v[9:10]
	v_cndmask_b32_e64 v4, v4, v2, s6
	v_cndmask_b32_e64 v5, v5, v1, s6
	;; [unrolled: 1-line block ×3, first 2 shown]
	s_wait_alu 0xf1ff
	s_delay_alu instid0(VALU_DEP_3) | instskip(NEXT) | instid1(VALU_DEP_3)
	v_cndmask_b32_e64 v12, v4, v10, s5
	v_cndmask_b32_e64 v11, v5, v9, s5
	s_delay_alu instid0(VALU_DEP_3)
	v_cndmask_b32_e64 v10, v10, v2, s5
	v_cndmask_b32_e64 v9, v9, v6, s5
	v_mov_b32_e32 v5, v16
	v_cndmask_b32_e64 v2, v1, v7, s6
	ds_store_2addr_b64 v18, v[9:10], v[11:12] offset1:1
	ds_store_b64 v18, v[2:3] offset:16
	s_wait_loadcnt_dscnt 0x0
	s_barrier_signal -1
	s_barrier_wait -1
	global_inv scope:SCOPE_SE
	s_and_saveexec_b32 s6, vcc_lo
	s_cbranch_execz .LBB124_6
; %bb.3:                                ;   in Loop: Header=BB124_2 Depth=1
	v_mov_b32_e32 v5, v16
	v_mov_b32_e32 v1, v17
	s_mov_b32 s7, 0
.LBB124_4:                              ;   Parent Loop BB124_2 Depth=1
                                        ; =>  This Inner Loop Header: Depth=2
	s_delay_alu instid0(VALU_DEP_1) | instskip(NEXT) | instid1(VALU_DEP_1)
	v_sub_nc_u32_e32 v2, v1, v5
	v_lshrrev_b32_e32 v2, 1, v2
	s_delay_alu instid0(VALU_DEP_1) | instskip(NEXT) | instid1(VALU_DEP_1)
	v_add_nc_u32_e32 v4, v2, v5
	v_not_b32_e32 v2, v4
	v_lshl_add_u32 v3, v4, 3, v19
	s_delay_alu instid0(VALU_DEP_2)
	v_lshl_add_u32 v6, v2, 3, v53
	ds_load_b64 v[2:3], v3
	ds_load_b64 v[6:7], v6 offset:24
	s_wait_dscnt 0x0
	v_cmp_lt_i64_e64 s5, v[6:7], v[2:3]
	v_add_nc_u32_e32 v2, 1, v4
	s_wait_alu 0xf1ff
	s_delay_alu instid0(VALU_DEP_2) | instskip(NEXT) | instid1(VALU_DEP_2)
	v_cndmask_b32_e64 v1, v1, v4, s5
	v_cndmask_b32_e64 v5, v2, v5, s5
	s_delay_alu instid0(VALU_DEP_1)
	v_cmp_ge_i32_e64 s5, v5, v1
	s_wait_alu 0xfffe
	s_or_b32 s7, s5, s7
	s_wait_alu 0xfffe
	s_and_not1_b32 exec_lo, exec_lo, s7
	s_cbranch_execnz .LBB124_4
; %bb.5:                                ;   in Loop: Header=BB124_2 Depth=1
	s_or_b32 exec_lo, exec_lo, s7
.LBB124_6:                              ;   in Loop: Header=BB124_2 Depth=1
	s_wait_alu 0xfffe
	s_or_b32 exec_lo, exec_lo, s6
	v_sub_nc_u32_e32 v1, v59, v5
	v_lshl_add_u32 v7, v5, 3, v19
	v_add_nc_u32_e32 v9, v5, v15
	v_sub_nc_u32_e32 v10, v20, v5
                                        ; implicit-def: $vgpr5_vgpr6
	s_delay_alu instid0(VALU_DEP_4)
	v_lshlrev_b32_e32 v11, 3, v1
	ds_load_b64 v[1:2], v7
	ds_load_b64 v[3:4], v11 offset:24
	v_cmp_le_i32_e64 s6, v13, v9
	v_cmp_gt_i32_e64 s7, v14, v10
	s_wait_dscnt 0x0
	v_cmp_lt_i64_e64 s5, v[3:4], v[1:2]
	s_or_b32 s5, s6, s5
	s_wait_alu 0xfffe
	s_and_b32 s5, s7, s5
	s_wait_alu 0xfffe
	s_xor_b32 s6, s5, -1
	s_wait_alu 0xfffe
	s_and_saveexec_b32 s7, s6
	s_wait_alu 0xfffe
	s_xor_b32 s6, exec_lo, s7
; %bb.7:                                ;   in Loop: Header=BB124_2 Depth=1
	ds_load_b64 v[5:6], v7 offset:8
                                        ; implicit-def: $vgpr11
; %bb.8:                                ;   in Loop: Header=BB124_2 Depth=1
	s_wait_alu 0xfffe
	s_or_saveexec_b32 s6, s6
	v_dual_mov_b32 v8, v4 :: v_dual_mov_b32 v7, v3
	s_wait_alu 0xfffe
	s_xor_b32 exec_lo, exec_lo, s6
	s_cbranch_execz .LBB124_10
; %bb.9:                                ;   in Loop: Header=BB124_2 Depth=1
	ds_load_b64 v[7:8], v11 offset:32
	s_wait_dscnt 0x1
	v_dual_mov_b32 v6, v2 :: v_dual_mov_b32 v5, v1
.LBB124_10:                             ;   in Loop: Header=BB124_2 Depth=1
	s_or_b32 exec_lo, exec_lo, s6
	v_add_nc_u32_e32 v11, 1, v9
	v_add_nc_u32_e32 v12, 1, v10
	s_wait_dscnt 0x0
	v_cmp_lt_i64_e64 s6, v[7:8], v[5:6]
	s_delay_alu instid0(VALU_DEP_3) | instskip(NEXT) | instid1(VALU_DEP_3)
	v_cndmask_b32_e64 v65, v11, v9, s5
	v_cndmask_b32_e64 v64, v10, v12, s5
                                        ; implicit-def: $vgpr9_vgpr10
	s_delay_alu instid0(VALU_DEP_2) | instskip(NEXT) | instid1(VALU_DEP_2)
	v_cmp_ge_i32_e64 s7, v65, v13
	v_cmp_lt_i32_e64 s8, v64, v14
	s_or_b32 s6, s7, s6
	s_wait_alu 0xfffe
	s_and_b32 s6, s8, s6
	s_wait_alu 0xfffe
	s_xor_b32 s7, s6, -1
	s_wait_alu 0xfffe
	s_and_saveexec_b32 s8, s7
	s_delay_alu instid0(SALU_CYCLE_1)
	s_xor_b32 s7, exec_lo, s8
; %bb.11:                               ;   in Loop: Header=BB124_2 Depth=1
	v_lshlrev_b32_e32 v9, 3, v65
	ds_load_b64 v[9:10], v9 offset:8
; %bb.12:                               ;   in Loop: Header=BB124_2 Depth=1
	s_wait_alu 0xfffe
	s_or_saveexec_b32 s7, s7
	v_dual_mov_b32 v12, v8 :: v_dual_mov_b32 v11, v7
	s_wait_alu 0xfffe
	s_xor_b32 exec_lo, exec_lo, s7
	s_cbranch_execz .LBB124_14
; %bb.13:                               ;   in Loop: Header=BB124_2 Depth=1
	s_wait_dscnt 0x0
	v_lshlrev_b32_e32 v9, 3, v64
	ds_load_b64 v[11:12], v9 offset:8
	v_dual_mov_b32 v10, v6 :: v_dual_mov_b32 v9, v5
.LBB124_14:                             ;   in Loop: Header=BB124_2 Depth=1
	s_or_b32 exec_lo, exec_lo, s7
	v_add_nc_u32_e32 v66, 1, v65
	v_add_nc_u32_e32 v67, 1, v64
	v_cndmask_b32_e64 v7, v5, v7, s6
	v_mov_b32_e32 v5, v27
	v_cndmask_b32_e64 v8, v6, v8, s6
	v_cndmask_b32_e64 v65, v66, v65, s6
	;; [unrolled: 1-line block ×3, first 2 shown]
	s_wait_dscnt 0x0
	v_cmp_lt_i64_e64 s6, v[11:12], v[9:10]
	v_cndmask_b32_e64 v2, v2, v4, s5
	v_cndmask_b32_e64 v1, v1, v3, s5
	v_cmp_ge_i32_e64 s7, v65, v13
	v_cmp_lt_i32_e64 s8, v6, v14
	s_wait_loadcnt 0x0
	s_barrier_signal -1
	s_barrier_wait -1
	s_or_b32 s5, s7, s6
	global_inv scope:SCOPE_SE
	s_wait_alu 0xfffe
	s_and_b32 s5, s8, s5
	s_wait_alu 0xfffe
	v_cndmask_b32_e64 v4, v10, v12, s5
	v_cndmask_b32_e64 v3, v9, v11, s5
	ds_store_2addr_b64 v18, v[1:2], v[7:8] offset1:1
	ds_store_b64 v18, v[3:4] offset:16
	s_wait_loadcnt_dscnt 0x0
	s_barrier_signal -1
	s_barrier_wait -1
	global_inv scope:SCOPE_SE
	s_and_saveexec_b32 s6, s0
	s_cbranch_execz .LBB124_18
; %bb.15:                               ;   in Loop: Header=BB124_2 Depth=1
	v_mov_b32_e32 v5, v27
	v_mov_b32_e32 v1, v28
	s_mov_b32 s7, 0
.LBB124_16:                             ;   Parent Loop BB124_2 Depth=1
                                        ; =>  This Inner Loop Header: Depth=2
	s_delay_alu instid0(VALU_DEP_1) | instskip(NEXT) | instid1(VALU_DEP_1)
	v_sub_nc_u32_e32 v2, v1, v5
	v_lshrrev_b32_e32 v2, 1, v2
	s_delay_alu instid0(VALU_DEP_1) | instskip(NEXT) | instid1(VALU_DEP_1)
	v_add_nc_u32_e32 v4, v2, v5
	v_not_b32_e32 v2, v4
	v_lshl_add_u32 v3, v4, 3, v29
	s_delay_alu instid0(VALU_DEP_2)
	v_lshl_add_u32 v6, v2, 3, v54
	ds_load_b64 v[2:3], v3
	ds_load_b64 v[6:7], v6 offset:48
	s_wait_dscnt 0x0
	v_cmp_lt_i64_e64 s5, v[6:7], v[2:3]
	v_add_nc_u32_e32 v2, 1, v4
	s_wait_alu 0xf1ff
	s_delay_alu instid0(VALU_DEP_2) | instskip(NEXT) | instid1(VALU_DEP_2)
	v_cndmask_b32_e64 v1, v1, v4, s5
	v_cndmask_b32_e64 v5, v2, v5, s5
	s_delay_alu instid0(VALU_DEP_1)
	v_cmp_ge_i32_e64 s5, v5, v1
	s_wait_alu 0xfffe
	s_or_b32 s7, s5, s7
	s_wait_alu 0xfffe
	s_and_not1_b32 exec_lo, exec_lo, s7
	s_cbranch_execnz .LBB124_16
; %bb.17:                               ;   in Loop: Header=BB124_2 Depth=1
	s_or_b32 exec_lo, exec_lo, s7
.LBB124_18:                             ;   in Loop: Header=BB124_2 Depth=1
	s_wait_alu 0xfffe
	s_or_b32 exec_lo, exec_lo, s6
	v_sub_nc_u32_e32 v1, v60, v5
	v_lshl_add_u32 v7, v5, 3, v29
	v_add_nc_u32_e32 v9, v5, v23
	v_sub_nc_u32_e32 v10, v32, v5
                                        ; implicit-def: $vgpr5_vgpr6
	s_delay_alu instid0(VALU_DEP_4)
	v_lshlrev_b32_e32 v11, 3, v1
	ds_load_b64 v[1:2], v7
	ds_load_b64 v[3:4], v11 offset:48
	v_cmp_le_i32_e64 s6, v21, v9
	v_cmp_gt_i32_e64 s7, v22, v10
	s_wait_dscnt 0x0
	v_cmp_lt_i64_e64 s5, v[3:4], v[1:2]
	s_or_b32 s5, s6, s5
	s_wait_alu 0xfffe
	s_and_b32 s5, s7, s5
	s_wait_alu 0xfffe
	s_xor_b32 s6, s5, -1
	s_wait_alu 0xfffe
	s_and_saveexec_b32 s7, s6
	s_wait_alu 0xfffe
	s_xor_b32 s6, exec_lo, s7
; %bb.19:                               ;   in Loop: Header=BB124_2 Depth=1
	ds_load_b64 v[5:6], v7 offset:8
                                        ; implicit-def: $vgpr11
; %bb.20:                               ;   in Loop: Header=BB124_2 Depth=1
	s_wait_alu 0xfffe
	s_or_saveexec_b32 s6, s6
	v_dual_mov_b32 v8, v4 :: v_dual_mov_b32 v7, v3
	s_wait_alu 0xfffe
	s_xor_b32 exec_lo, exec_lo, s6
	s_cbranch_execz .LBB124_22
; %bb.21:                               ;   in Loop: Header=BB124_2 Depth=1
	ds_load_b64 v[7:8], v11 offset:56
	s_wait_dscnt 0x1
	v_dual_mov_b32 v6, v2 :: v_dual_mov_b32 v5, v1
.LBB124_22:                             ;   in Loop: Header=BB124_2 Depth=1
	s_or_b32 exec_lo, exec_lo, s6
	v_add_nc_u32_e32 v11, 1, v9
	v_add_nc_u32_e32 v12, 1, v10
	s_wait_dscnt 0x0
	v_cmp_lt_i64_e64 s6, v[7:8], v[5:6]
	s_delay_alu instid0(VALU_DEP_3) | instskip(NEXT) | instid1(VALU_DEP_3)
	v_cndmask_b32_e64 v65, v11, v9, s5
	v_cndmask_b32_e64 v64, v10, v12, s5
                                        ; implicit-def: $vgpr9_vgpr10
	s_delay_alu instid0(VALU_DEP_2) | instskip(NEXT) | instid1(VALU_DEP_2)
	v_cmp_ge_i32_e64 s7, v65, v21
	v_cmp_lt_i32_e64 s8, v64, v22
	s_or_b32 s6, s7, s6
	s_wait_alu 0xfffe
	s_and_b32 s6, s8, s6
	s_wait_alu 0xfffe
	s_xor_b32 s7, s6, -1
	s_wait_alu 0xfffe
	s_and_saveexec_b32 s8, s7
	s_delay_alu instid0(SALU_CYCLE_1)
	s_xor_b32 s7, exec_lo, s8
; %bb.23:                               ;   in Loop: Header=BB124_2 Depth=1
	v_lshlrev_b32_e32 v9, 3, v65
	ds_load_b64 v[9:10], v9 offset:8
; %bb.24:                               ;   in Loop: Header=BB124_2 Depth=1
	s_wait_alu 0xfffe
	s_or_saveexec_b32 s7, s7
	v_dual_mov_b32 v12, v8 :: v_dual_mov_b32 v11, v7
	s_wait_alu 0xfffe
	s_xor_b32 exec_lo, exec_lo, s7
	s_cbranch_execz .LBB124_26
; %bb.25:                               ;   in Loop: Header=BB124_2 Depth=1
	s_wait_dscnt 0x0
	v_lshlrev_b32_e32 v9, 3, v64
	ds_load_b64 v[11:12], v9 offset:8
	v_dual_mov_b32 v10, v6 :: v_dual_mov_b32 v9, v5
.LBB124_26:                             ;   in Loop: Header=BB124_2 Depth=1
	s_or_b32 exec_lo, exec_lo, s7
	v_add_nc_u32_e32 v66, 1, v65
	v_add_nc_u32_e32 v67, 1, v64
	v_cndmask_b32_e64 v7, v5, v7, s6
	v_mov_b32_e32 v5, v30
	v_cndmask_b32_e64 v8, v6, v8, s6
	v_cndmask_b32_e64 v65, v66, v65, s6
	v_cndmask_b32_e64 v6, v64, v67, s6
	s_wait_dscnt 0x0
	v_cmp_lt_i64_e64 s6, v[11:12], v[9:10]
	v_cndmask_b32_e64 v2, v2, v4, s5
	v_cndmask_b32_e64 v1, v1, v3, s5
	v_cmp_ge_i32_e64 s7, v65, v21
	v_cmp_lt_i32_e64 s8, v6, v22
	s_wait_loadcnt 0x0
	s_barrier_signal -1
	s_barrier_wait -1
	s_or_b32 s5, s7, s6
	global_inv scope:SCOPE_SE
	s_wait_alu 0xfffe
	s_and_b32 s5, s8, s5
	s_wait_alu 0xfffe
	v_cndmask_b32_e64 v4, v10, v12, s5
	v_cndmask_b32_e64 v3, v9, v11, s5
	ds_store_2addr_b64 v18, v[1:2], v[7:8] offset1:1
	ds_store_b64 v18, v[3:4] offset:16
	s_wait_loadcnt_dscnt 0x0
	s_barrier_signal -1
	s_barrier_wait -1
	global_inv scope:SCOPE_SE
	s_and_saveexec_b32 s6, s1
	s_cbranch_execz .LBB124_30
; %bb.27:                               ;   in Loop: Header=BB124_2 Depth=1
	v_mov_b32_e32 v5, v30
	v_mov_b32_e32 v1, v31
	s_mov_b32 s7, 0
.LBB124_28:                             ;   Parent Loop BB124_2 Depth=1
                                        ; =>  This Inner Loop Header: Depth=2
	s_delay_alu instid0(VALU_DEP_1) | instskip(NEXT) | instid1(VALU_DEP_1)
	v_sub_nc_u32_e32 v2, v1, v5
	v_lshrrev_b32_e32 v2, 1, v2
	s_delay_alu instid0(VALU_DEP_1) | instskip(NEXT) | instid1(VALU_DEP_1)
	v_add_nc_u32_e32 v4, v2, v5
	v_not_b32_e32 v2, v4
	v_lshl_add_u32 v3, v4, 3, v33
	s_delay_alu instid0(VALU_DEP_2)
	v_lshl_add_u32 v6, v2, 3, v55
	ds_load_b64 v[2:3], v3
	ds_load_b64 v[6:7], v6 offset:96
	s_wait_dscnt 0x0
	v_cmp_lt_i64_e64 s5, v[6:7], v[2:3]
	v_add_nc_u32_e32 v2, 1, v4
	s_wait_alu 0xf1ff
	s_delay_alu instid0(VALU_DEP_2) | instskip(NEXT) | instid1(VALU_DEP_2)
	v_cndmask_b32_e64 v1, v1, v4, s5
	v_cndmask_b32_e64 v5, v2, v5, s5
	s_delay_alu instid0(VALU_DEP_1)
	v_cmp_ge_i32_e64 s5, v5, v1
	s_wait_alu 0xfffe
	s_or_b32 s7, s5, s7
	s_wait_alu 0xfffe
	s_and_not1_b32 exec_lo, exec_lo, s7
	s_cbranch_execnz .LBB124_28
; %bb.29:                               ;   in Loop: Header=BB124_2 Depth=1
	s_or_b32 exec_lo, exec_lo, s7
.LBB124_30:                             ;   in Loop: Header=BB124_2 Depth=1
	s_wait_alu 0xfffe
	s_or_b32 exec_lo, exec_lo, s6
	v_sub_nc_u32_e32 v1, v61, v5
	v_lshl_add_u32 v7, v5, 3, v33
	v_add_nc_u32_e32 v9, v5, v26
	v_sub_nc_u32_e32 v10, v34, v5
                                        ; implicit-def: $vgpr5_vgpr6
	s_delay_alu instid0(VALU_DEP_4)
	v_lshlrev_b32_e32 v11, 3, v1
	ds_load_b64 v[1:2], v7
	ds_load_b64 v[3:4], v11 offset:96
	v_cmp_le_i32_e64 s6, v24, v9
	v_cmp_gt_i32_e64 s7, v25, v10
	s_wait_dscnt 0x0
	v_cmp_lt_i64_e64 s5, v[3:4], v[1:2]
	s_or_b32 s5, s6, s5
	s_wait_alu 0xfffe
	s_and_b32 s5, s7, s5
	s_wait_alu 0xfffe
	s_xor_b32 s6, s5, -1
	s_wait_alu 0xfffe
	s_and_saveexec_b32 s7, s6
	s_wait_alu 0xfffe
	s_xor_b32 s6, exec_lo, s7
; %bb.31:                               ;   in Loop: Header=BB124_2 Depth=1
	ds_load_b64 v[5:6], v7 offset:8
                                        ; implicit-def: $vgpr11
; %bb.32:                               ;   in Loop: Header=BB124_2 Depth=1
	s_wait_alu 0xfffe
	s_or_saveexec_b32 s6, s6
	v_dual_mov_b32 v8, v4 :: v_dual_mov_b32 v7, v3
	s_wait_alu 0xfffe
	s_xor_b32 exec_lo, exec_lo, s6
	s_cbranch_execz .LBB124_34
; %bb.33:                               ;   in Loop: Header=BB124_2 Depth=1
	ds_load_b64 v[7:8], v11 offset:104
	s_wait_dscnt 0x1
	v_dual_mov_b32 v6, v2 :: v_dual_mov_b32 v5, v1
.LBB124_34:                             ;   in Loop: Header=BB124_2 Depth=1
	s_or_b32 exec_lo, exec_lo, s6
	v_add_nc_u32_e32 v11, 1, v9
	v_add_nc_u32_e32 v12, 1, v10
	s_wait_dscnt 0x0
	v_cmp_lt_i64_e64 s6, v[7:8], v[5:6]
	s_delay_alu instid0(VALU_DEP_3) | instskip(NEXT) | instid1(VALU_DEP_3)
	v_cndmask_b32_e64 v65, v11, v9, s5
	v_cndmask_b32_e64 v64, v10, v12, s5
                                        ; implicit-def: $vgpr9_vgpr10
	s_delay_alu instid0(VALU_DEP_2) | instskip(NEXT) | instid1(VALU_DEP_2)
	v_cmp_ge_i32_e64 s7, v65, v24
	v_cmp_lt_i32_e64 s8, v64, v25
	s_or_b32 s6, s7, s6
	s_wait_alu 0xfffe
	s_and_b32 s6, s8, s6
	s_wait_alu 0xfffe
	s_xor_b32 s7, s6, -1
	s_wait_alu 0xfffe
	s_and_saveexec_b32 s8, s7
	s_delay_alu instid0(SALU_CYCLE_1)
	s_xor_b32 s7, exec_lo, s8
; %bb.35:                               ;   in Loop: Header=BB124_2 Depth=1
	v_lshlrev_b32_e32 v9, 3, v65
	ds_load_b64 v[9:10], v9 offset:8
; %bb.36:                               ;   in Loop: Header=BB124_2 Depth=1
	s_wait_alu 0xfffe
	s_or_saveexec_b32 s7, s7
	v_dual_mov_b32 v12, v8 :: v_dual_mov_b32 v11, v7
	s_wait_alu 0xfffe
	s_xor_b32 exec_lo, exec_lo, s7
	s_cbranch_execz .LBB124_38
; %bb.37:                               ;   in Loop: Header=BB124_2 Depth=1
	s_wait_dscnt 0x0
	v_lshlrev_b32_e32 v9, 3, v64
	ds_load_b64 v[11:12], v9 offset:8
	v_dual_mov_b32 v10, v6 :: v_dual_mov_b32 v9, v5
.LBB124_38:                             ;   in Loop: Header=BB124_2 Depth=1
	s_or_b32 exec_lo, exec_lo, s7
	v_add_nc_u32_e32 v66, 1, v65
	v_add_nc_u32_e32 v67, 1, v64
	v_cndmask_b32_e64 v7, v5, v7, s6
	v_mov_b32_e32 v5, v41
	v_cndmask_b32_e64 v8, v6, v8, s6
	v_cndmask_b32_e64 v65, v66, v65, s6
	;; [unrolled: 1-line block ×3, first 2 shown]
	s_wait_dscnt 0x0
	v_cmp_lt_i64_e64 s6, v[11:12], v[9:10]
	v_cndmask_b32_e64 v2, v2, v4, s5
	v_cndmask_b32_e64 v1, v1, v3, s5
	v_cmp_ge_i32_e64 s7, v65, v24
	v_cmp_lt_i32_e64 s8, v6, v25
	s_wait_loadcnt 0x0
	s_barrier_signal -1
	s_barrier_wait -1
	s_or_b32 s5, s7, s6
	global_inv scope:SCOPE_SE
	s_wait_alu 0xfffe
	s_and_b32 s5, s8, s5
	s_wait_alu 0xfffe
	v_cndmask_b32_e64 v4, v10, v12, s5
	v_cndmask_b32_e64 v3, v9, v11, s5
	ds_store_2addr_b64 v18, v[1:2], v[7:8] offset1:1
	ds_store_b64 v18, v[3:4] offset:16
	s_wait_loadcnt_dscnt 0x0
	s_barrier_signal -1
	s_barrier_wait -1
	global_inv scope:SCOPE_SE
	s_and_saveexec_b32 s6, s2
	s_cbranch_execz .LBB124_42
; %bb.39:                               ;   in Loop: Header=BB124_2 Depth=1
	v_mov_b32_e32 v5, v41
	v_mov_b32_e32 v1, v42
	s_mov_b32 s7, 0
.LBB124_40:                             ;   Parent Loop BB124_2 Depth=1
                                        ; =>  This Inner Loop Header: Depth=2
	s_delay_alu instid0(VALU_DEP_1) | instskip(NEXT) | instid1(VALU_DEP_1)
	v_sub_nc_u32_e32 v2, v1, v5
	v_lshrrev_b32_e32 v2, 1, v2
	s_delay_alu instid0(VALU_DEP_1) | instskip(NEXT) | instid1(VALU_DEP_1)
	v_add_nc_u32_e32 v4, v2, v5
	v_not_b32_e32 v2, v4
	v_lshl_add_u32 v3, v4, 3, v43
	s_delay_alu instid0(VALU_DEP_2)
	v_lshl_add_u32 v6, v2, 3, v56
	ds_load_b64 v[2:3], v3
	ds_load_b64 v[6:7], v6 offset:192
	s_wait_dscnt 0x0
	v_cmp_lt_i64_e64 s5, v[6:7], v[2:3]
	v_add_nc_u32_e32 v2, 1, v4
	s_wait_alu 0xf1ff
	s_delay_alu instid0(VALU_DEP_2) | instskip(NEXT) | instid1(VALU_DEP_2)
	v_cndmask_b32_e64 v1, v1, v4, s5
	v_cndmask_b32_e64 v5, v2, v5, s5
	s_delay_alu instid0(VALU_DEP_1)
	v_cmp_ge_i32_e64 s5, v5, v1
	s_wait_alu 0xfffe
	s_or_b32 s7, s5, s7
	s_wait_alu 0xfffe
	s_and_not1_b32 exec_lo, exec_lo, s7
	s_cbranch_execnz .LBB124_40
; %bb.41:                               ;   in Loop: Header=BB124_2 Depth=1
	s_or_b32 exec_lo, exec_lo, s7
.LBB124_42:                             ;   in Loop: Header=BB124_2 Depth=1
	s_wait_alu 0xfffe
	s_or_b32 exec_lo, exec_lo, s6
	v_sub_nc_u32_e32 v1, v62, v5
	v_lshl_add_u32 v7, v5, 3, v43
	v_add_nc_u32_e32 v9, v5, v37
	v_sub_nc_u32_e32 v10, v49, v5
                                        ; implicit-def: $vgpr5_vgpr6
	s_delay_alu instid0(VALU_DEP_4)
	v_lshlrev_b32_e32 v11, 3, v1
	ds_load_b64 v[1:2], v7
	ds_load_b64 v[3:4], v11 offset:192
	v_cmp_le_i32_e64 s6, v35, v9
	v_cmp_gt_i32_e64 s7, v36, v10
	s_wait_dscnt 0x0
	v_cmp_lt_i64_e64 s5, v[3:4], v[1:2]
	s_or_b32 s5, s6, s5
	s_wait_alu 0xfffe
	s_and_b32 s5, s7, s5
	s_wait_alu 0xfffe
	s_xor_b32 s6, s5, -1
	s_wait_alu 0xfffe
	s_and_saveexec_b32 s7, s6
	s_wait_alu 0xfffe
	s_xor_b32 s6, exec_lo, s7
; %bb.43:                               ;   in Loop: Header=BB124_2 Depth=1
	ds_load_b64 v[5:6], v7 offset:8
                                        ; implicit-def: $vgpr11
; %bb.44:                               ;   in Loop: Header=BB124_2 Depth=1
	s_wait_alu 0xfffe
	s_or_saveexec_b32 s6, s6
	v_dual_mov_b32 v8, v4 :: v_dual_mov_b32 v7, v3
	s_wait_alu 0xfffe
	s_xor_b32 exec_lo, exec_lo, s6
	s_cbranch_execz .LBB124_46
; %bb.45:                               ;   in Loop: Header=BB124_2 Depth=1
	ds_load_b64 v[7:8], v11 offset:200
	s_wait_dscnt 0x1
	v_dual_mov_b32 v6, v2 :: v_dual_mov_b32 v5, v1
.LBB124_46:                             ;   in Loop: Header=BB124_2 Depth=1
	s_or_b32 exec_lo, exec_lo, s6
	v_add_nc_u32_e32 v11, 1, v9
	v_add_nc_u32_e32 v12, 1, v10
	s_wait_dscnt 0x0
	v_cmp_lt_i64_e64 s6, v[7:8], v[5:6]
	s_delay_alu instid0(VALU_DEP_3) | instskip(NEXT) | instid1(VALU_DEP_3)
	v_cndmask_b32_e64 v65, v11, v9, s5
	v_cndmask_b32_e64 v64, v10, v12, s5
                                        ; implicit-def: $vgpr9_vgpr10
	s_delay_alu instid0(VALU_DEP_2) | instskip(NEXT) | instid1(VALU_DEP_2)
	v_cmp_ge_i32_e64 s7, v65, v35
	v_cmp_lt_i32_e64 s8, v64, v36
	s_or_b32 s6, s7, s6
	s_wait_alu 0xfffe
	s_and_b32 s6, s8, s6
	s_wait_alu 0xfffe
	s_xor_b32 s7, s6, -1
	s_wait_alu 0xfffe
	s_and_saveexec_b32 s8, s7
	s_delay_alu instid0(SALU_CYCLE_1)
	s_xor_b32 s7, exec_lo, s8
; %bb.47:                               ;   in Loop: Header=BB124_2 Depth=1
	v_lshlrev_b32_e32 v9, 3, v65
	ds_load_b64 v[9:10], v9 offset:8
; %bb.48:                               ;   in Loop: Header=BB124_2 Depth=1
	s_wait_alu 0xfffe
	s_or_saveexec_b32 s7, s7
	v_dual_mov_b32 v12, v8 :: v_dual_mov_b32 v11, v7
	s_wait_alu 0xfffe
	s_xor_b32 exec_lo, exec_lo, s7
	s_cbranch_execz .LBB124_50
; %bb.49:                               ;   in Loop: Header=BB124_2 Depth=1
	s_wait_dscnt 0x0
	v_lshlrev_b32_e32 v9, 3, v64
	ds_load_b64 v[11:12], v9 offset:8
	v_dual_mov_b32 v10, v6 :: v_dual_mov_b32 v9, v5
.LBB124_50:                             ;   in Loop: Header=BB124_2 Depth=1
	s_or_b32 exec_lo, exec_lo, s7
	v_add_nc_u32_e32 v66, 1, v65
	v_add_nc_u32_e32 v67, 1, v64
	v_cndmask_b32_e64 v7, v5, v7, s6
	v_mov_b32_e32 v5, v45
	v_cndmask_b32_e64 v8, v6, v8, s6
	v_cndmask_b32_e64 v65, v66, v65, s6
	;; [unrolled: 1-line block ×3, first 2 shown]
	s_wait_dscnt 0x0
	v_cmp_lt_i64_e64 s6, v[11:12], v[9:10]
	v_cndmask_b32_e64 v2, v2, v4, s5
	v_cndmask_b32_e64 v1, v1, v3, s5
	v_cmp_ge_i32_e64 s7, v65, v35
	v_cmp_lt_i32_e64 s8, v6, v36
	s_wait_loadcnt 0x0
	s_barrier_signal -1
	s_barrier_wait -1
	s_or_b32 s5, s7, s6
	global_inv scope:SCOPE_SE
	s_wait_alu 0xfffe
	s_and_b32 s5, s8, s5
	s_wait_alu 0xfffe
	v_cndmask_b32_e64 v4, v10, v12, s5
	v_cndmask_b32_e64 v3, v9, v11, s5
	ds_store_2addr_b64 v18, v[1:2], v[7:8] offset1:1
	ds_store_b64 v18, v[3:4] offset:16
	s_wait_loadcnt_dscnt 0x0
	s_barrier_signal -1
	s_barrier_wait -1
	global_inv scope:SCOPE_SE
	s_and_saveexec_b32 s6, s3
	s_cbranch_execz .LBB124_54
; %bb.51:                               ;   in Loop: Header=BB124_2 Depth=1
	v_mov_b32_e32 v5, v45
	v_mov_b32_e32 v1, v46
	s_mov_b32 s7, 0
.LBB124_52:                             ;   Parent Loop BB124_2 Depth=1
                                        ; =>  This Inner Loop Header: Depth=2
	s_delay_alu instid0(VALU_DEP_1) | instskip(NEXT) | instid1(VALU_DEP_1)
	v_sub_nc_u32_e32 v2, v1, v5
	v_lshrrev_b32_e32 v2, 1, v2
	s_delay_alu instid0(VALU_DEP_1) | instskip(NEXT) | instid1(VALU_DEP_1)
	v_add_nc_u32_e32 v4, v2, v5
	v_not_b32_e32 v2, v4
	v_lshl_add_u32 v3, v4, 3, v50
	s_delay_alu instid0(VALU_DEP_2)
	v_lshl_add_u32 v6, v2, 3, v57
	ds_load_b64 v[2:3], v3
	ds_load_b64 v[6:7], v6 offset:384
	s_wait_dscnt 0x0
	v_cmp_lt_i64_e64 s5, v[6:7], v[2:3]
	v_add_nc_u32_e32 v2, 1, v4
	s_wait_alu 0xf1ff
	s_delay_alu instid0(VALU_DEP_2) | instskip(NEXT) | instid1(VALU_DEP_2)
	v_cndmask_b32_e64 v1, v1, v4, s5
	v_cndmask_b32_e64 v5, v2, v5, s5
	s_delay_alu instid0(VALU_DEP_1)
	v_cmp_ge_i32_e64 s5, v5, v1
	s_wait_alu 0xfffe
	s_or_b32 s7, s5, s7
	s_wait_alu 0xfffe
	s_and_not1_b32 exec_lo, exec_lo, s7
	s_cbranch_execnz .LBB124_52
; %bb.53:                               ;   in Loop: Header=BB124_2 Depth=1
	s_or_b32 exec_lo, exec_lo, s7
.LBB124_54:                             ;   in Loop: Header=BB124_2 Depth=1
	s_wait_alu 0xfffe
	s_or_b32 exec_lo, exec_lo, s6
	v_sub_nc_u32_e32 v1, v63, v5
	v_lshl_add_u32 v7, v5, 3, v50
	v_add_nc_u32_e32 v9, v5, v40
	v_sub_nc_u32_e32 v10, v51, v5
                                        ; implicit-def: $vgpr5_vgpr6
	s_delay_alu instid0(VALU_DEP_4)
	v_lshlrev_b32_e32 v11, 3, v1
	ds_load_b64 v[1:2], v7
	ds_load_b64 v[3:4], v11 offset:384
	v_cmp_le_i32_e64 s6, v38, v9
	v_cmp_gt_i32_e64 s7, v39, v10
	s_wait_dscnt 0x0
	v_cmp_lt_i64_e64 s5, v[3:4], v[1:2]
	s_or_b32 s5, s6, s5
	s_wait_alu 0xfffe
	s_and_b32 s5, s7, s5
	s_wait_alu 0xfffe
	s_xor_b32 s6, s5, -1
	s_wait_alu 0xfffe
	s_and_saveexec_b32 s7, s6
	s_wait_alu 0xfffe
	s_xor_b32 s6, exec_lo, s7
; %bb.55:                               ;   in Loop: Header=BB124_2 Depth=1
	ds_load_b64 v[5:6], v7 offset:8
                                        ; implicit-def: $vgpr11
; %bb.56:                               ;   in Loop: Header=BB124_2 Depth=1
	s_wait_alu 0xfffe
	s_or_saveexec_b32 s6, s6
	v_dual_mov_b32 v8, v4 :: v_dual_mov_b32 v7, v3
	s_wait_alu 0xfffe
	s_xor_b32 exec_lo, exec_lo, s6
	s_cbranch_execz .LBB124_58
; %bb.57:                               ;   in Loop: Header=BB124_2 Depth=1
	ds_load_b64 v[7:8], v11 offset:392
	s_wait_dscnt 0x1
	v_dual_mov_b32 v6, v2 :: v_dual_mov_b32 v5, v1
.LBB124_58:                             ;   in Loop: Header=BB124_2 Depth=1
	s_or_b32 exec_lo, exec_lo, s6
	v_add_nc_u32_e32 v11, 1, v9
	v_add_nc_u32_e32 v12, 1, v10
	s_wait_dscnt 0x0
	v_cmp_lt_i64_e64 s6, v[7:8], v[5:6]
	s_delay_alu instid0(VALU_DEP_3) | instskip(NEXT) | instid1(VALU_DEP_3)
	v_cndmask_b32_e64 v65, v11, v9, s5
	v_cndmask_b32_e64 v64, v10, v12, s5
                                        ; implicit-def: $vgpr9_vgpr10
	s_delay_alu instid0(VALU_DEP_2) | instskip(NEXT) | instid1(VALU_DEP_2)
	v_cmp_ge_i32_e64 s7, v65, v38
	v_cmp_lt_i32_e64 s8, v64, v39
	s_or_b32 s6, s7, s6
	s_wait_alu 0xfffe
	s_and_b32 s6, s8, s6
	s_wait_alu 0xfffe
	s_xor_b32 s7, s6, -1
	s_wait_alu 0xfffe
	s_and_saveexec_b32 s8, s7
	s_delay_alu instid0(SALU_CYCLE_1)
	s_xor_b32 s7, exec_lo, s8
; %bb.59:                               ;   in Loop: Header=BB124_2 Depth=1
	v_lshlrev_b32_e32 v9, 3, v65
	ds_load_b64 v[9:10], v9 offset:8
; %bb.60:                               ;   in Loop: Header=BB124_2 Depth=1
	s_wait_alu 0xfffe
	s_or_saveexec_b32 s7, s7
	v_dual_mov_b32 v12, v8 :: v_dual_mov_b32 v11, v7
	s_wait_alu 0xfffe
	s_xor_b32 exec_lo, exec_lo, s7
	s_cbranch_execz .LBB124_62
; %bb.61:                               ;   in Loop: Header=BB124_2 Depth=1
	s_wait_dscnt 0x0
	v_lshlrev_b32_e32 v9, 3, v64
	ds_load_b64 v[11:12], v9 offset:8
	v_dual_mov_b32 v10, v6 :: v_dual_mov_b32 v9, v5
.LBB124_62:                             ;   in Loop: Header=BB124_2 Depth=1
	s_or_b32 exec_lo, exec_lo, s7
	v_add_nc_u32_e32 v66, 1, v65
	v_add_nc_u32_e32 v67, 1, v64
	v_cndmask_b32_e64 v6, v6, v8, s6
	v_cndmask_b32_e64 v5, v5, v7, s6
	;; [unrolled: 1-line block ×5, first 2 shown]
	s_wait_dscnt 0x0
	v_cmp_lt_i64_e64 s6, v[11:12], v[9:10]
	v_cndmask_b32_e64 v1, v1, v3, s5
	s_wait_loadcnt 0x0
	v_cmp_ge_i32_e64 s7, v65, v38
	v_cmp_lt_i32_e64 s8, v8, v39
	s_barrier_signal -1
	s_barrier_wait -1
	global_inv scope:SCOPE_SE
	s_or_b32 s5, s7, s6
	s_wait_alu 0xfffe
	s_and_b32 s5, s8, s5
	s_wait_alu 0xfffe
	v_cndmask_b32_e64 v3, v9, v11, s5
	v_mov_b32_e32 v9, v47
	v_cndmask_b32_e64 v4, v10, v12, s5
	ds_store_2addr_b64 v18, v[1:2], v[5:6] offset1:1
	ds_store_b64 v18, v[3:4] offset:16
	s_wait_loadcnt_dscnt 0x0
	s_barrier_signal -1
	s_barrier_wait -1
	global_inv scope:SCOPE_SE
	s_and_saveexec_b32 s6, s4
	s_cbranch_execz .LBB124_66
; %bb.63:                               ;   in Loop: Header=BB124_2 Depth=1
	v_mov_b32_e32 v9, v47
	v_mov_b32_e32 v1, v48
	s_mov_b32 s7, 0
.LBB124_64:                             ;   Parent Loop BB124_2 Depth=1
                                        ; =>  This Inner Loop Header: Depth=2
	s_delay_alu instid0(VALU_DEP_1) | instskip(NEXT) | instid1(VALU_DEP_1)
	v_sub_nc_u32_e32 v2, v1, v9
	v_lshrrev_b32_e32 v2, 1, v2
	s_delay_alu instid0(VALU_DEP_1) | instskip(NEXT) | instid1(VALU_DEP_1)
	v_add_nc_u32_e32 v6, v2, v9
	v_not_b32_e32 v2, v6
	v_lshlrev_b32_e32 v3, 3, v6
	s_delay_alu instid0(VALU_DEP_2)
	v_lshl_add_u32 v4, v2, 3, v58
	ds_load_b64 v[2:3], v3
	ds_load_b64 v[4:5], v4 offset:768
	s_wait_dscnt 0x0
	v_cmp_lt_i64_e64 s5, v[4:5], v[2:3]
	v_add_nc_u32_e32 v2, 1, v6
	s_wait_alu 0xf1ff
	s_delay_alu instid0(VALU_DEP_2) | instskip(NEXT) | instid1(VALU_DEP_2)
	v_cndmask_b32_e64 v1, v1, v6, s5
	v_cndmask_b32_e64 v9, v2, v9, s5
	s_delay_alu instid0(VALU_DEP_1)
	v_cmp_ge_i32_e64 s5, v9, v1
	s_wait_alu 0xfffe
	s_or_b32 s7, s5, s7
	s_wait_alu 0xfffe
	s_and_not1_b32 exec_lo, exec_lo, s7
	s_cbranch_execnz .LBB124_64
; %bb.65:                               ;   in Loop: Header=BB124_2 Depth=1
	s_or_b32 exec_lo, exec_lo, s7
.LBB124_66:                             ;   in Loop: Header=BB124_2 Depth=1
	s_wait_alu 0xfffe
	s_or_b32 exec_lo, exec_lo, s6
	v_sub_nc_u32_e32 v1, v44, v9
	v_lshlrev_b32_e32 v7, 3, v9
	v_sub_nc_u32_e32 v10, v52, v9
	v_cmp_le_i32_e64 s6, 0x60, v9
                                        ; implicit-def: $vgpr5_vgpr6
	s_delay_alu instid0(VALU_DEP_4)
	v_lshlrev_b32_e32 v11, 3, v1
	ds_load_b64 v[1:2], v7
	ds_load_b64 v[3:4], v11 offset:768
	v_cmp_gt_i32_e64 s7, 0xc0, v10
	s_wait_dscnt 0x0
	v_cmp_lt_i64_e64 s5, v[3:4], v[1:2]
	s_or_b32 s5, s6, s5
	s_wait_alu 0xfffe
	s_and_b32 s5, s7, s5
	s_wait_alu 0xfffe
	s_xor_b32 s6, s5, -1
	s_wait_alu 0xfffe
	s_and_saveexec_b32 s7, s6
	s_wait_alu 0xfffe
	s_xor_b32 s6, exec_lo, s7
; %bb.67:                               ;   in Loop: Header=BB124_2 Depth=1
	ds_load_b64 v[5:6], v7 offset:8
                                        ; implicit-def: $vgpr11
; %bb.68:                               ;   in Loop: Header=BB124_2 Depth=1
	s_wait_alu 0xfffe
	s_or_saveexec_b32 s6, s6
	v_dual_mov_b32 v8, v4 :: v_dual_mov_b32 v7, v3
	s_wait_alu 0xfffe
	s_xor_b32 exec_lo, exec_lo, s6
	s_cbranch_execz .LBB124_70
; %bb.69:                               ;   in Loop: Header=BB124_2 Depth=1
	ds_load_b64 v[7:8], v11 offset:776
	s_wait_dscnt 0x1
	v_dual_mov_b32 v6, v2 :: v_dual_mov_b32 v5, v1
.LBB124_70:                             ;   in Loop: Header=BB124_2 Depth=1
	s_or_b32 exec_lo, exec_lo, s6
	v_add_nc_u32_e32 v11, 1, v9
	v_add_nc_u32_e32 v12, 1, v10
	s_wait_dscnt 0x0
	v_cmp_lt_i64_e64 s6, v[7:8], v[5:6]
                                        ; implicit-def: $vgpr65
	s_delay_alu instid0(VALU_DEP_3) | instskip(NEXT) | instid1(VALU_DEP_3)
	v_cndmask_b32_e64 v66, v11, v9, s5
	v_cndmask_b32_e64 v64, v10, v12, s5
                                        ; implicit-def: $vgpr9_vgpr10
	s_delay_alu instid0(VALU_DEP_2) | instskip(NEXT) | instid1(VALU_DEP_2)
	v_cmp_le_i32_e64 s7, 0x60, v66
	v_cmp_gt_i32_e64 s8, 0xc0, v64
	s_or_b32 s6, s7, s6
	s_wait_alu 0xfffe
	s_and_b32 s6, s8, s6
	s_wait_alu 0xfffe
	s_xor_b32 s7, s6, -1
	s_wait_alu 0xfffe
	s_and_saveexec_b32 s8, s7
	s_delay_alu instid0(SALU_CYCLE_1)
	s_xor_b32 s7, exec_lo, s8
; %bb.71:                               ;   in Loop: Header=BB124_2 Depth=1
	v_lshlrev_b32_e32 v9, 3, v66
	v_add_nc_u32_e32 v65, 1, v66
                                        ; implicit-def: $vgpr66
	ds_load_b64 v[9:10], v9 offset:8
; %bb.72:                               ;   in Loop: Header=BB124_2 Depth=1
	s_wait_alu 0xfffe
	s_or_saveexec_b32 s7, s7
	v_dual_mov_b32 v12, v8 :: v_dual_mov_b32 v11, v7
	s_wait_alu 0xfffe
	s_xor_b32 exec_lo, exec_lo, s7
	s_cbranch_execz .LBB124_1
; %bb.73:                               ;   in Loop: Header=BB124_2 Depth=1
	s_wait_dscnt 0x0
	v_lshlrev_b32_e32 v9, 3, v64
	v_dual_mov_b32 v65, v66 :: v_dual_add_nc_u32 v64, 1, v64
	ds_load_b64 v[11:12], v9 offset:8
	v_dual_mov_b32 v10, v6 :: v_dual_mov_b32 v9, v5
	s_branch .LBB124_1
.LBB124_74:
	v_lshlrev_b32_e32 v0, 3, v0
	s_add_nc_u64 s[0:1], s[10:11], s[14:15]
	s_clause 0x2
	global_store_b64 v0, v[3:4], s[0:1]
	global_store_b64 v0, v[5:6], s[0:1] offset:512
	global_store_b64 v0, v[1:2], s[0:1] offset:1024
	s_endpgm
	.section	.rodata,"a",@progbits
	.p2align	6, 0x0
	.amdhsa_kernel _Z16sort_keys_kernelIxLj64ELj3EN10test_utils4lessELj10EEvPKT_PS2_T2_
		.amdhsa_group_segment_fixed_size 1544
		.amdhsa_private_segment_fixed_size 0
		.amdhsa_kernarg_size 20
		.amdhsa_user_sgpr_count 2
		.amdhsa_user_sgpr_dispatch_ptr 0
		.amdhsa_user_sgpr_queue_ptr 0
		.amdhsa_user_sgpr_kernarg_segment_ptr 1
		.amdhsa_user_sgpr_dispatch_id 0
		.amdhsa_user_sgpr_private_segment_size 0
		.amdhsa_wavefront_size32 1
		.amdhsa_uses_dynamic_stack 0
		.amdhsa_enable_private_segment 0
		.amdhsa_system_sgpr_workgroup_id_x 1
		.amdhsa_system_sgpr_workgroup_id_y 0
		.amdhsa_system_sgpr_workgroup_id_z 0
		.amdhsa_system_sgpr_workgroup_info 0
		.amdhsa_system_vgpr_workitem_id 0
		.amdhsa_next_free_vgpr 68
		.amdhsa_next_free_sgpr 16
		.amdhsa_reserve_vcc 1
		.amdhsa_float_round_mode_32 0
		.amdhsa_float_round_mode_16_64 0
		.amdhsa_float_denorm_mode_32 3
		.amdhsa_float_denorm_mode_16_64 3
		.amdhsa_fp16_overflow 0
		.amdhsa_workgroup_processor_mode 1
		.amdhsa_memory_ordered 1
		.amdhsa_forward_progress 1
		.amdhsa_inst_pref_size 40
		.amdhsa_round_robin_scheduling 0
		.amdhsa_exception_fp_ieee_invalid_op 0
		.amdhsa_exception_fp_denorm_src 0
		.amdhsa_exception_fp_ieee_div_zero 0
		.amdhsa_exception_fp_ieee_overflow 0
		.amdhsa_exception_fp_ieee_underflow 0
		.amdhsa_exception_fp_ieee_inexact 0
		.amdhsa_exception_int_div_zero 0
	.end_amdhsa_kernel
	.section	.text._Z16sort_keys_kernelIxLj64ELj3EN10test_utils4lessELj10EEvPKT_PS2_T2_,"axG",@progbits,_Z16sort_keys_kernelIxLj64ELj3EN10test_utils4lessELj10EEvPKT_PS2_T2_,comdat
.Lfunc_end124:
	.size	_Z16sort_keys_kernelIxLj64ELj3EN10test_utils4lessELj10EEvPKT_PS2_T2_, .Lfunc_end124-_Z16sort_keys_kernelIxLj64ELj3EN10test_utils4lessELj10EEvPKT_PS2_T2_
                                        ; -- End function
	.set _Z16sort_keys_kernelIxLj64ELj3EN10test_utils4lessELj10EEvPKT_PS2_T2_.num_vgpr, 68
	.set _Z16sort_keys_kernelIxLj64ELj3EN10test_utils4lessELj10EEvPKT_PS2_T2_.num_agpr, 0
	.set _Z16sort_keys_kernelIxLj64ELj3EN10test_utils4lessELj10EEvPKT_PS2_T2_.numbered_sgpr, 16
	.set _Z16sort_keys_kernelIxLj64ELj3EN10test_utils4lessELj10EEvPKT_PS2_T2_.num_named_barrier, 0
	.set _Z16sort_keys_kernelIxLj64ELj3EN10test_utils4lessELj10EEvPKT_PS2_T2_.private_seg_size, 0
	.set _Z16sort_keys_kernelIxLj64ELj3EN10test_utils4lessELj10EEvPKT_PS2_T2_.uses_vcc, 1
	.set _Z16sort_keys_kernelIxLj64ELj3EN10test_utils4lessELj10EEvPKT_PS2_T2_.uses_flat_scratch, 0
	.set _Z16sort_keys_kernelIxLj64ELj3EN10test_utils4lessELj10EEvPKT_PS2_T2_.has_dyn_sized_stack, 0
	.set _Z16sort_keys_kernelIxLj64ELj3EN10test_utils4lessELj10EEvPKT_PS2_T2_.has_recursion, 0
	.set _Z16sort_keys_kernelIxLj64ELj3EN10test_utils4lessELj10EEvPKT_PS2_T2_.has_indirect_call, 0
	.section	.AMDGPU.csdata,"",@progbits
; Kernel info:
; codeLenInByte = 5068
; TotalNumSgprs: 18
; NumVgprs: 68
; ScratchSize: 0
; MemoryBound: 0
; FloatMode: 240
; IeeeMode: 1
; LDSByteSize: 1544 bytes/workgroup (compile time only)
; SGPRBlocks: 0
; VGPRBlocks: 8
; NumSGPRsForWavesPerEU: 18
; NumVGPRsForWavesPerEU: 68
; Occupancy: 16
; WaveLimiterHint : 1
; COMPUTE_PGM_RSRC2:SCRATCH_EN: 0
; COMPUTE_PGM_RSRC2:USER_SGPR: 2
; COMPUTE_PGM_RSRC2:TRAP_HANDLER: 0
; COMPUTE_PGM_RSRC2:TGID_X_EN: 1
; COMPUTE_PGM_RSRC2:TGID_Y_EN: 0
; COMPUTE_PGM_RSRC2:TGID_Z_EN: 0
; COMPUTE_PGM_RSRC2:TIDIG_COMP_CNT: 0
	.section	.text._Z17sort_pairs_kernelIxLj64ELj3EN10test_utils4lessELj10EEvPKT_PS2_T2_,"axG",@progbits,_Z17sort_pairs_kernelIxLj64ELj3EN10test_utils4lessELj10EEvPKT_PS2_T2_,comdat
	.protected	_Z17sort_pairs_kernelIxLj64ELj3EN10test_utils4lessELj10EEvPKT_PS2_T2_ ; -- Begin function _Z17sort_pairs_kernelIxLj64ELj3EN10test_utils4lessELj10EEvPKT_PS2_T2_
	.globl	_Z17sort_pairs_kernelIxLj64ELj3EN10test_utils4lessELj10EEvPKT_PS2_T2_
	.p2align	8
	.type	_Z17sort_pairs_kernelIxLj64ELj3EN10test_utils4lessELj10EEvPKT_PS2_T2_,@function
_Z17sort_pairs_kernelIxLj64ELj3EN10test_utils4lessELj10EEvPKT_PS2_T2_: ; @_Z17sort_pairs_kernelIxLj64ELj3EN10test_utils4lessELj10EEvPKT_PS2_T2_
; %bb.0:
	s_load_b128 s[12:15], s[0:1], 0x0
	s_mul_i32 s18, ttmp9, 0xc0
	s_mov_b32 s19, 0
	v_lshlrev_b32_e32 v1, 3, v0
	s_lshl_b64 s[16:17], s[18:19], 3
	v_and_b32_e32 v7, 62, v0
	v_and_b32_e32 v9, 60, v0
	v_and_b32_e32 v8, 1, v0
	v_and_b32_e32 v11, 56, v0
	v_and_b32_e32 v12, 7, v0
	v_mul_u32_u24_e32 v7, 3, v7
	v_and_b32_e32 v13, 48, v0
	v_mul_u32_u24_e32 v9, 3, v9
	v_and_b32_e32 v15, 32, v0
	v_cmp_eq_u32_e32 vcc_lo, 1, v8
	v_min_u32_e32 v31, 0xc0, v7
	v_min_u32_e32 v21, 0xbd, v7
	;; [unrolled: 1-line block ×3, first 2 shown]
	v_mul_u32_u24_e32 v11, 3, v11
	v_mul_u32_u24_e32 v18, 3, v12
	s_wait_kmcnt 0x0
	s_add_nc_u64 s[0:1], s[12:13], s[16:17]
	v_mul_u32_u24_e32 v13, 3, v13
	s_clause 0x2
	global_load_b64 v[5:6], v1, s[0:1]
	global_load_b64 v[3:4], v1, s[0:1] offset:512
	global_load_b64 v[1:2], v1, s[0:1] offset:1024
	v_min_u32_e32 v32, 0xc0, v9
	v_min_u32_e32 v22, 0xba, v9
	;; [unrolled: 1-line block ×3, first 2 shown]
	v_add_nc_u32_e32 v36, 3, v21
	v_add_nc_u32_e32 v37, 6, v7
	v_and_b32_e32 v10, 3, v0
	v_cndmask_b32_e64 v8, 0, 3, vcc_lo
	v_mul_u32_u24_e32 v15, 3, v15
	v_min_u32_e32 v33, 0xc0, v11
	v_min_u32_e32 v23, 0xb4, v11
	;; [unrolled: 1-line block ×6, first 2 shown]
	v_lshlrev_b32_e32 v53, 3, v18
	v_add_nc_u32_e32 v39, 6, v22
	v_add_nc_u32_e32 v40, 12, v9
	v_sub_nc_u32_e32 v9, v37, v36
	v_mul_u32_u24_e32 v17, 3, v10
	v_min_u32_e32 v35, 0xc0, v15
	v_min_u32_e32 v75, 0x90, v15
	;; [unrolled: 1-line block ×3, first 2 shown]
	v_add_nc_u32_e32 v42, 12, v23
	v_add_nc_u32_e32 v43, 24, v11
	;; [unrolled: 1-line block ×3, first 2 shown]
	v_lshl_add_u32 v53, v23, 3, v53
	v_mad_u32_u24 v58, v12, 3, v23
	v_sub_nc_u32_e32 v7, v36, v31
	v_sub_nc_u32_e32 v13, v40, v39
	;; [unrolled: 1-line block ×3, first 2 shown]
	v_cmp_ge_i32_e64 s0, v8, v9
	v_and_b32_e32 v14, 15, v0
	v_lshlrev_b32_e32 v51, 3, v8
	v_add_nc_u32_e32 v45, 24, v24
	v_add_nc_u32_e32 v49, 0x60, v15
	v_sub_nc_u32_e32 v11, v39, v32
	v_sub_nc_u32_e32 v15, v43, v42
	v_min_i32_e32 v65, v8, v7
	v_sub_nc_u32_e32 v7, v17, v13
	v_cndmask_b32_e64 v70, 0, v23, s0
	v_cmp_ge_i32_e64 s0, v17, v13
	v_and_b32_e32 v16, 31, v0
	v_mul_u32_u24_e32 v19, 3, v14
	v_lshlrev_b32_e32 v52, 3, v17
	v_add_nc_u32_e32 v48, 48, v75
	v_lshl_add_u32 v51, v21, 3, v51
	v_add_nc_u32_e32 v56, v21, v8
	v_mad_u32_u24 v57, v10, 3, v22
	v_mad_u32_u24 v61, v10, 3, v39
	v_sub_nc_u32_e32 v10, v42, v33
	v_sub_nc_u32_e32 v21, v46, v45
	v_min_i32_e32 v66, v17, v11
	v_sub_nc_u32_e32 v11, v18, v15
	s_wait_alu 0xf1ff
	v_cndmask_b32_e64 v71, 0, v7, s0
	v_cmp_ge_i32_e64 s0, v18, v15
	v_mul_u32_u24_e32 v20, 3, v16
	v_lshl_add_u32 v52, v22, 3, v52
	v_mad_u32_u24 v62, v12, 3, v42
	v_sub_nc_u32_e32 v12, v45, v34
	v_sub_nc_u32_e32 v22, v49, v48
	v_min_i32_e32 v67, v18, v10
	v_sub_nc_u32_e32 v10, v19, v21
	s_wait_alu 0xf1ff
	v_cndmask_b32_e64 v72, 0, v11, s0
	v_cmp_ge_i32_e64 s0, v19, v21
	v_mad_u32_u24 v59, v14, 3, v24
	v_mad_u32_u24 v63, v14, 3, v45
	v_sub_nc_u32_e32 v14, v48, v35
	v_min_i32_e32 v68, v19, v12
	v_sub_nc_u32_e32 v12, v20, v22
	s_wait_alu 0xf1ff
	v_cndmask_b32_e64 v73, 0, v10, s0
	v_cmp_ge_i32_e64 s0, v20, v22
	v_mul_u32_u24_e32 v26, 3, v0
	v_lshlrev_b32_e32 v54, 3, v19
	v_lshlrev_b32_e32 v55, 3, v20
	v_min_i32_e32 v69, v20, v14
	s_wait_alu 0xf1ff
	v_cndmask_b32_e64 v74, 0, v12, s0
	v_mul_u32_u24_e32 v25, 24, v0
	v_mad_u32_u24 v27, v0, 3, 0x60
	v_subrev_nc_u32_e64 v28, 0x60, v26 clamp
	v_min_i32_e32 v29, 0x60, v26
	v_lshlrev_b32_e32 v30, 3, v26
	v_lshlrev_b32_e32 v38, 3, v31
	;; [unrolled: 1-line block ×6, first 2 shown]
	v_lshl_add_u32 v54, v24, 3, v54
	v_lshl_add_u32 v55, v75, 3, v55
	v_add_nc_u32_e32 v60, v36, v8
	v_mad_u32_u24 v64, v16, 3, v48
	v_cmp_lt_i32_e64 s0, v70, v65
	v_cmp_lt_i32_e64 s1, v71, v66
	;; [unrolled: 1-line block ×5, first 2 shown]
	v_mad_u32_u24 v75, v16, 3, v75
	v_cmp_lt_i32_e32 vcc_lo, v28, v29
	s_wait_loadcnt 0x2
	v_add_co_u32 v11, s5, v5, 1
	s_delay_alu instid0(VALU_DEP_1)
	v_add_co_ci_u32_e64 v12, null, 0, v6, s5
	s_wait_loadcnt 0x1
	v_add_co_u32 v9, s5, v3, 1
	s_wait_alu 0xf1ff
	v_add_co_ci_u32_e64 v10, null, 0, v4, s5
	s_wait_loadcnt 0x0
	v_add_co_u32 v7, s5, v1, 1
	s_wait_alu 0xf1ff
	v_add_co_ci_u32_e64 v8, null, 0, v2, s5
	s_branch .LBB125_2
.LBB125_1:                              ;   in Loop: Header=BB125_2 Depth=1
	s_or_b32 exec_lo, exec_lo, s7
	s_wait_dscnt 0x0
	s_delay_alu instid0(VALU_DEP_1)
	v_cmp_lt_i64_e64 s7, v[21:22], v[1:2]
	v_cmp_le_i32_e64 s8, 0x60, v23
	v_cmp_gt_i32_e64 s9, 0xc0, v11
	v_cndmask_b32_e64 v9, v9, v10, s5
	s_wait_loadcnt 0x0
	s_barrier_signal -1
	s_or_b32 s7, s8, s7
	s_barrier_wait -1
	s_wait_alu 0xfffe
	s_and_b32 s7, s9, s7
	global_inv scope:SCOPE_SE
	s_wait_alu 0xfffe
	v_cndmask_b32_e64 v10, v23, v11, s7
	ds_store_2addr_b64 v25, v[3:4], v[7:8] offset1:1
	ds_store_b64 v25, v[5:6] offset:16
	v_lshlrev_b32_e32 v3, 3, v9
	v_lshlrev_b32_e32 v4, 3, v12
	s_wait_loadcnt_dscnt 0x0
	v_lshlrev_b32_e32 v5, 3, v10
	s_barrier_signal -1
	s_barrier_wait -1
	global_inv scope:SCOPE_SE
	ds_load_b64 v[11:12], v3
	ds_load_b64 v[9:10], v4
	;; [unrolled: 1-line block ×3, first 2 shown]
	v_cndmask_b32_e64 v2, v2, v22, s7
	v_cndmask_b32_e64 v6, v14, v16, s5
	;; [unrolled: 1-line block ×6, first 2 shown]
	s_add_co_i32 s19, s19, 1
	s_delay_alu instid0(SALU_CYCLE_1)
	s_cmp_eq_u32 s19, 10
	s_cbranch_scc1 .LBB125_74
.LBB125_2:                              ; =>This Loop Header: Depth=1
                                        ;     Child Loop BB125_4 Depth 2
                                        ;     Child Loop BB125_16 Depth 2
	;; [unrolled: 1-line block ×6, first 2 shown]
	v_cmp_gt_i64_e64 s5, v[3:4], v[5:6]
	v_cmp_lt_i64_e64 s7, v[3:4], v[5:6]
	s_barrier_signal -1
	s_barrier_wait -1
	global_inv scope:SCOPE_SE
	s_wait_alu 0xf1ff
	v_cndmask_b32_e64 v14, v6, v4, s5
	v_cndmask_b32_e64 v13, v5, v3, s5
	;; [unrolled: 1-line block ×6, first 2 shown]
	v_cmp_lt_i64_e64 s5, v[1:2], v[13:14]
	s_wait_alu 0xf1ff
	s_delay_alu instid0(VALU_DEP_1) | instskip(SKIP_4) | instid1(VALU_DEP_4)
	v_cndmask_b32_e64 v18, v14, v2, s5
	v_cndmask_b32_e64 v17, v13, v1, s5
	;; [unrolled: 1-line block ×5, first 2 shown]
	v_cmp_lt_i64_e64 s6, v[17:18], v[15:16]
	s_wait_alu 0xf1ff
	s_delay_alu instid0(VALU_DEP_1) | instskip(NEXT) | instid1(VALU_DEP_3)
	v_cndmask_b32_e64 v6, v2, v16, s6
	v_cndmask_b32_e64 v5, v3, v15, s6
	;; [unrolled: 1-line block ×4, first 2 shown]
	v_mov_b32_e32 v2, v70
	v_cndmask_b32_e64 v3, v1, v13, s5
	ds_store_2addr_b64 v25, v[15:16], v[5:6] offset1:1
	ds_store_b64 v25, v[3:4] offset:16
	s_wait_loadcnt_dscnt 0x0
	s_barrier_signal -1
	s_barrier_wait -1
	global_inv scope:SCOPE_SE
	s_and_saveexec_b32 s9, s0
	s_cbranch_execz .LBB125_6
; %bb.3:                                ;   in Loop: Header=BB125_2 Depth=1
	v_dual_mov_b32 v2, v70 :: v_dual_mov_b32 v1, v65
	s_mov_b32 s10, 0
.LBB125_4:                              ;   Parent Loop BB125_2 Depth=1
                                        ; =>  This Inner Loop Header: Depth=2
	s_delay_alu instid0(VALU_DEP_1) | instskip(NEXT) | instid1(VALU_DEP_1)
	v_sub_nc_u32_e32 v3, v1, v2
	v_lshrrev_b32_e32 v3, 1, v3
	s_delay_alu instid0(VALU_DEP_1) | instskip(NEXT) | instid1(VALU_DEP_1)
	v_add_nc_u32_e32 v13, v3, v2
	v_not_b32_e32 v3, v13
	v_lshl_add_u32 v4, v13, 3, v38
	s_delay_alu instid0(VALU_DEP_2)
	v_lshl_add_u32 v5, v3, 3, v51
	ds_load_b64 v[3:4], v4
	ds_load_b64 v[5:6], v5 offset:24
	s_wait_dscnt 0x0
	v_cmp_lt_i64_e64 s8, v[5:6], v[3:4]
	v_add_nc_u32_e32 v3, 1, v13
	s_wait_alu 0xf1ff
	s_delay_alu instid0(VALU_DEP_2) | instskip(NEXT) | instid1(VALU_DEP_2)
	v_cndmask_b32_e64 v1, v1, v13, s8
	v_cndmask_b32_e64 v2, v3, v2, s8
	s_delay_alu instid0(VALU_DEP_1) | instskip(SKIP_1) | instid1(SALU_CYCLE_1)
	v_cmp_ge_i32_e64 s8, v2, v1
	s_or_b32 s10, s8, s10
	s_and_not1_b32 exec_lo, exec_lo, s10
	s_cbranch_execnz .LBB125_4
; %bb.5:                                ;   in Loop: Header=BB125_2 Depth=1
	s_or_b32 exec_lo, exec_lo, s10
.LBB125_6:                              ;   in Loop: Header=BB125_2 Depth=1
	s_wait_alu 0xfffe
	s_or_b32 exec_lo, exec_lo, s9
	v_sub_nc_u32_e32 v1, v56, v2
	v_lshl_add_u32 v4, v2, 3, v38
                                        ; implicit-def: $vgpr17_vgpr18
	s_delay_alu instid0(VALU_DEP_2)
	v_lshlrev_b32_e32 v3, 3, v1
	v_add_nc_u32_e32 v1, v2, v31
	v_sub_nc_u32_e32 v2, v60, v2
	ds_load_b64 v[13:14], v4
	ds_load_b64 v[15:16], v3 offset:24
	v_cmp_le_i32_e64 s9, v36, v1
	v_cmp_gt_i32_e64 s10, v37, v2
	s_wait_dscnt 0x0
	v_cmp_lt_i64_e64 s8, v[15:16], v[13:14]
	s_or_b32 s8, s9, s8
	s_wait_alu 0xfffe
	s_and_b32 s8, s10, s8
	s_wait_alu 0xfffe
	s_xor_b32 s9, s8, -1
	s_wait_alu 0xfffe
	s_and_saveexec_b32 s10, s9
	s_delay_alu instid0(SALU_CYCLE_1)
	s_xor_b32 s9, exec_lo, s10
; %bb.7:                                ;   in Loop: Header=BB125_2 Depth=1
	ds_load_b64 v[17:18], v4 offset:8
                                        ; implicit-def: $vgpr3
; %bb.8:                                ;   in Loop: Header=BB125_2 Depth=1
	s_wait_alu 0xfffe
	s_or_saveexec_b32 s9, s9
	v_dual_mov_b32 v20, v16 :: v_dual_mov_b32 v19, v15
	s_wait_alu 0xfffe
	s_xor_b32 exec_lo, exec_lo, s9
	s_cbranch_execz .LBB125_10
; %bb.9:                                ;   in Loop: Header=BB125_2 Depth=1
	ds_load_b64 v[19:20], v3 offset:32
	s_wait_dscnt 0x1
	v_dual_mov_b32 v18, v14 :: v_dual_mov_b32 v17, v13
.LBB125_10:                             ;   in Loop: Header=BB125_2 Depth=1
	s_or_b32 exec_lo, exec_lo, s9
	v_add_nc_u32_e32 v3, 1, v1
	v_add_nc_u32_e32 v4, 1, v2
	s_wait_dscnt 0x0
	v_cmp_lt_i64_e64 s9, v[19:20], v[17:18]
                                        ; implicit-def: $vgpr21_vgpr22
	s_delay_alu instid0(VALU_DEP_3) | instskip(NEXT) | instid1(VALU_DEP_3)
	v_cndmask_b32_e64 v3, v3, v1, s8
	v_cndmask_b32_e64 v4, v2, v4, s8
	s_delay_alu instid0(VALU_DEP_2) | instskip(NEXT) | instid1(VALU_DEP_2)
	v_cmp_ge_i32_e64 s10, v3, v36
	v_cmp_lt_i32_e64 s11, v4, v37
	s_or_b32 s9, s10, s9
	s_wait_alu 0xfffe
	s_and_b32 s9, s11, s9
	s_wait_alu 0xfffe
	s_xor_b32 s10, s9, -1
	s_delay_alu instid0(SALU_CYCLE_1) | instskip(NEXT) | instid1(SALU_CYCLE_1)
	s_and_saveexec_b32 s11, s10
	s_xor_b32 s10, exec_lo, s11
; %bb.11:                               ;   in Loop: Header=BB125_2 Depth=1
	v_lshlrev_b32_e32 v5, 3, v3
	ds_load_b64 v[21:22], v5 offset:8
; %bb.12:                               ;   in Loop: Header=BB125_2 Depth=1
	s_or_saveexec_b32 s10, s10
	v_dual_mov_b32 v24, v20 :: v_dual_mov_b32 v23, v19
	s_xor_b32 exec_lo, exec_lo, s10
	s_cbranch_execz .LBB125_14
; %bb.13:                               ;   in Loop: Header=BB125_2 Depth=1
	s_wait_dscnt 0x0
	v_dual_mov_b32 v22, v18 :: v_dual_lshlrev_b32 v5, 3, v4
	v_mov_b32_e32 v21, v17
	ds_load_b64 v[23:24], v5 offset:8
.LBB125_14:                             ;   in Loop: Header=BB125_2 Depth=1
	s_or_b32 exec_lo, exec_lo, s10
	v_add_nc_u32_e32 v6, 1, v3
	v_add_nc_u32_e32 v5, 1, v4
	v_cndmask_b32_e64 v76, v3, v4, s9
	v_cndmask_b32_e64 v77, v10, v12, s7
	v_cndmask_b32_e64 v80, v1, v2, s8
	v_cndmask_b32_e64 v79, v6, v3, s9
	v_cndmask_b32_e64 v3, v9, v11, s7
	v_cndmask_b32_e64 v78, v4, v5, s9
	v_cndmask_b32_e64 v2, v8, v77, s5
	v_cndmask_b32_e64 v8, v77, v8, s5
	v_cndmask_b32_e64 v5, v11, v9, s7
	v_cndmask_b32_e64 v1, v7, v3, s5
	v_cndmask_b32_e64 v7, v3, v7, s5
	s_wait_dscnt 0x0
	v_cmp_lt_i64_e64 s5, v[23:24], v[21:22]
	v_cndmask_b32_e64 v6, v12, v10, s7
	v_cmp_ge_i32_e64 s7, v79, v36
	v_cmp_lt_i32_e64 s10, v78, v37
	v_cndmask_b32_e64 v3, v7, v5, s6
	v_cndmask_b32_e64 v5, v5, v7, s6
	;; [unrolled: 1-line block ×3, first 2 shown]
	s_or_b32 s5, s7, s5
	v_cndmask_b32_e64 v6, v6, v8, s6
	s_wait_alu 0xfffe
	s_and_b32 s5, s10, s5
	s_wait_loadcnt 0x0
	s_wait_alu 0xfffe
	v_cndmask_b32_e64 v7, v79, v78, s5
	s_barrier_signal -1
	s_barrier_wait -1
	global_inv scope:SCOPE_SE
	ds_store_2addr_b64 v25, v[5:6], v[3:4] offset1:1
	ds_store_b64 v25, v[1:2] offset:16
	v_lshlrev_b32_e32 v1, 3, v80
	v_lshlrev_b32_e32 v3, 3, v76
	;; [unrolled: 1-line block ×3, first 2 shown]
	s_wait_loadcnt_dscnt 0x0
	s_barrier_signal -1
	s_barrier_wait -1
	global_inv scope:SCOPE_SE
	ds_load_b64 v[1:2], v1
	ds_load_b64 v[5:6], v3
	;; [unrolled: 1-line block ×3, first 2 shown]
	v_cndmask_b32_e64 v10, v18, v20, s9
	v_cndmask_b32_e64 v9, v17, v19, s9
	;; [unrolled: 1-line block ×6, first 2 shown]
	s_wait_loadcnt_dscnt 0x0
	s_barrier_signal -1
	s_barrier_wait -1
	global_inv scope:SCOPE_SE
	ds_store_2addr_b64 v25, v[11:12], v[9:10] offset1:1
	ds_store_b64 v25, v[7:8] offset:16
	v_mov_b32_e32 v11, v71
	s_wait_loadcnt_dscnt 0x0
	s_barrier_signal -1
	s_barrier_wait -1
	global_inv scope:SCOPE_SE
	s_and_saveexec_b32 s6, s1
	s_cbranch_execz .LBB125_18
; %bb.15:                               ;   in Loop: Header=BB125_2 Depth=1
	v_mov_b32_e32 v11, v71
	v_mov_b32_e32 v7, v66
	s_mov_b32 s7, 0
.LBB125_16:                             ;   Parent Loop BB125_2 Depth=1
                                        ; =>  This Inner Loop Header: Depth=2
	s_delay_alu instid0(VALU_DEP_1) | instskip(NEXT) | instid1(VALU_DEP_1)
	v_sub_nc_u32_e32 v8, v7, v11
	v_lshrrev_b32_e32 v8, 1, v8
	s_delay_alu instid0(VALU_DEP_1) | instskip(NEXT) | instid1(VALU_DEP_1)
	v_add_nc_u32_e32 v10, v8, v11
	v_not_b32_e32 v8, v10
	v_lshl_add_u32 v9, v10, 3, v41
	s_delay_alu instid0(VALU_DEP_2)
	v_lshl_add_u32 v12, v8, 3, v52
	ds_load_b64 v[8:9], v9
	ds_load_b64 v[12:13], v12 offset:48
	s_wait_dscnt 0x0
	v_cmp_lt_i64_e64 s5, v[12:13], v[8:9]
	v_add_nc_u32_e32 v8, 1, v10
	s_wait_alu 0xf1ff
	s_delay_alu instid0(VALU_DEP_2) | instskip(NEXT) | instid1(VALU_DEP_2)
	v_cndmask_b32_e64 v7, v7, v10, s5
	v_cndmask_b32_e64 v11, v8, v11, s5
	s_delay_alu instid0(VALU_DEP_1)
	v_cmp_ge_i32_e64 s5, v11, v7
	s_wait_alu 0xfffe
	s_or_b32 s7, s5, s7
	s_wait_alu 0xfffe
	s_and_not1_b32 exec_lo, exec_lo, s7
	s_cbranch_execnz .LBB125_16
; %bb.17:                               ;   in Loop: Header=BB125_2 Depth=1
	s_or_b32 exec_lo, exec_lo, s7
.LBB125_18:                             ;   in Loop: Header=BB125_2 Depth=1
	s_wait_alu 0xfffe
	s_or_b32 exec_lo, exec_lo, s6
	v_sub_nc_u32_e32 v7, v57, v11
	v_lshl_add_u32 v13, v11, 3, v41
	v_add_nc_u32_e32 v19, v11, v32
	v_sub_nc_u32_e32 v20, v61, v11
                                        ; implicit-def: $vgpr11_vgpr12
	s_delay_alu instid0(VALU_DEP_4)
	v_lshlrev_b32_e32 v15, 3, v7
	ds_load_b64 v[7:8], v13
	ds_load_b64 v[9:10], v15 offset:48
	v_cmp_le_i32_e64 s6, v39, v19
	v_cmp_gt_i32_e64 s7, v40, v20
	s_wait_dscnt 0x0
	v_cmp_lt_i64_e64 s5, v[9:10], v[7:8]
	s_or_b32 s5, s6, s5
	s_wait_alu 0xfffe
	s_and_b32 s5, s7, s5
	s_wait_alu 0xfffe
	s_xor_b32 s6, s5, -1
	s_wait_alu 0xfffe
	s_and_saveexec_b32 s7, s6
	s_wait_alu 0xfffe
	s_xor_b32 s6, exec_lo, s7
; %bb.19:                               ;   in Loop: Header=BB125_2 Depth=1
	ds_load_b64 v[11:12], v13 offset:8
                                        ; implicit-def: $vgpr15
; %bb.20:                               ;   in Loop: Header=BB125_2 Depth=1
	s_wait_alu 0xfffe
	s_or_saveexec_b32 s6, s6
	v_dual_mov_b32 v14, v10 :: v_dual_mov_b32 v13, v9
	s_wait_alu 0xfffe
	s_xor_b32 exec_lo, exec_lo, s6
	s_cbranch_execz .LBB125_22
; %bb.21:                               ;   in Loop: Header=BB125_2 Depth=1
	ds_load_b64 v[13:14], v15 offset:56
	s_wait_dscnt 0x1
	v_dual_mov_b32 v12, v8 :: v_dual_mov_b32 v11, v7
.LBB125_22:                             ;   in Loop: Header=BB125_2 Depth=1
	s_or_b32 exec_lo, exec_lo, s6
	v_add_nc_u32_e32 v15, 1, v19
	v_add_nc_u32_e32 v16, 1, v20
	s_wait_dscnt 0x0
	v_cmp_lt_i64_e64 s6, v[13:14], v[11:12]
	s_delay_alu instid0(VALU_DEP_3) | instskip(NEXT) | instid1(VALU_DEP_3)
	v_cndmask_b32_e64 v22, v15, v19, s5
	v_cndmask_b32_e64 v21, v20, v16, s5
                                        ; implicit-def: $vgpr15_vgpr16
	s_delay_alu instid0(VALU_DEP_2) | instskip(NEXT) | instid1(VALU_DEP_2)
	v_cmp_ge_i32_e64 s7, v22, v39
	v_cmp_lt_i32_e64 s8, v21, v40
	s_or_b32 s6, s7, s6
	s_wait_alu 0xfffe
	s_and_b32 s6, s8, s6
	s_wait_alu 0xfffe
	s_xor_b32 s7, s6, -1
	s_wait_alu 0xfffe
	s_and_saveexec_b32 s8, s7
	s_wait_alu 0xfffe
	s_xor_b32 s7, exec_lo, s8
; %bb.23:                               ;   in Loop: Header=BB125_2 Depth=1
	v_lshlrev_b32_e32 v15, 3, v22
	ds_load_b64 v[15:16], v15 offset:8
; %bb.24:                               ;   in Loop: Header=BB125_2 Depth=1
	s_wait_alu 0xfffe
	s_or_saveexec_b32 s7, s7
	v_dual_mov_b32 v18, v14 :: v_dual_mov_b32 v17, v13
	s_wait_alu 0xfffe
	s_xor_b32 exec_lo, exec_lo, s7
	s_cbranch_execz .LBB125_26
; %bb.25:                               ;   in Loop: Header=BB125_2 Depth=1
	s_wait_dscnt 0x0
	v_lshlrev_b32_e32 v15, 3, v21
	ds_load_b64 v[17:18], v15 offset:8
	v_dual_mov_b32 v16, v12 :: v_dual_mov_b32 v15, v11
.LBB125_26:                             ;   in Loop: Header=BB125_2 Depth=1
	s_or_b32 exec_lo, exec_lo, s7
	v_add_nc_u32_e32 v23, 1, v22
	v_add_nc_u32_e32 v24, 1, v21
	s_wait_dscnt 0x0
	v_cmp_lt_i64_e64 s7, v[17:18], v[15:16]
	v_cndmask_b32_e64 v19, v19, v20, s5
	s_wait_loadcnt 0x0
	v_cndmask_b32_e64 v23, v23, v22, s6
	v_cndmask_b32_e64 v22, v22, v21, s6
	;; [unrolled: 1-line block ×3, first 2 shown]
	s_barrier_signal -1
	s_barrier_wait -1
	v_cmp_ge_i32_e64 s8, v23, v39
	global_inv scope:SCOPE_SE
	v_cmp_lt_i32_e64 s9, v21, v40
	ds_store_2addr_b64 v25, v[1:2], v[5:6] offset1:1
	ds_store_b64 v25, v[3:4] offset:16
	v_lshlrev_b32_e32 v1, 3, v19
	s_or_b32 s7, s8, s7
	v_lshlrev_b32_e32 v3, 3, v22
	s_wait_alu 0xfffe
	s_and_b32 s7, s9, s7
	s_wait_loadcnt_dscnt 0x0
	s_wait_alu 0xfffe
	v_cndmask_b32_e64 v16, v16, v18, s7
	v_cndmask_b32_e64 v18, v23, v21, s7
	s_barrier_signal -1
	s_barrier_wait -1
	global_inv scope:SCOPE_SE
	v_cndmask_b32_e64 v12, v12, v14, s6
	v_lshlrev_b32_e32 v4, 3, v18
	v_cndmask_b32_e64 v11, v11, v13, s6
	ds_load_b64 v[1:2], v1
	ds_load_b64 v[5:6], v3
	;; [unrolled: 1-line block ×3, first 2 shown]
	v_cndmask_b32_e64 v8, v8, v10, s5
	v_cndmask_b32_e64 v7, v7, v9, s5
	;; [unrolled: 1-line block ×3, first 2 shown]
	s_wait_loadcnt_dscnt 0x0
	s_barrier_signal -1
	s_barrier_wait -1
	global_inv scope:SCOPE_SE
	ds_store_2addr_b64 v25, v[7:8], v[11:12] offset1:1
	ds_store_b64 v25, v[15:16] offset:16
	v_mov_b32_e32 v11, v72
	s_wait_loadcnt_dscnt 0x0
	s_barrier_signal -1
	s_barrier_wait -1
	global_inv scope:SCOPE_SE
	s_and_saveexec_b32 s6, s2
	s_cbranch_execz .LBB125_30
; %bb.27:                               ;   in Loop: Header=BB125_2 Depth=1
	v_mov_b32_e32 v11, v72
	v_mov_b32_e32 v7, v67
	s_mov_b32 s7, 0
.LBB125_28:                             ;   Parent Loop BB125_2 Depth=1
                                        ; =>  This Inner Loop Header: Depth=2
	s_delay_alu instid0(VALU_DEP_1) | instskip(NEXT) | instid1(VALU_DEP_1)
	v_sub_nc_u32_e32 v8, v7, v11
	v_lshrrev_b32_e32 v8, 1, v8
	s_delay_alu instid0(VALU_DEP_1) | instskip(NEXT) | instid1(VALU_DEP_1)
	v_add_nc_u32_e32 v10, v8, v11
	v_not_b32_e32 v8, v10
	v_lshl_add_u32 v9, v10, 3, v44
	s_delay_alu instid0(VALU_DEP_2)
	v_lshl_add_u32 v12, v8, 3, v53
	ds_load_b64 v[8:9], v9
	ds_load_b64 v[12:13], v12 offset:96
	s_wait_dscnt 0x0
	v_cmp_lt_i64_e64 s5, v[12:13], v[8:9]
	v_add_nc_u32_e32 v8, 1, v10
	s_wait_alu 0xf1ff
	s_delay_alu instid0(VALU_DEP_2) | instskip(NEXT) | instid1(VALU_DEP_2)
	v_cndmask_b32_e64 v7, v7, v10, s5
	v_cndmask_b32_e64 v11, v8, v11, s5
	s_delay_alu instid0(VALU_DEP_1)
	v_cmp_ge_i32_e64 s5, v11, v7
	s_wait_alu 0xfffe
	s_or_b32 s7, s5, s7
	s_wait_alu 0xfffe
	s_and_not1_b32 exec_lo, exec_lo, s7
	s_cbranch_execnz .LBB125_28
; %bb.29:                               ;   in Loop: Header=BB125_2 Depth=1
	s_or_b32 exec_lo, exec_lo, s7
.LBB125_30:                             ;   in Loop: Header=BB125_2 Depth=1
	s_wait_alu 0xfffe
	s_or_b32 exec_lo, exec_lo, s6
	v_sub_nc_u32_e32 v7, v58, v11
	v_lshl_add_u32 v13, v11, 3, v44
	v_add_nc_u32_e32 v19, v11, v33
	v_sub_nc_u32_e32 v20, v62, v11
                                        ; implicit-def: $vgpr11_vgpr12
	s_delay_alu instid0(VALU_DEP_4)
	v_lshlrev_b32_e32 v15, 3, v7
	ds_load_b64 v[7:8], v13
	ds_load_b64 v[9:10], v15 offset:96
	v_cmp_le_i32_e64 s6, v42, v19
	v_cmp_gt_i32_e64 s7, v43, v20
	s_wait_dscnt 0x0
	v_cmp_lt_i64_e64 s5, v[9:10], v[7:8]
	s_or_b32 s5, s6, s5
	s_wait_alu 0xfffe
	s_and_b32 s5, s7, s5
	s_wait_alu 0xfffe
	s_xor_b32 s6, s5, -1
	s_wait_alu 0xfffe
	s_and_saveexec_b32 s7, s6
	s_wait_alu 0xfffe
	s_xor_b32 s6, exec_lo, s7
; %bb.31:                               ;   in Loop: Header=BB125_2 Depth=1
	ds_load_b64 v[11:12], v13 offset:8
                                        ; implicit-def: $vgpr15
; %bb.32:                               ;   in Loop: Header=BB125_2 Depth=1
	s_wait_alu 0xfffe
	s_or_saveexec_b32 s6, s6
	v_dual_mov_b32 v14, v10 :: v_dual_mov_b32 v13, v9
	s_wait_alu 0xfffe
	s_xor_b32 exec_lo, exec_lo, s6
	s_cbranch_execz .LBB125_34
; %bb.33:                               ;   in Loop: Header=BB125_2 Depth=1
	ds_load_b64 v[13:14], v15 offset:104
	s_wait_dscnt 0x1
	v_dual_mov_b32 v12, v8 :: v_dual_mov_b32 v11, v7
.LBB125_34:                             ;   in Loop: Header=BB125_2 Depth=1
	s_or_b32 exec_lo, exec_lo, s6
	v_add_nc_u32_e32 v15, 1, v19
	v_add_nc_u32_e32 v16, 1, v20
	s_wait_dscnt 0x0
	v_cmp_lt_i64_e64 s6, v[13:14], v[11:12]
	s_delay_alu instid0(VALU_DEP_3) | instskip(NEXT) | instid1(VALU_DEP_3)
	v_cndmask_b32_e64 v22, v15, v19, s5
	v_cndmask_b32_e64 v21, v20, v16, s5
                                        ; implicit-def: $vgpr15_vgpr16
	s_delay_alu instid0(VALU_DEP_2) | instskip(NEXT) | instid1(VALU_DEP_2)
	v_cmp_ge_i32_e64 s7, v22, v42
	v_cmp_lt_i32_e64 s8, v21, v43
	s_or_b32 s6, s7, s6
	s_wait_alu 0xfffe
	s_and_b32 s6, s8, s6
	s_wait_alu 0xfffe
	s_xor_b32 s7, s6, -1
	s_wait_alu 0xfffe
	s_and_saveexec_b32 s8, s7
	s_wait_alu 0xfffe
	s_xor_b32 s7, exec_lo, s8
; %bb.35:                               ;   in Loop: Header=BB125_2 Depth=1
	v_lshlrev_b32_e32 v15, 3, v22
	ds_load_b64 v[15:16], v15 offset:8
; %bb.36:                               ;   in Loop: Header=BB125_2 Depth=1
	s_wait_alu 0xfffe
	s_or_saveexec_b32 s7, s7
	v_dual_mov_b32 v18, v14 :: v_dual_mov_b32 v17, v13
	s_wait_alu 0xfffe
	s_xor_b32 exec_lo, exec_lo, s7
	s_cbranch_execz .LBB125_38
; %bb.37:                               ;   in Loop: Header=BB125_2 Depth=1
	s_wait_dscnt 0x0
	v_lshlrev_b32_e32 v15, 3, v21
	ds_load_b64 v[17:18], v15 offset:8
	v_dual_mov_b32 v16, v12 :: v_dual_mov_b32 v15, v11
.LBB125_38:                             ;   in Loop: Header=BB125_2 Depth=1
	s_or_b32 exec_lo, exec_lo, s7
	v_add_nc_u32_e32 v23, 1, v22
	v_add_nc_u32_e32 v24, 1, v21
	s_wait_dscnt 0x0
	v_cmp_lt_i64_e64 s7, v[17:18], v[15:16]
	v_cndmask_b32_e64 v19, v19, v20, s5
	s_wait_loadcnt 0x0
	v_cndmask_b32_e64 v23, v23, v22, s6
	v_cndmask_b32_e64 v22, v22, v21, s6
	;; [unrolled: 1-line block ×3, first 2 shown]
	s_barrier_signal -1
	s_barrier_wait -1
	v_cmp_ge_i32_e64 s8, v23, v42
	global_inv scope:SCOPE_SE
	v_cmp_lt_i32_e64 s9, v21, v43
	ds_store_2addr_b64 v25, v[1:2], v[5:6] offset1:1
	ds_store_b64 v25, v[3:4] offset:16
	v_lshlrev_b32_e32 v1, 3, v19
	s_or_b32 s7, s8, s7
	v_lshlrev_b32_e32 v3, 3, v22
	s_wait_alu 0xfffe
	s_and_b32 s7, s9, s7
	s_wait_loadcnt_dscnt 0x0
	s_wait_alu 0xfffe
	v_cndmask_b32_e64 v16, v16, v18, s7
	v_cndmask_b32_e64 v18, v23, v21, s7
	s_barrier_signal -1
	s_barrier_wait -1
	global_inv scope:SCOPE_SE
	v_cndmask_b32_e64 v12, v12, v14, s6
	v_lshlrev_b32_e32 v4, 3, v18
	v_cndmask_b32_e64 v11, v11, v13, s6
	ds_load_b64 v[1:2], v1
	ds_load_b64 v[5:6], v3
	ds_load_b64 v[3:4], v4
	v_cndmask_b32_e64 v8, v8, v10, s5
	v_cndmask_b32_e64 v7, v7, v9, s5
	;; [unrolled: 1-line block ×3, first 2 shown]
	s_wait_loadcnt_dscnt 0x0
	s_barrier_signal -1
	s_barrier_wait -1
	global_inv scope:SCOPE_SE
	ds_store_2addr_b64 v25, v[7:8], v[11:12] offset1:1
	ds_store_b64 v25, v[15:16] offset:16
	v_mov_b32_e32 v11, v73
	s_wait_loadcnt_dscnt 0x0
	s_barrier_signal -1
	s_barrier_wait -1
	global_inv scope:SCOPE_SE
	s_and_saveexec_b32 s6, s3
	s_cbranch_execz .LBB125_42
; %bb.39:                               ;   in Loop: Header=BB125_2 Depth=1
	v_mov_b32_e32 v11, v73
	v_mov_b32_e32 v7, v68
	s_mov_b32 s7, 0
.LBB125_40:                             ;   Parent Loop BB125_2 Depth=1
                                        ; =>  This Inner Loop Header: Depth=2
	s_delay_alu instid0(VALU_DEP_1) | instskip(NEXT) | instid1(VALU_DEP_1)
	v_sub_nc_u32_e32 v8, v7, v11
	v_lshrrev_b32_e32 v8, 1, v8
	s_delay_alu instid0(VALU_DEP_1) | instskip(NEXT) | instid1(VALU_DEP_1)
	v_add_nc_u32_e32 v10, v8, v11
	v_not_b32_e32 v8, v10
	v_lshl_add_u32 v9, v10, 3, v47
	s_delay_alu instid0(VALU_DEP_2)
	v_lshl_add_u32 v12, v8, 3, v54
	ds_load_b64 v[8:9], v9
	ds_load_b64 v[12:13], v12 offset:192
	s_wait_dscnt 0x0
	v_cmp_lt_i64_e64 s5, v[12:13], v[8:9]
	v_add_nc_u32_e32 v8, 1, v10
	s_wait_alu 0xf1ff
	s_delay_alu instid0(VALU_DEP_2) | instskip(NEXT) | instid1(VALU_DEP_2)
	v_cndmask_b32_e64 v7, v7, v10, s5
	v_cndmask_b32_e64 v11, v8, v11, s5
	s_delay_alu instid0(VALU_DEP_1)
	v_cmp_ge_i32_e64 s5, v11, v7
	s_wait_alu 0xfffe
	s_or_b32 s7, s5, s7
	s_wait_alu 0xfffe
	s_and_not1_b32 exec_lo, exec_lo, s7
	s_cbranch_execnz .LBB125_40
; %bb.41:                               ;   in Loop: Header=BB125_2 Depth=1
	s_or_b32 exec_lo, exec_lo, s7
.LBB125_42:                             ;   in Loop: Header=BB125_2 Depth=1
	s_wait_alu 0xfffe
	s_or_b32 exec_lo, exec_lo, s6
	v_sub_nc_u32_e32 v7, v59, v11
	v_lshl_add_u32 v13, v11, 3, v47
	v_add_nc_u32_e32 v19, v11, v34
	v_sub_nc_u32_e32 v20, v63, v11
                                        ; implicit-def: $vgpr11_vgpr12
	s_delay_alu instid0(VALU_DEP_4)
	v_lshlrev_b32_e32 v15, 3, v7
	ds_load_b64 v[7:8], v13
	ds_load_b64 v[9:10], v15 offset:192
	v_cmp_le_i32_e64 s6, v45, v19
	v_cmp_gt_i32_e64 s7, v46, v20
	s_wait_dscnt 0x0
	v_cmp_lt_i64_e64 s5, v[9:10], v[7:8]
	s_or_b32 s5, s6, s5
	s_wait_alu 0xfffe
	s_and_b32 s5, s7, s5
	s_wait_alu 0xfffe
	s_xor_b32 s6, s5, -1
	s_wait_alu 0xfffe
	s_and_saveexec_b32 s7, s6
	s_wait_alu 0xfffe
	s_xor_b32 s6, exec_lo, s7
; %bb.43:                               ;   in Loop: Header=BB125_2 Depth=1
	ds_load_b64 v[11:12], v13 offset:8
                                        ; implicit-def: $vgpr15
; %bb.44:                               ;   in Loop: Header=BB125_2 Depth=1
	s_wait_alu 0xfffe
	s_or_saveexec_b32 s6, s6
	v_dual_mov_b32 v14, v10 :: v_dual_mov_b32 v13, v9
	s_wait_alu 0xfffe
	s_xor_b32 exec_lo, exec_lo, s6
	s_cbranch_execz .LBB125_46
; %bb.45:                               ;   in Loop: Header=BB125_2 Depth=1
	ds_load_b64 v[13:14], v15 offset:200
	s_wait_dscnt 0x1
	v_dual_mov_b32 v12, v8 :: v_dual_mov_b32 v11, v7
.LBB125_46:                             ;   in Loop: Header=BB125_2 Depth=1
	s_or_b32 exec_lo, exec_lo, s6
	v_add_nc_u32_e32 v15, 1, v19
	v_add_nc_u32_e32 v16, 1, v20
	s_wait_dscnt 0x0
	v_cmp_lt_i64_e64 s6, v[13:14], v[11:12]
	s_delay_alu instid0(VALU_DEP_3) | instskip(NEXT) | instid1(VALU_DEP_3)
	v_cndmask_b32_e64 v22, v15, v19, s5
	v_cndmask_b32_e64 v21, v20, v16, s5
                                        ; implicit-def: $vgpr15_vgpr16
	s_delay_alu instid0(VALU_DEP_2) | instskip(NEXT) | instid1(VALU_DEP_2)
	v_cmp_ge_i32_e64 s7, v22, v45
	v_cmp_lt_i32_e64 s8, v21, v46
	s_or_b32 s6, s7, s6
	s_wait_alu 0xfffe
	s_and_b32 s6, s8, s6
	s_wait_alu 0xfffe
	s_xor_b32 s7, s6, -1
	s_wait_alu 0xfffe
	s_and_saveexec_b32 s8, s7
	s_wait_alu 0xfffe
	s_xor_b32 s7, exec_lo, s8
; %bb.47:                               ;   in Loop: Header=BB125_2 Depth=1
	v_lshlrev_b32_e32 v15, 3, v22
	ds_load_b64 v[15:16], v15 offset:8
; %bb.48:                               ;   in Loop: Header=BB125_2 Depth=1
	s_wait_alu 0xfffe
	s_or_saveexec_b32 s7, s7
	v_dual_mov_b32 v18, v14 :: v_dual_mov_b32 v17, v13
	s_wait_alu 0xfffe
	s_xor_b32 exec_lo, exec_lo, s7
	s_cbranch_execz .LBB125_50
; %bb.49:                               ;   in Loop: Header=BB125_2 Depth=1
	s_wait_dscnt 0x0
	v_lshlrev_b32_e32 v15, 3, v21
	ds_load_b64 v[17:18], v15 offset:8
	v_dual_mov_b32 v16, v12 :: v_dual_mov_b32 v15, v11
.LBB125_50:                             ;   in Loop: Header=BB125_2 Depth=1
	s_or_b32 exec_lo, exec_lo, s7
	v_add_nc_u32_e32 v23, 1, v22
	v_add_nc_u32_e32 v24, 1, v21
	s_wait_dscnt 0x0
	v_cmp_lt_i64_e64 s7, v[17:18], v[15:16]
	v_cndmask_b32_e64 v19, v19, v20, s5
	s_wait_loadcnt 0x0
	v_cndmask_b32_e64 v23, v23, v22, s6
	v_cndmask_b32_e64 v22, v22, v21, s6
	;; [unrolled: 1-line block ×3, first 2 shown]
	s_barrier_signal -1
	s_barrier_wait -1
	v_cmp_ge_i32_e64 s8, v23, v45
	global_inv scope:SCOPE_SE
	v_cmp_lt_i32_e64 s9, v21, v46
	ds_store_2addr_b64 v25, v[1:2], v[5:6] offset1:1
	ds_store_b64 v25, v[3:4] offset:16
	v_lshlrev_b32_e32 v1, 3, v19
	s_or_b32 s7, s8, s7
	v_lshlrev_b32_e32 v3, 3, v22
	s_wait_alu 0xfffe
	s_and_b32 s7, s9, s7
	s_wait_loadcnt_dscnt 0x0
	s_wait_alu 0xfffe
	v_cndmask_b32_e64 v16, v16, v18, s7
	v_cndmask_b32_e64 v18, v23, v21, s7
	s_barrier_signal -1
	s_barrier_wait -1
	global_inv scope:SCOPE_SE
	v_cndmask_b32_e64 v12, v12, v14, s6
	v_lshlrev_b32_e32 v4, 3, v18
	v_cndmask_b32_e64 v11, v11, v13, s6
	ds_load_b64 v[1:2], v1
	ds_load_b64 v[5:6], v3
	ds_load_b64 v[3:4], v4
	v_cndmask_b32_e64 v8, v8, v10, s5
	v_cndmask_b32_e64 v7, v7, v9, s5
	;; [unrolled: 1-line block ×3, first 2 shown]
	s_wait_loadcnt_dscnt 0x0
	s_barrier_signal -1
	s_barrier_wait -1
	global_inv scope:SCOPE_SE
	ds_store_2addr_b64 v25, v[7:8], v[11:12] offset1:1
	ds_store_b64 v25, v[15:16] offset:16
	v_mov_b32_e32 v8, v74
	s_wait_loadcnt_dscnt 0x0
	s_barrier_signal -1
	s_barrier_wait -1
	global_inv scope:SCOPE_SE
	s_and_saveexec_b32 s6, s4
	s_cbranch_execz .LBB125_54
; %bb.51:                               ;   in Loop: Header=BB125_2 Depth=1
	v_dual_mov_b32 v8, v74 :: v_dual_mov_b32 v7, v69
	s_mov_b32 s7, 0
.LBB125_52:                             ;   Parent Loop BB125_2 Depth=1
                                        ; =>  This Inner Loop Header: Depth=2
	s_delay_alu instid0(VALU_DEP_1) | instskip(NEXT) | instid1(VALU_DEP_1)
	v_sub_nc_u32_e32 v9, v7, v8
	v_lshrrev_b32_e32 v9, 1, v9
	s_delay_alu instid0(VALU_DEP_1) | instskip(NEXT) | instid1(VALU_DEP_1)
	v_add_nc_u32_e32 v13, v9, v8
	v_not_b32_e32 v9, v13
	v_lshl_add_u32 v10, v13, 3, v50
	s_delay_alu instid0(VALU_DEP_2)
	v_lshl_add_u32 v11, v9, 3, v55
	ds_load_b64 v[9:10], v10
	ds_load_b64 v[11:12], v11 offset:384
	s_wait_dscnt 0x0
	v_cmp_lt_i64_e64 s5, v[11:12], v[9:10]
	v_add_nc_u32_e32 v9, 1, v13
	s_wait_alu 0xf1ff
	s_delay_alu instid0(VALU_DEP_2) | instskip(NEXT) | instid1(VALU_DEP_2)
	v_cndmask_b32_e64 v7, v7, v13, s5
	v_cndmask_b32_e64 v8, v9, v8, s5
	s_delay_alu instid0(VALU_DEP_1)
	v_cmp_ge_i32_e64 s5, v8, v7
	s_wait_alu 0xfffe
	s_or_b32 s7, s5, s7
	s_wait_alu 0xfffe
	s_and_not1_b32 exec_lo, exec_lo, s7
	s_cbranch_execnz .LBB125_52
; %bb.53:                               ;   in Loop: Header=BB125_2 Depth=1
	s_or_b32 exec_lo, exec_lo, s7
.LBB125_54:                             ;   in Loop: Header=BB125_2 Depth=1
	s_wait_alu 0xfffe
	s_or_b32 exec_lo, exec_lo, s6
	v_sub_nc_u32_e32 v7, v75, v8
	v_lshl_add_u32 v15, v8, 3, v50
                                        ; implicit-def: $vgpr13_vgpr14
	s_delay_alu instid0(VALU_DEP_2)
	v_lshlrev_b32_e32 v17, 3, v7
	v_add_nc_u32_e32 v7, v8, v35
	v_sub_nc_u32_e32 v8, v64, v8
	ds_load_b64 v[9:10], v15
	ds_load_b64 v[11:12], v17 offset:384
	v_cmp_le_i32_e64 s6, v48, v7
	v_cmp_gt_i32_e64 s7, v49, v8
	s_wait_dscnt 0x0
	v_cmp_lt_i64_e64 s5, v[11:12], v[9:10]
	s_or_b32 s5, s6, s5
	s_wait_alu 0xfffe
	s_and_b32 s5, s7, s5
	s_wait_alu 0xfffe
	s_xor_b32 s6, s5, -1
	s_wait_alu 0xfffe
	s_and_saveexec_b32 s7, s6
	s_wait_alu 0xfffe
	s_xor_b32 s6, exec_lo, s7
; %bb.55:                               ;   in Loop: Header=BB125_2 Depth=1
	ds_load_b64 v[13:14], v15 offset:8
                                        ; implicit-def: $vgpr17
; %bb.56:                               ;   in Loop: Header=BB125_2 Depth=1
	s_wait_alu 0xfffe
	s_or_saveexec_b32 s6, s6
	v_dual_mov_b32 v16, v12 :: v_dual_mov_b32 v15, v11
	s_wait_alu 0xfffe
	s_xor_b32 exec_lo, exec_lo, s6
	s_cbranch_execz .LBB125_58
; %bb.57:                               ;   in Loop: Header=BB125_2 Depth=1
	ds_load_b64 v[15:16], v17 offset:392
	s_wait_dscnt 0x1
	v_dual_mov_b32 v14, v10 :: v_dual_mov_b32 v13, v9
.LBB125_58:                             ;   in Loop: Header=BB125_2 Depth=1
	s_or_b32 exec_lo, exec_lo, s6
	v_add_nc_u32_e32 v17, 1, v7
	v_add_nc_u32_e32 v18, 1, v8
	s_wait_dscnt 0x0
	v_cmp_lt_i64_e64 s6, v[15:16], v[13:14]
	s_delay_alu instid0(VALU_DEP_3) | instskip(NEXT) | instid1(VALU_DEP_3)
	v_cndmask_b32_e64 v22, v17, v7, s5
	v_cndmask_b32_e64 v21, v8, v18, s5
                                        ; implicit-def: $vgpr17_vgpr18
	s_delay_alu instid0(VALU_DEP_2) | instskip(NEXT) | instid1(VALU_DEP_2)
	v_cmp_ge_i32_e64 s7, v22, v48
	v_cmp_lt_i32_e64 s8, v21, v49
	s_or_b32 s6, s7, s6
	s_wait_alu 0xfffe
	s_and_b32 s6, s8, s6
	s_wait_alu 0xfffe
	s_xor_b32 s7, s6, -1
	s_wait_alu 0xfffe
	s_and_saveexec_b32 s8, s7
	s_wait_alu 0xfffe
	s_xor_b32 s7, exec_lo, s8
; %bb.59:                               ;   in Loop: Header=BB125_2 Depth=1
	v_lshlrev_b32_e32 v17, 3, v22
	ds_load_b64 v[17:18], v17 offset:8
; %bb.60:                               ;   in Loop: Header=BB125_2 Depth=1
	s_wait_alu 0xfffe
	s_or_saveexec_b32 s7, s7
	v_dual_mov_b32 v20, v16 :: v_dual_mov_b32 v19, v15
	s_wait_alu 0xfffe
	s_xor_b32 exec_lo, exec_lo, s7
	s_cbranch_execz .LBB125_62
; %bb.61:                               ;   in Loop: Header=BB125_2 Depth=1
	s_wait_dscnt 0x0
	v_lshlrev_b32_e32 v17, 3, v21
	ds_load_b64 v[19:20], v17 offset:8
	v_dual_mov_b32 v18, v14 :: v_dual_mov_b32 v17, v13
.LBB125_62:                             ;   in Loop: Header=BB125_2 Depth=1
	s_or_b32 exec_lo, exec_lo, s7
	v_add_nc_u32_e32 v23, 1, v22
	v_add_nc_u32_e32 v24, 1, v21
	s_wait_dscnt 0x0
	v_cmp_lt_i64_e64 s7, v[19:20], v[17:18]
	v_cndmask_b32_e64 v7, v7, v8, s5
	s_wait_loadcnt 0x0
	v_cndmask_b32_e64 v23, v23, v22, s6
	v_cndmask_b32_e64 v22, v22, v21, s6
	;; [unrolled: 1-line block ×3, first 2 shown]
	s_barrier_signal -1
	s_barrier_wait -1
	v_cmp_ge_i32_e64 s8, v23, v48
	global_inv scope:SCOPE_SE
	v_cmp_lt_i32_e64 s9, v21, v49
	ds_store_2addr_b64 v25, v[1:2], v[5:6] offset1:1
	ds_store_b64 v25, v[3:4] offset:16
	v_lshlrev_b32_e32 v1, 3, v7
	s_or_b32 s7, s8, s7
	v_lshlrev_b32_e32 v2, 3, v22
	s_wait_alu 0xfffe
	s_and_b32 s7, s9, s7
	s_wait_loadcnt_dscnt 0x0
	s_wait_alu 0xfffe
	v_cndmask_b32_e64 v8, v23, v21, s7
	s_barrier_signal -1
	s_barrier_wait -1
	global_inv scope:SCOPE_SE
	v_cndmask_b32_e64 v10, v10, v12, s5
	v_lshlrev_b32_e32 v5, 3, v8
	v_cndmask_b32_e64 v9, v9, v11, s5
	v_cndmask_b32_e64 v18, v18, v20, s7
	ds_load_b64 v[3:4], v1
	ds_load_b64 v[7:8], v2
	;; [unrolled: 1-line block ×3, first 2 shown]
	v_cndmask_b32_e64 v2, v14, v16, s6
	v_cndmask_b32_e64 v1, v13, v15, s6
	;; [unrolled: 1-line block ×3, first 2 shown]
	s_wait_loadcnt_dscnt 0x0
	s_barrier_signal -1
	s_barrier_wait -1
	global_inv scope:SCOPE_SE
	ds_store_2addr_b64 v25, v[9:10], v[1:2] offset1:1
	ds_store_b64 v25, v[17:18] offset:16
	v_mov_b32_e32 v9, v28
	s_wait_loadcnt_dscnt 0x0
	s_barrier_signal -1
	s_barrier_wait -1
	global_inv scope:SCOPE_SE
	s_and_saveexec_b32 s6, vcc_lo
	s_cbranch_execz .LBB125_66
; %bb.63:                               ;   in Loop: Header=BB125_2 Depth=1
	v_mov_b32_e32 v9, v28
	v_mov_b32_e32 v1, v29
	s_mov_b32 s7, 0
.LBB125_64:                             ;   Parent Loop BB125_2 Depth=1
                                        ; =>  This Inner Loop Header: Depth=2
	s_delay_alu instid0(VALU_DEP_1) | instskip(NEXT) | instid1(VALU_DEP_1)
	v_sub_nc_u32_e32 v2, v1, v9
	v_lshrrev_b32_e32 v2, 1, v2
	s_delay_alu instid0(VALU_DEP_1) | instskip(NEXT) | instid1(VALU_DEP_1)
	v_add_nc_u32_e32 v2, v2, v9
	v_not_b32_e32 v10, v2
	v_lshlrev_b32_e32 v11, 3, v2
	s_delay_alu instid0(VALU_DEP_2)
	v_lshl_add_u32 v12, v10, 3, v30
	ds_load_b64 v[10:11], v11
	ds_load_b64 v[12:13], v12 offset:768
	s_wait_dscnt 0x0
	v_cmp_lt_i64_e64 s5, v[12:13], v[10:11]
	v_add_nc_u32_e32 v10, 1, v2
	s_wait_alu 0xf1ff
	s_delay_alu instid0(VALU_DEP_2) | instskip(NEXT) | instid1(VALU_DEP_2)
	v_cndmask_b32_e64 v1, v1, v2, s5
	v_cndmask_b32_e64 v9, v10, v9, s5
	s_delay_alu instid0(VALU_DEP_1)
	v_cmp_ge_i32_e64 s5, v9, v1
	s_wait_alu 0xfffe
	s_or_b32 s7, s5, s7
	s_wait_alu 0xfffe
	s_and_not1_b32 exec_lo, exec_lo, s7
	s_cbranch_execnz .LBB125_64
; %bb.65:                               ;   in Loop: Header=BB125_2 Depth=1
	s_or_b32 exec_lo, exec_lo, s7
.LBB125_66:                             ;   in Loop: Header=BB125_2 Depth=1
	s_wait_alu 0xfffe
	s_or_b32 exec_lo, exec_lo, s6
	v_sub_nc_u32_e32 v1, v26, v9
	v_lshlrev_b32_e32 v2, 3, v9
	v_sub_nc_u32_e32 v10, v27, v9
	v_cmp_le_i32_e64 s6, 0x60, v9
                                        ; implicit-def: $vgpr17_vgpr18
	s_delay_alu instid0(VALU_DEP_4)
	v_lshlrev_b32_e32 v1, 3, v1
	ds_load_b64 v[13:14], v2
	ds_load_b64 v[15:16], v1 offset:768
	v_cmp_gt_i32_e64 s7, 0xc0, v10
	s_wait_dscnt 0x0
	v_cmp_lt_i64_e64 s5, v[15:16], v[13:14]
	s_or_b32 s5, s6, s5
	s_wait_alu 0xfffe
	s_and_b32 s5, s7, s5
	s_wait_alu 0xfffe
	s_xor_b32 s6, s5, -1
	s_wait_alu 0xfffe
	s_and_saveexec_b32 s7, s6
	s_wait_alu 0xfffe
	s_xor_b32 s6, exec_lo, s7
; %bb.67:                               ;   in Loop: Header=BB125_2 Depth=1
	ds_load_b64 v[17:18], v2 offset:8
                                        ; implicit-def: $vgpr1
; %bb.68:                               ;   in Loop: Header=BB125_2 Depth=1
	s_wait_alu 0xfffe
	s_or_saveexec_b32 s6, s6
	v_dual_mov_b32 v20, v16 :: v_dual_mov_b32 v19, v15
	s_wait_alu 0xfffe
	s_xor_b32 exec_lo, exec_lo, s6
	s_cbranch_execz .LBB125_70
; %bb.69:                               ;   in Loop: Header=BB125_2 Depth=1
	ds_load_b64 v[19:20], v1 offset:776
	s_wait_dscnt 0x1
	v_dual_mov_b32 v18, v14 :: v_dual_mov_b32 v17, v13
.LBB125_70:                             ;   in Loop: Header=BB125_2 Depth=1
	s_or_b32 exec_lo, exec_lo, s6
	v_add_nc_u32_e32 v1, 1, v9
	v_add_nc_u32_e32 v2, 1, v10
	s_wait_dscnt 0x0
	v_cmp_lt_i64_e64 s6, v[19:20], v[17:18]
                                        ; implicit-def: $vgpr23
	s_delay_alu instid0(VALU_DEP_3) | instskip(NEXT) | instid1(VALU_DEP_3)
	v_cndmask_b32_e64 v24, v1, v9, s5
	v_cndmask_b32_e64 v11, v10, v2, s5
                                        ; implicit-def: $vgpr1_vgpr2
	s_delay_alu instid0(VALU_DEP_2) | instskip(NEXT) | instid1(VALU_DEP_2)
	v_cmp_le_i32_e64 s7, 0x60, v24
	v_cmp_gt_i32_e64 s8, 0xc0, v11
	s_or_b32 s6, s7, s6
	s_wait_alu 0xfffe
	s_and_b32 s6, s8, s6
	s_wait_alu 0xfffe
	s_xor_b32 s7, s6, -1
	s_wait_alu 0xfffe
	s_and_saveexec_b32 s8, s7
	s_wait_alu 0xfffe
	s_xor_b32 s7, exec_lo, s8
; %bb.71:                               ;   in Loop: Header=BB125_2 Depth=1
	v_lshlrev_b32_e32 v1, 3, v24
	v_add_nc_u32_e32 v23, 1, v24
	ds_load_b64 v[1:2], v1 offset:8
; %bb.72:                               ;   in Loop: Header=BB125_2 Depth=1
	s_wait_alu 0xfffe
	s_or_saveexec_b32 s7, s7
	v_mov_b32_e32 v22, v20
	v_dual_mov_b32 v12, v24 :: v_dual_mov_b32 v21, v19
	s_wait_alu 0xfffe
	s_xor_b32 exec_lo, exec_lo, s7
	s_cbranch_execz .LBB125_1
; %bb.73:                               ;   in Loop: Header=BB125_2 Depth=1
	s_wait_dscnt 0x0
	v_dual_mov_b32 v12, v11 :: v_dual_lshlrev_b32 v1, 3, v11
	v_mov_b32_e32 v23, v24
	ds_load_b64 v[21:22], v1 offset:8
	v_add_nc_u32_e32 v1, 1, v11
	s_delay_alu instid0(VALU_DEP_1)
	v_mov_b32_e32 v11, v1
	v_dual_mov_b32 v1, v17 :: v_dual_mov_b32 v2, v18
	s_branch .LBB125_1
.LBB125_74:
	s_wait_dscnt 0x2
	v_add_co_u32 v5, vcc_lo, v5, v11
	s_wait_alu 0xfffd
	v_add_co_ci_u32_e64 v6, null, v6, v12, vcc_lo
	s_wait_dscnt 0x1
	v_add_co_u32 v3, vcc_lo, v3, v9
	s_wait_alu 0xfffd
	v_add_co_ci_u32_e64 v4, null, v4, v10, vcc_lo
	v_lshlrev_b32_e32 v9, 3, v0
	s_wait_dscnt 0x0
	v_add_co_u32 v0, vcc_lo, v1, v7
	s_wait_alu 0xfffd
	v_add_co_ci_u32_e64 v1, null, v2, v8, vcc_lo
	s_add_nc_u64 s[0:1], s[14:15], s[16:17]
	s_clause 0x2
	global_store_b64 v9, v[5:6], s[0:1]
	global_store_b64 v9, v[3:4], s[0:1] offset:512
	global_store_b64 v9, v[0:1], s[0:1] offset:1024
	s_endpgm
	.section	.rodata,"a",@progbits
	.p2align	6, 0x0
	.amdhsa_kernel _Z17sort_pairs_kernelIxLj64ELj3EN10test_utils4lessELj10EEvPKT_PS2_T2_
		.amdhsa_group_segment_fixed_size 1544
		.amdhsa_private_segment_fixed_size 0
		.amdhsa_kernarg_size 20
		.amdhsa_user_sgpr_count 2
		.amdhsa_user_sgpr_dispatch_ptr 0
		.amdhsa_user_sgpr_queue_ptr 0
		.amdhsa_user_sgpr_kernarg_segment_ptr 1
		.amdhsa_user_sgpr_dispatch_id 0
		.amdhsa_user_sgpr_private_segment_size 0
		.amdhsa_wavefront_size32 1
		.amdhsa_uses_dynamic_stack 0
		.amdhsa_enable_private_segment 0
		.amdhsa_system_sgpr_workgroup_id_x 1
		.amdhsa_system_sgpr_workgroup_id_y 0
		.amdhsa_system_sgpr_workgroup_id_z 0
		.amdhsa_system_sgpr_workgroup_info 0
		.amdhsa_system_vgpr_workitem_id 0
		.amdhsa_next_free_vgpr 81
		.amdhsa_next_free_sgpr 20
		.amdhsa_reserve_vcc 1
		.amdhsa_float_round_mode_32 0
		.amdhsa_float_round_mode_16_64 0
		.amdhsa_float_denorm_mode_32 3
		.amdhsa_float_denorm_mode_16_64 3
		.amdhsa_fp16_overflow 0
		.amdhsa_workgroup_processor_mode 1
		.amdhsa_memory_ordered 1
		.amdhsa_forward_progress 1
		.amdhsa_inst_pref_size 48
		.amdhsa_round_robin_scheduling 0
		.amdhsa_exception_fp_ieee_invalid_op 0
		.amdhsa_exception_fp_denorm_src 0
		.amdhsa_exception_fp_ieee_div_zero 0
		.amdhsa_exception_fp_ieee_overflow 0
		.amdhsa_exception_fp_ieee_underflow 0
		.amdhsa_exception_fp_ieee_inexact 0
		.amdhsa_exception_int_div_zero 0
	.end_amdhsa_kernel
	.section	.text._Z17sort_pairs_kernelIxLj64ELj3EN10test_utils4lessELj10EEvPKT_PS2_T2_,"axG",@progbits,_Z17sort_pairs_kernelIxLj64ELj3EN10test_utils4lessELj10EEvPKT_PS2_T2_,comdat
.Lfunc_end125:
	.size	_Z17sort_pairs_kernelIxLj64ELj3EN10test_utils4lessELj10EEvPKT_PS2_T2_, .Lfunc_end125-_Z17sort_pairs_kernelIxLj64ELj3EN10test_utils4lessELj10EEvPKT_PS2_T2_
                                        ; -- End function
	.set _Z17sort_pairs_kernelIxLj64ELj3EN10test_utils4lessELj10EEvPKT_PS2_T2_.num_vgpr, 81
	.set _Z17sort_pairs_kernelIxLj64ELj3EN10test_utils4lessELj10EEvPKT_PS2_T2_.num_agpr, 0
	.set _Z17sort_pairs_kernelIxLj64ELj3EN10test_utils4lessELj10EEvPKT_PS2_T2_.numbered_sgpr, 20
	.set _Z17sort_pairs_kernelIxLj64ELj3EN10test_utils4lessELj10EEvPKT_PS2_T2_.num_named_barrier, 0
	.set _Z17sort_pairs_kernelIxLj64ELj3EN10test_utils4lessELj10EEvPKT_PS2_T2_.private_seg_size, 0
	.set _Z17sort_pairs_kernelIxLj64ELj3EN10test_utils4lessELj10EEvPKT_PS2_T2_.uses_vcc, 1
	.set _Z17sort_pairs_kernelIxLj64ELj3EN10test_utils4lessELj10EEvPKT_PS2_T2_.uses_flat_scratch, 0
	.set _Z17sort_pairs_kernelIxLj64ELj3EN10test_utils4lessELj10EEvPKT_PS2_T2_.has_dyn_sized_stack, 0
	.set _Z17sort_pairs_kernelIxLj64ELj3EN10test_utils4lessELj10EEvPKT_PS2_T2_.has_recursion, 0
	.set _Z17sort_pairs_kernelIxLj64ELj3EN10test_utils4lessELj10EEvPKT_PS2_T2_.has_indirect_call, 0
	.section	.AMDGPU.csdata,"",@progbits
; Kernel info:
; codeLenInByte = 6052
; TotalNumSgprs: 22
; NumVgprs: 81
; ScratchSize: 0
; MemoryBound: 0
; FloatMode: 240
; IeeeMode: 1
; LDSByteSize: 1544 bytes/workgroup (compile time only)
; SGPRBlocks: 0
; VGPRBlocks: 10
; NumSGPRsForWavesPerEU: 22
; NumVGPRsForWavesPerEU: 81
; Occupancy: 16
; WaveLimiterHint : 1
; COMPUTE_PGM_RSRC2:SCRATCH_EN: 0
; COMPUTE_PGM_RSRC2:USER_SGPR: 2
; COMPUTE_PGM_RSRC2:TRAP_HANDLER: 0
; COMPUTE_PGM_RSRC2:TGID_X_EN: 1
; COMPUTE_PGM_RSRC2:TGID_Y_EN: 0
; COMPUTE_PGM_RSRC2:TGID_Z_EN: 0
; COMPUTE_PGM_RSRC2:TIDIG_COMP_CNT: 0
	.section	.text._Z16sort_keys_kernelIxLj64ELj4EN10test_utils4lessELj10EEvPKT_PS2_T2_,"axG",@progbits,_Z16sort_keys_kernelIxLj64ELj4EN10test_utils4lessELj10EEvPKT_PS2_T2_,comdat
	.protected	_Z16sort_keys_kernelIxLj64ELj4EN10test_utils4lessELj10EEvPKT_PS2_T2_ ; -- Begin function _Z16sort_keys_kernelIxLj64ELj4EN10test_utils4lessELj10EEvPKT_PS2_T2_
	.globl	_Z16sort_keys_kernelIxLj64ELj4EN10test_utils4lessELj10EEvPKT_PS2_T2_
	.p2align	8
	.type	_Z16sort_keys_kernelIxLj64ELj4EN10test_utils4lessELj10EEvPKT_PS2_T2_,@function
_Z16sort_keys_kernelIxLj64ELj4EN10test_utils4lessELj10EEvPKT_PS2_T2_: ; @_Z16sort_keys_kernelIxLj64ELj4EN10test_utils4lessELj10EEvPKT_PS2_T2_
; %bb.0:
	s_load_b128 s[8:11], s[0:1], 0x0
	s_lshl_b32 s12, ttmp9, 8
	s_mov_b32 s13, 0
	v_lshlrev_b32_e32 v5, 3, v0
	s_lshl_b64 s[14:15], s[12:13], 3
	v_lshlrev_b32_e32 v9, 2, v0
	v_lshlrev_b32_e32 v21, 5, v0
	s_delay_alu instid0(VALU_DEP_2)
	v_and_b32_e32 v17, 0xf8, v9
	v_and_b32_e32 v10, 4, v9
	;; [unrolled: 1-line block ×5, first 2 shown]
	v_or_b32_e32 v18, 4, v17
	v_add_nc_u32_e32 v19, 8, v17
	v_or_b32_e32 v22, 8, v20
	v_add_nc_u32_e32 v23, 16, v20
	v_or_b32_e32 v29, 16, v27
	s_wait_kmcnt 0x0
	s_add_nc_u64 s[0:1], s[8:9], s[14:15]
	v_sub_nc_u32_e32 v11, v19, v18
	s_clause 0x3
	global_load_b64 v[1:2], v5, s[0:1]
	global_load_b64 v[7:8], v5, s[0:1] offset:512
	global_load_b64 v[3:4], v5, s[0:1] offset:1024
	;; [unrolled: 1-line block ×3, first 2 shown]
	v_add_nc_u32_e32 v30, 32, v27
	v_sub_nc_u32_e32 v14, v22, v20
	v_or_b32_e32 v36, 32, v34
	v_sub_nc_u32_e32 v12, v10, v11
	v_cmp_ge_i32_e32 vcc_lo, v10, v11
	v_and_b32_e32 v11, 12, v9
	v_add_nc_u32_e32 v37, 64, v34
	v_and_b32_e32 v39, 0x80, v9
	v_sub_nc_u32_e32 v15, v29, v27
	v_cndmask_b32_e32 v24, 0, v12, vcc_lo
	v_sub_nc_u32_e32 v13, v18, v17
	v_sub_nc_u32_e32 v12, v23, v22
	v_min_i32_e32 v32, v11, v14
	v_or_b32_e32 v42, 64, v39
	v_add_nc_u32_e32 v43, 0x80, v39
	v_min_i32_e32 v25, v10, v13
	v_sub_nc_u32_e32 v13, v11, v12
	v_cmp_ge_i32_e64 s0, v11, v12
	v_and_b32_e32 v12, 28, v9
	v_and_b32_e32 v56, 0x7c, v9
	v_sub_nc_u32_e32 v48, v43, v42
	v_sub_nc_u32_e32 v16, v36, v34
	v_cndmask_b32_e64 v31, 0, v13, s0
	v_sub_nc_u32_e32 v13, v30, v29
	v_min_i32_e32 v40, v12, v15
	v_cmp_ge_i32_e64 s3, v56, v48
	v_add_nc_u32_e32 v28, v18, v10
	v_add_nc_u32_e32 v35, v22, v11
	v_sub_nc_u32_e32 v14, v12, v13
	v_cmp_ge_i32_e64 s1, v12, v13
	v_and_b32_e32 v13, 60, v9
	v_add_nc_u32_e32 v46, v29, v12
	v_subrev_nc_u32_e64 v50, 0x80, v9 clamp
	v_min_i32_e32 v51, 0x80, v9
	s_wait_alu 0xf1ff
	v_cndmask_b32_e64 v38, 0, v14, s1
	v_sub_nc_u32_e32 v14, v37, v36
	v_min_i32_e32 v45, v13, v16
	v_add_nc_u32_e32 v52, v36, v13
	v_add_nc_u32_e32 v55, 0x80, v9
	v_lshlrev_b32_e32 v9, 3, v10
	v_sub_nc_u32_e32 v15, v13, v14
	v_cmp_ge_i32_e64 s2, v13, v14
	v_sub_nc_u32_e32 v14, v56, v48
	v_lshlrev_b32_e32 v10, 3, v11
	v_lshlrev_b32_e32 v11, 3, v12
	;; [unrolled: 1-line block ×3, first 2 shown]
	v_cndmask_b32_e64 v44, 0, v15, s2
	v_sub_nc_u32_e32 v15, v42, v39
	v_cndmask_b32_e64 v48, 0, v14, s3
	v_lshlrev_b32_e32 v13, 3, v56
	v_lshlrev_b32_e32 v26, 3, v17
	;; [unrolled: 1-line block ×3, first 2 shown]
	v_min_i32_e32 v49, v56, v15
	v_cmp_lt_i32_e64 s0, v31, v32
	v_lshlrev_b32_e32 v41, 3, v27
	v_cmp_lt_i32_e64 s1, v38, v40
	v_lshlrev_b32_e32 v47, 3, v34
	;; [unrolled: 2-line block ×3, first 2 shown]
	v_cmp_lt_i32_e64 s3, v48, v49
	v_add_nc_u32_e32 v54, v42, v56
	v_cmp_lt_i32_e64 s4, v50, v51
	v_lshl_add_u32 v56, v18, 3, v9
	v_lshl_add_u32 v57, v22, 3, v10
	;; [unrolled: 1-line block ×5, first 2 shown]
	v_add_nc_u32_e32 v61, 0x400, v21
	v_cmp_lt_i32_e32 vcc_lo, v24, v25
	s_branch .LBB126_2
.LBB126_1:                              ;   in Loop: Header=BB126_2 Depth=1
	s_or_b32 exec_lo, exec_lo, s8
	v_cndmask_b32_e64 v2, v2, v6, s5
	v_cndmask_b32_e64 v1, v1, v5, s5
	s_wait_dscnt 0x0
	v_cmp_lt_i64_e64 s5, v[15:16], v[13:14]
	v_cmp_le_i32_e64 s8, 0x80, v63
	v_cmp_gt_i32_e64 s9, 0x100, v62
	v_cndmask_b32_e64 v8, v4, v8, s6
	v_cndmask_b32_e64 v7, v3, v7, s6
	;; [unrolled: 1-line block ×3, first 2 shown]
	s_or_b32 s5, s8, s5
	v_cndmask_b32_e64 v3, v9, v11, s7
	s_wait_alu 0xfffe
	s_and_b32 s5, s9, s5
	s_add_co_i32 s13, s13, 1
	s_wait_alu 0xfffe
	v_cndmask_b32_e64 v6, v14, v16, s5
	v_cndmask_b32_e64 v5, v13, v15, s5
	s_cmp_eq_u32 s13, 10
	s_cbranch_scc1 .LBB126_98
.LBB126_2:                              ; =>This Loop Header: Depth=1
                                        ;     Child Loop BB126_4 Depth 2
                                        ;     Child Loop BB126_20 Depth 2
	;; [unrolled: 1-line block ×6, first 2 shown]
	s_wait_loadcnt 0x2
	v_cmp_lt_i64_e64 s5, v[7:8], v[1:2]
	v_cmp_gt_i64_e64 s6, v[7:8], v[1:2]
	s_wait_loadcnt 0x0
	v_cmp_lt_i64_e64 s7, v[5:6], v[3:4]
	s_barrier_signal -1
	s_barrier_wait -1
	s_wait_alu 0xf1ff
	v_cndmask_b32_e64 v10, v2, v8, s5
	v_cndmask_b32_e64 v12, v2, v8, s6
	;; [unrolled: 1-line block ×8, first 2 shown]
	v_cmp_gt_i64_e64 s5, v[5:6], v[3:4]
	v_cndmask_b32_e64 v16, v5, v3, s7
	v_cndmask_b32_e64 v8, v6, v4, s7
	v_cmp_gt_i64_e64 s7, v[13:14], v[11:12]
	v_cmp_lt_i64_e64 s6, v[13:14], v[11:12]
	global_inv scope:SCOPE_SE
	s_wait_alu 0xf1ff
	v_cndmask_b32_e64 v2, v4, v6, s5
	v_cndmask_b32_e64 v1, v3, v5, s5
	v_cmp_lt_i64_e64 s5, v[13:14], v[9:10]
	v_cndmask_b32_e64 v63, v11, v13, s7
	v_cndmask_b32_e64 v64, v12, v14, s7
	;; [unrolled: 1-line block ×3, first 2 shown]
	v_cmp_gt_i64_e64 s7, v[11:12], v[1:2]
	v_cndmask_b32_e64 v65, v11, v13, s6
	v_cndmask_b32_e64 v62, v14, v12, s6
	;; [unrolled: 1-line block ×3, first 2 shown]
	s_wait_alu 0xf1ff
	v_cndmask_b32_e64 v6, v3, v10, s5
	v_cndmask_b32_e64 v7, v7, v14, s6
	v_cndmask_b32_e64 v5, v65, v9, s5
	v_cndmask_b32_e64 v12, v64, v2, s7
	v_cndmask_b32_e64 v11, v63, v1, s7
	v_cndmask_b32_e64 v13, v15, v13, s6
	v_cndmask_b32_e64 v4, v10, v3, s5
	v_cndmask_b32_e64 v3, v9, v65, s5
	v_cndmask_b32_e64 v2, v62, v2, s7
	v_cmp_lt_i64_e64 s6, v[11:12], v[5:6]
	v_cndmask_b32_e64 v1, v66, v1, s7
	v_cndmask_b32_e64 v10, v7, v10, s5
	;; [unrolled: 1-line block ×5, first 2 shown]
	s_wait_alu 0xf1ff
	v_cndmask_b32_e64 v2, v2, v6, s6
	v_cndmask_b32_e64 v1, v1, v5, s6
	;; [unrolled: 1-line block ×4, first 2 shown]
	ds_store_2addr_b64 v21, v[3:4], v[5:6] offset1:1
	ds_store_2addr_b64 v21, v[1:2], v[7:8] offset0:2 offset1:3
	v_mov_b32_e32 v5, v24
	s_wait_loadcnt_dscnt 0x0
	s_barrier_signal -1
	s_barrier_wait -1
	global_inv scope:SCOPE_SE
	s_and_saveexec_b32 s6, vcc_lo
	s_cbranch_execz .LBB126_6
; %bb.3:                                ;   in Loop: Header=BB126_2 Depth=1
	v_mov_b32_e32 v5, v24
	v_mov_b32_e32 v1, v25
	s_mov_b32 s7, 0
.LBB126_4:                              ;   Parent Loop BB126_2 Depth=1
                                        ; =>  This Inner Loop Header: Depth=2
	s_delay_alu instid0(VALU_DEP_1) | instskip(NEXT) | instid1(VALU_DEP_1)
	v_sub_nc_u32_e32 v2, v1, v5
	v_lshrrev_b32_e32 v2, 1, v2
	s_delay_alu instid0(VALU_DEP_1) | instskip(NEXT) | instid1(VALU_DEP_1)
	v_add_nc_u32_e32 v4, v2, v5
	v_not_b32_e32 v2, v4
	v_lshl_add_u32 v3, v4, 3, v26
	s_delay_alu instid0(VALU_DEP_2)
	v_lshl_add_u32 v6, v2, 3, v56
	ds_load_b64 v[2:3], v3
	ds_load_b64 v[6:7], v6
	s_wait_dscnt 0x0
	v_cmp_lt_i64_e64 s5, v[6:7], v[2:3]
	v_add_nc_u32_e32 v2, 1, v4
	s_wait_alu 0xf1ff
	s_delay_alu instid0(VALU_DEP_2) | instskip(NEXT) | instid1(VALU_DEP_2)
	v_cndmask_b32_e64 v1, v1, v4, s5
	v_cndmask_b32_e64 v5, v2, v5, s5
	s_delay_alu instid0(VALU_DEP_1)
	v_cmp_ge_i32_e64 s5, v5, v1
	s_wait_alu 0xfffe
	s_or_b32 s7, s5, s7
	s_wait_alu 0xfffe
	s_and_not1_b32 exec_lo, exec_lo, s7
	s_cbranch_execnz .LBB126_4
; %bb.5:                                ;   in Loop: Header=BB126_2 Depth=1
	s_or_b32 exec_lo, exec_lo, s7
.LBB126_6:                              ;   in Loop: Header=BB126_2 Depth=1
	s_wait_alu 0xfffe
	s_or_b32 exec_lo, exec_lo, s6
	v_sub_nc_u32_e32 v9, v28, v5
	v_lshl_add_u32 v7, v5, 3, v26
	v_add_nc_u32_e32 v10, v5, v17
                                        ; implicit-def: $vgpr5_vgpr6
	s_delay_alu instid0(VALU_DEP_3) | instskip(SKIP_1) | instid1(VALU_DEP_3)
	v_lshlrev_b32_e32 v11, 3, v9
	v_cmp_gt_i32_e64 s7, v19, v9
	v_cmp_le_i32_e64 s6, v18, v10
	ds_load_b64 v[1:2], v7
	ds_load_b64 v[3:4], v11
	s_wait_dscnt 0x0
	v_cmp_lt_i64_e64 s5, v[3:4], v[1:2]
	s_or_b32 s5, s6, s5
	s_wait_alu 0xfffe
	s_and_b32 s5, s7, s5
	s_wait_alu 0xfffe
	s_xor_b32 s6, s5, -1
	s_wait_alu 0xfffe
	s_and_saveexec_b32 s7, s6
	s_wait_alu 0xfffe
	s_xor_b32 s6, exec_lo, s7
; %bb.7:                                ;   in Loop: Header=BB126_2 Depth=1
	ds_load_b64 v[5:6], v7 offset:8
                                        ; implicit-def: $vgpr11
; %bb.8:                                ;   in Loop: Header=BB126_2 Depth=1
	s_wait_alu 0xfffe
	s_or_saveexec_b32 s6, s6
	v_dual_mov_b32 v8, v4 :: v_dual_mov_b32 v7, v3
	s_wait_alu 0xfffe
	s_xor_b32 exec_lo, exec_lo, s6
	s_cbranch_execz .LBB126_10
; %bb.9:                                ;   in Loop: Header=BB126_2 Depth=1
	ds_load_b64 v[7:8], v11 offset:8
	s_wait_dscnt 0x1
	v_dual_mov_b32 v6, v2 :: v_dual_mov_b32 v5, v1
.LBB126_10:                             ;   in Loop: Header=BB126_2 Depth=1
	s_or_b32 exec_lo, exec_lo, s6
	v_add_nc_u32_e32 v11, 1, v10
	v_add_nc_u32_e32 v12, 1, v9
	s_wait_dscnt 0x0
	v_cmp_lt_i64_e64 s6, v[7:8], v[5:6]
	s_delay_alu instid0(VALU_DEP_3) | instskip(NEXT) | instid1(VALU_DEP_3)
	v_cndmask_b32_e64 v14, v11, v10, s5
	v_cndmask_b32_e64 v13, v9, v12, s5
                                        ; implicit-def: $vgpr9_vgpr10
	s_delay_alu instid0(VALU_DEP_2) | instskip(NEXT) | instid1(VALU_DEP_2)
	v_cmp_ge_i32_e64 s7, v14, v18
	v_cmp_lt_i32_e64 s8, v13, v19
	s_or_b32 s6, s7, s6
	s_wait_alu 0xfffe
	s_and_b32 s6, s8, s6
	s_wait_alu 0xfffe
	s_xor_b32 s7, s6, -1
	s_wait_alu 0xfffe
	s_and_saveexec_b32 s8, s7
	s_delay_alu instid0(SALU_CYCLE_1)
	s_xor_b32 s7, exec_lo, s8
; %bb.11:                               ;   in Loop: Header=BB126_2 Depth=1
	v_lshlrev_b32_e32 v9, 3, v14
	ds_load_b64 v[9:10], v9 offset:8
; %bb.12:                               ;   in Loop: Header=BB126_2 Depth=1
	s_wait_alu 0xfffe
	s_or_saveexec_b32 s7, s7
	v_dual_mov_b32 v12, v8 :: v_dual_mov_b32 v11, v7
	s_wait_alu 0xfffe
	s_xor_b32 exec_lo, exec_lo, s7
	s_cbranch_execz .LBB126_14
; %bb.13:                               ;   in Loop: Header=BB126_2 Depth=1
	s_wait_dscnt 0x0
	v_lshlrev_b32_e32 v9, 3, v13
	ds_load_b64 v[11:12], v9 offset:8
	v_dual_mov_b32 v10, v6 :: v_dual_mov_b32 v9, v5
.LBB126_14:                             ;   in Loop: Header=BB126_2 Depth=1
	s_or_b32 exec_lo, exec_lo, s7
	v_add_nc_u32_e32 v15, 1, v14
	v_add_nc_u32_e32 v16, 1, v13
	s_wait_dscnt 0x0
	v_cmp_lt_i64_e64 s7, v[11:12], v[9:10]
	s_delay_alu instid0(VALU_DEP_3) | instskip(NEXT) | instid1(VALU_DEP_3)
	v_cndmask_b32_e64 v63, v15, v14, s6
	v_cndmask_b32_e64 v62, v13, v16, s6
                                        ; implicit-def: $vgpr13_vgpr14
	s_delay_alu instid0(VALU_DEP_2) | instskip(NEXT) | instid1(VALU_DEP_2)
	v_cmp_ge_i32_e64 s8, v63, v18
	v_cmp_lt_i32_e64 s9, v62, v19
	s_or_b32 s7, s8, s7
	s_wait_alu 0xfffe
	s_and_b32 s7, s9, s7
	s_wait_alu 0xfffe
	s_xor_b32 s8, s7, -1
	s_delay_alu instid0(SALU_CYCLE_1) | instskip(NEXT) | instid1(SALU_CYCLE_1)
	s_and_saveexec_b32 s9, s8
	s_xor_b32 s8, exec_lo, s9
; %bb.15:                               ;   in Loop: Header=BB126_2 Depth=1
	v_lshlrev_b32_e32 v13, 3, v63
	ds_load_b64 v[13:14], v13 offset:8
; %bb.16:                               ;   in Loop: Header=BB126_2 Depth=1
	s_or_saveexec_b32 s8, s8
	v_dual_mov_b32 v16, v12 :: v_dual_mov_b32 v15, v11
	s_xor_b32 exec_lo, exec_lo, s8
	s_cbranch_execz .LBB126_18
; %bb.17:                               ;   in Loop: Header=BB126_2 Depth=1
	s_wait_dscnt 0x0
	v_lshlrev_b32_e32 v13, 3, v62
	ds_load_b64 v[15:16], v13 offset:8
	v_dual_mov_b32 v14, v10 :: v_dual_mov_b32 v13, v9
.LBB126_18:                             ;   in Loop: Header=BB126_2 Depth=1
	s_or_b32 exec_lo, exec_lo, s8
	v_add_nc_u32_e32 v64, 1, v63
	v_add_nc_u32_e32 v65, 1, v62
	v_cndmask_b32_e64 v9, v9, v11, s7
	v_cndmask_b32_e64 v7, v5, v7, s6
	v_mov_b32_e32 v5, v31
	v_cndmask_b32_e64 v11, v64, v63, s7
	v_cndmask_b32_e64 v8, v6, v8, s6
	;; [unrolled: 1-line block ×3, first 2 shown]
	s_wait_dscnt 0x0
	v_cmp_lt_i64_e64 s6, v[15:16], v[13:14]
	v_cndmask_b32_e64 v10, v10, v12, s7
	v_cmp_ge_i32_e64 s7, v11, v18
	v_cndmask_b32_e64 v2, v2, v4, s5
	v_cmp_lt_i32_e64 s8, v6, v19
	v_cndmask_b32_e64 v1, v1, v3, s5
	s_wait_loadcnt 0x0
	s_or_b32 s5, s7, s6
	s_barrier_signal -1
	s_wait_alu 0xfffe
	s_and_b32 s5, s8, s5
	s_barrier_wait -1
	s_wait_alu 0xfffe
	v_cndmask_b32_e64 v4, v14, v16, s5
	v_cndmask_b32_e64 v3, v13, v15, s5
	global_inv scope:SCOPE_SE
	ds_store_2addr_b64 v21, v[1:2], v[7:8] offset1:1
	ds_store_2addr_b64 v21, v[9:10], v[3:4] offset0:2 offset1:3
	s_wait_loadcnt_dscnt 0x0
	s_barrier_signal -1
	s_barrier_wait -1
	global_inv scope:SCOPE_SE
	s_and_saveexec_b32 s6, s0
	s_cbranch_execz .LBB126_22
; %bb.19:                               ;   in Loop: Header=BB126_2 Depth=1
	v_mov_b32_e32 v5, v31
	v_mov_b32_e32 v1, v32
	s_mov_b32 s7, 0
.LBB126_20:                             ;   Parent Loop BB126_2 Depth=1
                                        ; =>  This Inner Loop Header: Depth=2
	s_delay_alu instid0(VALU_DEP_1) | instskip(NEXT) | instid1(VALU_DEP_1)
	v_sub_nc_u32_e32 v2, v1, v5
	v_lshrrev_b32_e32 v2, 1, v2
	s_delay_alu instid0(VALU_DEP_1) | instskip(NEXT) | instid1(VALU_DEP_1)
	v_add_nc_u32_e32 v4, v2, v5
	v_not_b32_e32 v2, v4
	v_lshl_add_u32 v3, v4, 3, v33
	s_delay_alu instid0(VALU_DEP_2)
	v_lshl_add_u32 v6, v2, 3, v57
	ds_load_b64 v[2:3], v3
	ds_load_b64 v[6:7], v6
	s_wait_dscnt 0x0
	v_cmp_lt_i64_e64 s5, v[6:7], v[2:3]
	v_add_nc_u32_e32 v2, 1, v4
	s_wait_alu 0xf1ff
	s_delay_alu instid0(VALU_DEP_2) | instskip(NEXT) | instid1(VALU_DEP_2)
	v_cndmask_b32_e64 v1, v1, v4, s5
	v_cndmask_b32_e64 v5, v2, v5, s5
	s_delay_alu instid0(VALU_DEP_1)
	v_cmp_ge_i32_e64 s5, v5, v1
	s_wait_alu 0xfffe
	s_or_b32 s7, s5, s7
	s_wait_alu 0xfffe
	s_and_not1_b32 exec_lo, exec_lo, s7
	s_cbranch_execnz .LBB126_20
; %bb.21:                               ;   in Loop: Header=BB126_2 Depth=1
	s_or_b32 exec_lo, exec_lo, s7
.LBB126_22:                             ;   in Loop: Header=BB126_2 Depth=1
	s_wait_alu 0xfffe
	s_or_b32 exec_lo, exec_lo, s6
	v_sub_nc_u32_e32 v9, v35, v5
	v_lshl_add_u32 v7, v5, 3, v33
	v_add_nc_u32_e32 v10, v5, v20
                                        ; implicit-def: $vgpr5_vgpr6
	s_delay_alu instid0(VALU_DEP_3) | instskip(SKIP_1) | instid1(VALU_DEP_3)
	v_lshlrev_b32_e32 v11, 3, v9
	v_cmp_gt_i32_e64 s7, v23, v9
	v_cmp_le_i32_e64 s6, v22, v10
	ds_load_b64 v[1:2], v7
	ds_load_b64 v[3:4], v11
	s_wait_dscnt 0x0
	v_cmp_lt_i64_e64 s5, v[3:4], v[1:2]
	s_or_b32 s5, s6, s5
	s_wait_alu 0xfffe
	s_and_b32 s5, s7, s5
	s_wait_alu 0xfffe
	s_xor_b32 s6, s5, -1
	s_wait_alu 0xfffe
	s_and_saveexec_b32 s7, s6
	s_wait_alu 0xfffe
	s_xor_b32 s6, exec_lo, s7
; %bb.23:                               ;   in Loop: Header=BB126_2 Depth=1
	ds_load_b64 v[5:6], v7 offset:8
                                        ; implicit-def: $vgpr11
; %bb.24:                               ;   in Loop: Header=BB126_2 Depth=1
	s_wait_alu 0xfffe
	s_or_saveexec_b32 s6, s6
	v_dual_mov_b32 v8, v4 :: v_dual_mov_b32 v7, v3
	s_wait_alu 0xfffe
	s_xor_b32 exec_lo, exec_lo, s6
	s_cbranch_execz .LBB126_26
; %bb.25:                               ;   in Loop: Header=BB126_2 Depth=1
	ds_load_b64 v[7:8], v11 offset:8
	s_wait_dscnt 0x1
	v_dual_mov_b32 v6, v2 :: v_dual_mov_b32 v5, v1
.LBB126_26:                             ;   in Loop: Header=BB126_2 Depth=1
	s_or_b32 exec_lo, exec_lo, s6
	v_add_nc_u32_e32 v11, 1, v10
	v_add_nc_u32_e32 v12, 1, v9
	s_wait_dscnt 0x0
	v_cmp_lt_i64_e64 s6, v[7:8], v[5:6]
	s_delay_alu instid0(VALU_DEP_3) | instskip(NEXT) | instid1(VALU_DEP_3)
	v_cndmask_b32_e64 v14, v11, v10, s5
	v_cndmask_b32_e64 v13, v9, v12, s5
                                        ; implicit-def: $vgpr9_vgpr10
	s_delay_alu instid0(VALU_DEP_2) | instskip(NEXT) | instid1(VALU_DEP_2)
	v_cmp_ge_i32_e64 s7, v14, v22
	v_cmp_lt_i32_e64 s8, v13, v23
	s_or_b32 s6, s7, s6
	s_wait_alu 0xfffe
	s_and_b32 s6, s8, s6
	s_wait_alu 0xfffe
	s_xor_b32 s7, s6, -1
	s_wait_alu 0xfffe
	s_and_saveexec_b32 s8, s7
	s_delay_alu instid0(SALU_CYCLE_1)
	s_xor_b32 s7, exec_lo, s8
; %bb.27:                               ;   in Loop: Header=BB126_2 Depth=1
	v_lshlrev_b32_e32 v9, 3, v14
	ds_load_b64 v[9:10], v9 offset:8
; %bb.28:                               ;   in Loop: Header=BB126_2 Depth=1
	s_wait_alu 0xfffe
	s_or_saveexec_b32 s7, s7
	v_dual_mov_b32 v12, v8 :: v_dual_mov_b32 v11, v7
	s_wait_alu 0xfffe
	s_xor_b32 exec_lo, exec_lo, s7
	s_cbranch_execz .LBB126_30
; %bb.29:                               ;   in Loop: Header=BB126_2 Depth=1
	s_wait_dscnt 0x0
	v_lshlrev_b32_e32 v9, 3, v13
	ds_load_b64 v[11:12], v9 offset:8
	v_dual_mov_b32 v10, v6 :: v_dual_mov_b32 v9, v5
.LBB126_30:                             ;   in Loop: Header=BB126_2 Depth=1
	s_or_b32 exec_lo, exec_lo, s7
	v_add_nc_u32_e32 v15, 1, v14
	v_add_nc_u32_e32 v16, 1, v13
	s_wait_dscnt 0x0
	v_cmp_lt_i64_e64 s7, v[11:12], v[9:10]
	s_delay_alu instid0(VALU_DEP_3) | instskip(NEXT) | instid1(VALU_DEP_3)
	v_cndmask_b32_e64 v63, v15, v14, s6
	v_cndmask_b32_e64 v62, v13, v16, s6
                                        ; implicit-def: $vgpr13_vgpr14
	s_delay_alu instid0(VALU_DEP_2) | instskip(NEXT) | instid1(VALU_DEP_2)
	v_cmp_ge_i32_e64 s8, v63, v22
	v_cmp_lt_i32_e64 s9, v62, v23
	s_or_b32 s7, s8, s7
	s_wait_alu 0xfffe
	s_and_b32 s7, s9, s7
	s_wait_alu 0xfffe
	s_xor_b32 s8, s7, -1
	s_delay_alu instid0(SALU_CYCLE_1) | instskip(NEXT) | instid1(SALU_CYCLE_1)
	s_and_saveexec_b32 s9, s8
	s_xor_b32 s8, exec_lo, s9
; %bb.31:                               ;   in Loop: Header=BB126_2 Depth=1
	v_lshlrev_b32_e32 v13, 3, v63
	ds_load_b64 v[13:14], v13 offset:8
; %bb.32:                               ;   in Loop: Header=BB126_2 Depth=1
	s_or_saveexec_b32 s8, s8
	v_dual_mov_b32 v16, v12 :: v_dual_mov_b32 v15, v11
	s_xor_b32 exec_lo, exec_lo, s8
	s_cbranch_execz .LBB126_34
; %bb.33:                               ;   in Loop: Header=BB126_2 Depth=1
	s_wait_dscnt 0x0
	v_lshlrev_b32_e32 v13, 3, v62
	ds_load_b64 v[15:16], v13 offset:8
	v_dual_mov_b32 v14, v10 :: v_dual_mov_b32 v13, v9
.LBB126_34:                             ;   in Loop: Header=BB126_2 Depth=1
	s_or_b32 exec_lo, exec_lo, s8
	v_add_nc_u32_e32 v64, 1, v63
	v_add_nc_u32_e32 v65, 1, v62
	v_cndmask_b32_e64 v9, v9, v11, s7
	v_cndmask_b32_e64 v7, v5, v7, s6
	v_mov_b32_e32 v5, v38
	v_cndmask_b32_e64 v11, v64, v63, s7
	v_cndmask_b32_e64 v8, v6, v8, s6
	;; [unrolled: 1-line block ×3, first 2 shown]
	s_wait_dscnt 0x0
	v_cmp_lt_i64_e64 s6, v[15:16], v[13:14]
	v_cndmask_b32_e64 v10, v10, v12, s7
	v_cmp_ge_i32_e64 s7, v11, v22
	v_cndmask_b32_e64 v2, v2, v4, s5
	v_cmp_lt_i32_e64 s8, v6, v23
	v_cndmask_b32_e64 v1, v1, v3, s5
	s_wait_loadcnt 0x0
	s_or_b32 s5, s7, s6
	s_barrier_signal -1
	s_wait_alu 0xfffe
	s_and_b32 s5, s8, s5
	s_barrier_wait -1
	s_wait_alu 0xfffe
	v_cndmask_b32_e64 v4, v14, v16, s5
	v_cndmask_b32_e64 v3, v13, v15, s5
	global_inv scope:SCOPE_SE
	ds_store_2addr_b64 v21, v[1:2], v[7:8] offset1:1
	ds_store_2addr_b64 v21, v[9:10], v[3:4] offset0:2 offset1:3
	s_wait_loadcnt_dscnt 0x0
	s_barrier_signal -1
	s_barrier_wait -1
	global_inv scope:SCOPE_SE
	s_and_saveexec_b32 s6, s1
	s_cbranch_execz .LBB126_38
; %bb.35:                               ;   in Loop: Header=BB126_2 Depth=1
	v_mov_b32_e32 v5, v38
	v_mov_b32_e32 v1, v40
	s_mov_b32 s7, 0
.LBB126_36:                             ;   Parent Loop BB126_2 Depth=1
                                        ; =>  This Inner Loop Header: Depth=2
	s_delay_alu instid0(VALU_DEP_1) | instskip(NEXT) | instid1(VALU_DEP_1)
	v_sub_nc_u32_e32 v2, v1, v5
	v_lshrrev_b32_e32 v2, 1, v2
	s_delay_alu instid0(VALU_DEP_1) | instskip(NEXT) | instid1(VALU_DEP_1)
	v_add_nc_u32_e32 v4, v2, v5
	v_not_b32_e32 v2, v4
	v_lshl_add_u32 v3, v4, 3, v41
	s_delay_alu instid0(VALU_DEP_2)
	v_lshl_add_u32 v6, v2, 3, v58
	ds_load_b64 v[2:3], v3
	ds_load_b64 v[6:7], v6
	s_wait_dscnt 0x0
	v_cmp_lt_i64_e64 s5, v[6:7], v[2:3]
	v_add_nc_u32_e32 v2, 1, v4
	s_wait_alu 0xf1ff
	s_delay_alu instid0(VALU_DEP_2) | instskip(NEXT) | instid1(VALU_DEP_2)
	v_cndmask_b32_e64 v1, v1, v4, s5
	v_cndmask_b32_e64 v5, v2, v5, s5
	s_delay_alu instid0(VALU_DEP_1)
	v_cmp_ge_i32_e64 s5, v5, v1
	s_wait_alu 0xfffe
	s_or_b32 s7, s5, s7
	s_wait_alu 0xfffe
	s_and_not1_b32 exec_lo, exec_lo, s7
	s_cbranch_execnz .LBB126_36
; %bb.37:                               ;   in Loop: Header=BB126_2 Depth=1
	s_or_b32 exec_lo, exec_lo, s7
.LBB126_38:                             ;   in Loop: Header=BB126_2 Depth=1
	s_wait_alu 0xfffe
	s_or_b32 exec_lo, exec_lo, s6
	v_sub_nc_u32_e32 v9, v46, v5
	v_lshl_add_u32 v7, v5, 3, v41
	v_add_nc_u32_e32 v10, v5, v27
                                        ; implicit-def: $vgpr5_vgpr6
	s_delay_alu instid0(VALU_DEP_3) | instskip(SKIP_1) | instid1(VALU_DEP_3)
	v_lshlrev_b32_e32 v11, 3, v9
	v_cmp_gt_i32_e64 s7, v30, v9
	v_cmp_le_i32_e64 s6, v29, v10
	ds_load_b64 v[1:2], v7
	ds_load_b64 v[3:4], v11
	s_wait_dscnt 0x0
	v_cmp_lt_i64_e64 s5, v[3:4], v[1:2]
	s_or_b32 s5, s6, s5
	s_wait_alu 0xfffe
	s_and_b32 s5, s7, s5
	s_wait_alu 0xfffe
	s_xor_b32 s6, s5, -1
	s_wait_alu 0xfffe
	s_and_saveexec_b32 s7, s6
	s_wait_alu 0xfffe
	s_xor_b32 s6, exec_lo, s7
; %bb.39:                               ;   in Loop: Header=BB126_2 Depth=1
	ds_load_b64 v[5:6], v7 offset:8
                                        ; implicit-def: $vgpr11
; %bb.40:                               ;   in Loop: Header=BB126_2 Depth=1
	s_wait_alu 0xfffe
	s_or_saveexec_b32 s6, s6
	v_dual_mov_b32 v8, v4 :: v_dual_mov_b32 v7, v3
	s_wait_alu 0xfffe
	s_xor_b32 exec_lo, exec_lo, s6
	s_cbranch_execz .LBB126_42
; %bb.41:                               ;   in Loop: Header=BB126_2 Depth=1
	ds_load_b64 v[7:8], v11 offset:8
	s_wait_dscnt 0x1
	v_dual_mov_b32 v6, v2 :: v_dual_mov_b32 v5, v1
.LBB126_42:                             ;   in Loop: Header=BB126_2 Depth=1
	s_or_b32 exec_lo, exec_lo, s6
	v_add_nc_u32_e32 v11, 1, v10
	v_add_nc_u32_e32 v12, 1, v9
	s_wait_dscnt 0x0
	v_cmp_lt_i64_e64 s6, v[7:8], v[5:6]
	s_delay_alu instid0(VALU_DEP_3) | instskip(NEXT) | instid1(VALU_DEP_3)
	v_cndmask_b32_e64 v14, v11, v10, s5
	v_cndmask_b32_e64 v13, v9, v12, s5
                                        ; implicit-def: $vgpr9_vgpr10
	s_delay_alu instid0(VALU_DEP_2) | instskip(NEXT) | instid1(VALU_DEP_2)
	v_cmp_ge_i32_e64 s7, v14, v29
	v_cmp_lt_i32_e64 s8, v13, v30
	s_or_b32 s6, s7, s6
	s_wait_alu 0xfffe
	s_and_b32 s6, s8, s6
	s_wait_alu 0xfffe
	s_xor_b32 s7, s6, -1
	s_wait_alu 0xfffe
	s_and_saveexec_b32 s8, s7
	s_delay_alu instid0(SALU_CYCLE_1)
	s_xor_b32 s7, exec_lo, s8
; %bb.43:                               ;   in Loop: Header=BB126_2 Depth=1
	v_lshlrev_b32_e32 v9, 3, v14
	ds_load_b64 v[9:10], v9 offset:8
; %bb.44:                               ;   in Loop: Header=BB126_2 Depth=1
	s_wait_alu 0xfffe
	s_or_saveexec_b32 s7, s7
	v_dual_mov_b32 v12, v8 :: v_dual_mov_b32 v11, v7
	s_wait_alu 0xfffe
	s_xor_b32 exec_lo, exec_lo, s7
	s_cbranch_execz .LBB126_46
; %bb.45:                               ;   in Loop: Header=BB126_2 Depth=1
	s_wait_dscnt 0x0
	v_lshlrev_b32_e32 v9, 3, v13
	ds_load_b64 v[11:12], v9 offset:8
	v_dual_mov_b32 v10, v6 :: v_dual_mov_b32 v9, v5
.LBB126_46:                             ;   in Loop: Header=BB126_2 Depth=1
	s_or_b32 exec_lo, exec_lo, s7
	v_add_nc_u32_e32 v15, 1, v14
	v_add_nc_u32_e32 v16, 1, v13
	s_wait_dscnt 0x0
	v_cmp_lt_i64_e64 s7, v[11:12], v[9:10]
	s_delay_alu instid0(VALU_DEP_3) | instskip(NEXT) | instid1(VALU_DEP_3)
	v_cndmask_b32_e64 v63, v15, v14, s6
	v_cndmask_b32_e64 v62, v13, v16, s6
                                        ; implicit-def: $vgpr13_vgpr14
	s_delay_alu instid0(VALU_DEP_2) | instskip(NEXT) | instid1(VALU_DEP_2)
	v_cmp_ge_i32_e64 s8, v63, v29
	v_cmp_lt_i32_e64 s9, v62, v30
	s_or_b32 s7, s8, s7
	s_wait_alu 0xfffe
	s_and_b32 s7, s9, s7
	s_wait_alu 0xfffe
	s_xor_b32 s8, s7, -1
	s_delay_alu instid0(SALU_CYCLE_1) | instskip(NEXT) | instid1(SALU_CYCLE_1)
	s_and_saveexec_b32 s9, s8
	s_xor_b32 s8, exec_lo, s9
; %bb.47:                               ;   in Loop: Header=BB126_2 Depth=1
	v_lshlrev_b32_e32 v13, 3, v63
	ds_load_b64 v[13:14], v13 offset:8
; %bb.48:                               ;   in Loop: Header=BB126_2 Depth=1
	s_or_saveexec_b32 s8, s8
	v_dual_mov_b32 v16, v12 :: v_dual_mov_b32 v15, v11
	s_xor_b32 exec_lo, exec_lo, s8
	s_cbranch_execz .LBB126_50
; %bb.49:                               ;   in Loop: Header=BB126_2 Depth=1
	s_wait_dscnt 0x0
	v_lshlrev_b32_e32 v13, 3, v62
	ds_load_b64 v[15:16], v13 offset:8
	v_dual_mov_b32 v14, v10 :: v_dual_mov_b32 v13, v9
.LBB126_50:                             ;   in Loop: Header=BB126_2 Depth=1
	s_or_b32 exec_lo, exec_lo, s8
	v_add_nc_u32_e32 v64, 1, v63
	v_add_nc_u32_e32 v65, 1, v62
	v_cndmask_b32_e64 v9, v9, v11, s7
	v_cndmask_b32_e64 v7, v5, v7, s6
	v_mov_b32_e32 v5, v44
	v_cndmask_b32_e64 v11, v64, v63, s7
	v_cndmask_b32_e64 v8, v6, v8, s6
	;; [unrolled: 1-line block ×3, first 2 shown]
	s_wait_dscnt 0x0
	v_cmp_lt_i64_e64 s6, v[15:16], v[13:14]
	v_cndmask_b32_e64 v10, v10, v12, s7
	v_cmp_ge_i32_e64 s7, v11, v29
	v_cndmask_b32_e64 v2, v2, v4, s5
	v_cmp_lt_i32_e64 s8, v6, v30
	v_cndmask_b32_e64 v1, v1, v3, s5
	s_wait_loadcnt 0x0
	s_or_b32 s5, s7, s6
	s_barrier_signal -1
	s_wait_alu 0xfffe
	s_and_b32 s5, s8, s5
	s_barrier_wait -1
	s_wait_alu 0xfffe
	v_cndmask_b32_e64 v4, v14, v16, s5
	v_cndmask_b32_e64 v3, v13, v15, s5
	global_inv scope:SCOPE_SE
	ds_store_2addr_b64 v21, v[1:2], v[7:8] offset1:1
	ds_store_2addr_b64 v21, v[9:10], v[3:4] offset0:2 offset1:3
	s_wait_loadcnt_dscnt 0x0
	s_barrier_signal -1
	s_barrier_wait -1
	global_inv scope:SCOPE_SE
	s_and_saveexec_b32 s6, s2
	s_cbranch_execz .LBB126_54
; %bb.51:                               ;   in Loop: Header=BB126_2 Depth=1
	v_mov_b32_e32 v5, v44
	v_mov_b32_e32 v1, v45
	s_mov_b32 s7, 0
.LBB126_52:                             ;   Parent Loop BB126_2 Depth=1
                                        ; =>  This Inner Loop Header: Depth=2
	s_delay_alu instid0(VALU_DEP_1) | instskip(NEXT) | instid1(VALU_DEP_1)
	v_sub_nc_u32_e32 v2, v1, v5
	v_lshrrev_b32_e32 v2, 1, v2
	s_delay_alu instid0(VALU_DEP_1) | instskip(NEXT) | instid1(VALU_DEP_1)
	v_add_nc_u32_e32 v4, v2, v5
	v_not_b32_e32 v2, v4
	v_lshl_add_u32 v3, v4, 3, v47
	s_delay_alu instid0(VALU_DEP_2)
	v_lshl_add_u32 v6, v2, 3, v59
	ds_load_b64 v[2:3], v3
	ds_load_b64 v[6:7], v6
	s_wait_dscnt 0x0
	v_cmp_lt_i64_e64 s5, v[6:7], v[2:3]
	v_add_nc_u32_e32 v2, 1, v4
	s_wait_alu 0xf1ff
	s_delay_alu instid0(VALU_DEP_2) | instskip(NEXT) | instid1(VALU_DEP_2)
	v_cndmask_b32_e64 v1, v1, v4, s5
	v_cndmask_b32_e64 v5, v2, v5, s5
	s_delay_alu instid0(VALU_DEP_1)
	v_cmp_ge_i32_e64 s5, v5, v1
	s_wait_alu 0xfffe
	s_or_b32 s7, s5, s7
	s_wait_alu 0xfffe
	s_and_not1_b32 exec_lo, exec_lo, s7
	s_cbranch_execnz .LBB126_52
; %bb.53:                               ;   in Loop: Header=BB126_2 Depth=1
	s_or_b32 exec_lo, exec_lo, s7
.LBB126_54:                             ;   in Loop: Header=BB126_2 Depth=1
	s_wait_alu 0xfffe
	s_or_b32 exec_lo, exec_lo, s6
	v_sub_nc_u32_e32 v9, v52, v5
	v_lshl_add_u32 v7, v5, 3, v47
	v_add_nc_u32_e32 v10, v5, v34
                                        ; implicit-def: $vgpr5_vgpr6
	s_delay_alu instid0(VALU_DEP_3) | instskip(SKIP_1) | instid1(VALU_DEP_3)
	v_lshlrev_b32_e32 v11, 3, v9
	v_cmp_gt_i32_e64 s7, v37, v9
	v_cmp_le_i32_e64 s6, v36, v10
	ds_load_b64 v[1:2], v7
	ds_load_b64 v[3:4], v11
	s_wait_dscnt 0x0
	v_cmp_lt_i64_e64 s5, v[3:4], v[1:2]
	s_or_b32 s5, s6, s5
	s_wait_alu 0xfffe
	s_and_b32 s5, s7, s5
	s_wait_alu 0xfffe
	s_xor_b32 s6, s5, -1
	s_wait_alu 0xfffe
	s_and_saveexec_b32 s7, s6
	s_wait_alu 0xfffe
	s_xor_b32 s6, exec_lo, s7
; %bb.55:                               ;   in Loop: Header=BB126_2 Depth=1
	ds_load_b64 v[5:6], v7 offset:8
                                        ; implicit-def: $vgpr11
; %bb.56:                               ;   in Loop: Header=BB126_2 Depth=1
	s_wait_alu 0xfffe
	s_or_saveexec_b32 s6, s6
	v_dual_mov_b32 v8, v4 :: v_dual_mov_b32 v7, v3
	s_wait_alu 0xfffe
	s_xor_b32 exec_lo, exec_lo, s6
	s_cbranch_execz .LBB126_58
; %bb.57:                               ;   in Loop: Header=BB126_2 Depth=1
	ds_load_b64 v[7:8], v11 offset:8
	s_wait_dscnt 0x1
	v_dual_mov_b32 v6, v2 :: v_dual_mov_b32 v5, v1
.LBB126_58:                             ;   in Loop: Header=BB126_2 Depth=1
	s_or_b32 exec_lo, exec_lo, s6
	v_add_nc_u32_e32 v11, 1, v10
	v_add_nc_u32_e32 v12, 1, v9
	s_wait_dscnt 0x0
	v_cmp_lt_i64_e64 s6, v[7:8], v[5:6]
	s_delay_alu instid0(VALU_DEP_3) | instskip(NEXT) | instid1(VALU_DEP_3)
	v_cndmask_b32_e64 v14, v11, v10, s5
	v_cndmask_b32_e64 v13, v9, v12, s5
                                        ; implicit-def: $vgpr9_vgpr10
	s_delay_alu instid0(VALU_DEP_2) | instskip(NEXT) | instid1(VALU_DEP_2)
	v_cmp_ge_i32_e64 s7, v14, v36
	v_cmp_lt_i32_e64 s8, v13, v37
	s_or_b32 s6, s7, s6
	s_wait_alu 0xfffe
	s_and_b32 s6, s8, s6
	s_wait_alu 0xfffe
	s_xor_b32 s7, s6, -1
	s_wait_alu 0xfffe
	s_and_saveexec_b32 s8, s7
	s_delay_alu instid0(SALU_CYCLE_1)
	s_xor_b32 s7, exec_lo, s8
; %bb.59:                               ;   in Loop: Header=BB126_2 Depth=1
	v_lshlrev_b32_e32 v9, 3, v14
	ds_load_b64 v[9:10], v9 offset:8
; %bb.60:                               ;   in Loop: Header=BB126_2 Depth=1
	s_wait_alu 0xfffe
	s_or_saveexec_b32 s7, s7
	v_dual_mov_b32 v12, v8 :: v_dual_mov_b32 v11, v7
	s_wait_alu 0xfffe
	s_xor_b32 exec_lo, exec_lo, s7
	s_cbranch_execz .LBB126_62
; %bb.61:                               ;   in Loop: Header=BB126_2 Depth=1
	s_wait_dscnt 0x0
	v_lshlrev_b32_e32 v9, 3, v13
	ds_load_b64 v[11:12], v9 offset:8
	v_dual_mov_b32 v10, v6 :: v_dual_mov_b32 v9, v5
.LBB126_62:                             ;   in Loop: Header=BB126_2 Depth=1
	s_or_b32 exec_lo, exec_lo, s7
	v_add_nc_u32_e32 v15, 1, v14
	v_add_nc_u32_e32 v16, 1, v13
	s_wait_dscnt 0x0
	v_cmp_lt_i64_e64 s7, v[11:12], v[9:10]
	s_delay_alu instid0(VALU_DEP_3) | instskip(NEXT) | instid1(VALU_DEP_3)
	v_cndmask_b32_e64 v63, v15, v14, s6
	v_cndmask_b32_e64 v62, v13, v16, s6
                                        ; implicit-def: $vgpr13_vgpr14
	s_delay_alu instid0(VALU_DEP_2) | instskip(NEXT) | instid1(VALU_DEP_2)
	v_cmp_ge_i32_e64 s8, v63, v36
	v_cmp_lt_i32_e64 s9, v62, v37
	s_or_b32 s7, s8, s7
	s_wait_alu 0xfffe
	s_and_b32 s7, s9, s7
	s_wait_alu 0xfffe
	s_xor_b32 s8, s7, -1
	s_delay_alu instid0(SALU_CYCLE_1) | instskip(NEXT) | instid1(SALU_CYCLE_1)
	s_and_saveexec_b32 s9, s8
	s_xor_b32 s8, exec_lo, s9
; %bb.63:                               ;   in Loop: Header=BB126_2 Depth=1
	v_lshlrev_b32_e32 v13, 3, v63
	ds_load_b64 v[13:14], v13 offset:8
; %bb.64:                               ;   in Loop: Header=BB126_2 Depth=1
	s_or_saveexec_b32 s8, s8
	v_dual_mov_b32 v16, v12 :: v_dual_mov_b32 v15, v11
	s_xor_b32 exec_lo, exec_lo, s8
	s_cbranch_execz .LBB126_66
; %bb.65:                               ;   in Loop: Header=BB126_2 Depth=1
	s_wait_dscnt 0x0
	v_lshlrev_b32_e32 v13, 3, v62
	ds_load_b64 v[15:16], v13 offset:8
	v_dual_mov_b32 v14, v10 :: v_dual_mov_b32 v13, v9
.LBB126_66:                             ;   in Loop: Header=BB126_2 Depth=1
	s_or_b32 exec_lo, exec_lo, s8
	v_add_nc_u32_e32 v64, 1, v63
	v_add_nc_u32_e32 v65, 1, v62
	v_cndmask_b32_e64 v9, v9, v11, s7
	v_cndmask_b32_e64 v7, v5, v7, s6
	v_mov_b32_e32 v5, v48
	v_cndmask_b32_e64 v11, v64, v63, s7
	v_cndmask_b32_e64 v8, v6, v8, s6
	;; [unrolled: 1-line block ×3, first 2 shown]
	s_wait_dscnt 0x0
	v_cmp_lt_i64_e64 s6, v[15:16], v[13:14]
	v_cndmask_b32_e64 v10, v10, v12, s7
	v_cmp_ge_i32_e64 s7, v11, v36
	v_cndmask_b32_e64 v2, v2, v4, s5
	v_cmp_lt_i32_e64 s8, v6, v37
	v_cndmask_b32_e64 v1, v1, v3, s5
	s_wait_loadcnt 0x0
	s_or_b32 s5, s7, s6
	s_barrier_signal -1
	s_wait_alu 0xfffe
	s_and_b32 s5, s8, s5
	s_barrier_wait -1
	s_wait_alu 0xfffe
	v_cndmask_b32_e64 v4, v14, v16, s5
	v_cndmask_b32_e64 v3, v13, v15, s5
	global_inv scope:SCOPE_SE
	ds_store_2addr_b64 v21, v[1:2], v[7:8] offset1:1
	ds_store_2addr_b64 v21, v[9:10], v[3:4] offset0:2 offset1:3
	s_wait_loadcnt_dscnt 0x0
	s_barrier_signal -1
	s_barrier_wait -1
	global_inv scope:SCOPE_SE
	s_and_saveexec_b32 s6, s3
	s_cbranch_execz .LBB126_70
; %bb.67:                               ;   in Loop: Header=BB126_2 Depth=1
	v_mov_b32_e32 v5, v48
	v_mov_b32_e32 v1, v49
	s_mov_b32 s7, 0
.LBB126_68:                             ;   Parent Loop BB126_2 Depth=1
                                        ; =>  This Inner Loop Header: Depth=2
	s_delay_alu instid0(VALU_DEP_1) | instskip(NEXT) | instid1(VALU_DEP_1)
	v_sub_nc_u32_e32 v2, v1, v5
	v_lshrrev_b32_e32 v2, 1, v2
	s_delay_alu instid0(VALU_DEP_1) | instskip(NEXT) | instid1(VALU_DEP_1)
	v_add_nc_u32_e32 v4, v2, v5
	v_not_b32_e32 v2, v4
	v_lshl_add_u32 v3, v4, 3, v53
	s_delay_alu instid0(VALU_DEP_2)
	v_lshl_add_u32 v6, v2, 3, v60
	ds_load_b64 v[2:3], v3
	ds_load_b64 v[6:7], v6
	s_wait_dscnt 0x0
	v_cmp_lt_i64_e64 s5, v[6:7], v[2:3]
	v_add_nc_u32_e32 v2, 1, v4
	s_wait_alu 0xf1ff
	s_delay_alu instid0(VALU_DEP_2) | instskip(NEXT) | instid1(VALU_DEP_2)
	v_cndmask_b32_e64 v1, v1, v4, s5
	v_cndmask_b32_e64 v5, v2, v5, s5
	s_delay_alu instid0(VALU_DEP_1)
	v_cmp_ge_i32_e64 s5, v5, v1
	s_wait_alu 0xfffe
	s_or_b32 s7, s5, s7
	s_wait_alu 0xfffe
	s_and_not1_b32 exec_lo, exec_lo, s7
	s_cbranch_execnz .LBB126_68
; %bb.69:                               ;   in Loop: Header=BB126_2 Depth=1
	s_or_b32 exec_lo, exec_lo, s7
.LBB126_70:                             ;   in Loop: Header=BB126_2 Depth=1
	s_wait_alu 0xfffe
	s_or_b32 exec_lo, exec_lo, s6
	v_sub_nc_u32_e32 v9, v54, v5
	v_lshl_add_u32 v7, v5, 3, v53
	v_add_nc_u32_e32 v10, v5, v39
                                        ; implicit-def: $vgpr5_vgpr6
	s_delay_alu instid0(VALU_DEP_3) | instskip(SKIP_1) | instid1(VALU_DEP_3)
	v_lshlrev_b32_e32 v11, 3, v9
	v_cmp_gt_i32_e64 s7, v43, v9
	v_cmp_le_i32_e64 s6, v42, v10
	ds_load_b64 v[1:2], v7
	ds_load_b64 v[3:4], v11
	s_wait_dscnt 0x0
	v_cmp_lt_i64_e64 s5, v[3:4], v[1:2]
	s_or_b32 s5, s6, s5
	s_wait_alu 0xfffe
	s_and_b32 s5, s7, s5
	s_wait_alu 0xfffe
	s_xor_b32 s6, s5, -1
	s_wait_alu 0xfffe
	s_and_saveexec_b32 s7, s6
	s_wait_alu 0xfffe
	s_xor_b32 s6, exec_lo, s7
; %bb.71:                               ;   in Loop: Header=BB126_2 Depth=1
	ds_load_b64 v[5:6], v7 offset:8
                                        ; implicit-def: $vgpr11
; %bb.72:                               ;   in Loop: Header=BB126_2 Depth=1
	s_wait_alu 0xfffe
	s_or_saveexec_b32 s6, s6
	v_dual_mov_b32 v8, v4 :: v_dual_mov_b32 v7, v3
	s_wait_alu 0xfffe
	s_xor_b32 exec_lo, exec_lo, s6
	s_cbranch_execz .LBB126_74
; %bb.73:                               ;   in Loop: Header=BB126_2 Depth=1
	ds_load_b64 v[7:8], v11 offset:8
	s_wait_dscnt 0x1
	v_dual_mov_b32 v6, v2 :: v_dual_mov_b32 v5, v1
.LBB126_74:                             ;   in Loop: Header=BB126_2 Depth=1
	s_or_b32 exec_lo, exec_lo, s6
	v_add_nc_u32_e32 v11, 1, v10
	v_add_nc_u32_e32 v12, 1, v9
	s_wait_dscnt 0x0
	v_cmp_lt_i64_e64 s6, v[7:8], v[5:6]
	s_delay_alu instid0(VALU_DEP_3) | instskip(NEXT) | instid1(VALU_DEP_3)
	v_cndmask_b32_e64 v14, v11, v10, s5
	v_cndmask_b32_e64 v13, v9, v12, s5
                                        ; implicit-def: $vgpr9_vgpr10
	s_delay_alu instid0(VALU_DEP_2) | instskip(NEXT) | instid1(VALU_DEP_2)
	v_cmp_ge_i32_e64 s7, v14, v42
	v_cmp_lt_i32_e64 s8, v13, v43
	s_or_b32 s6, s7, s6
	s_wait_alu 0xfffe
	s_and_b32 s6, s8, s6
	s_wait_alu 0xfffe
	s_xor_b32 s7, s6, -1
	s_wait_alu 0xfffe
	s_and_saveexec_b32 s8, s7
	s_delay_alu instid0(SALU_CYCLE_1)
	s_xor_b32 s7, exec_lo, s8
; %bb.75:                               ;   in Loop: Header=BB126_2 Depth=1
	v_lshlrev_b32_e32 v9, 3, v14
	ds_load_b64 v[9:10], v9 offset:8
; %bb.76:                               ;   in Loop: Header=BB126_2 Depth=1
	s_wait_alu 0xfffe
	s_or_saveexec_b32 s7, s7
	v_dual_mov_b32 v12, v8 :: v_dual_mov_b32 v11, v7
	s_wait_alu 0xfffe
	s_xor_b32 exec_lo, exec_lo, s7
	s_cbranch_execz .LBB126_78
; %bb.77:                               ;   in Loop: Header=BB126_2 Depth=1
	s_wait_dscnt 0x0
	v_lshlrev_b32_e32 v9, 3, v13
	ds_load_b64 v[11:12], v9 offset:8
	v_dual_mov_b32 v10, v6 :: v_dual_mov_b32 v9, v5
.LBB126_78:                             ;   in Loop: Header=BB126_2 Depth=1
	s_or_b32 exec_lo, exec_lo, s7
	v_add_nc_u32_e32 v15, 1, v14
	v_add_nc_u32_e32 v16, 1, v13
	s_wait_dscnt 0x0
	v_cmp_lt_i64_e64 s7, v[11:12], v[9:10]
	s_delay_alu instid0(VALU_DEP_3) | instskip(NEXT) | instid1(VALU_DEP_3)
	v_cndmask_b32_e64 v63, v15, v14, s6
	v_cndmask_b32_e64 v62, v13, v16, s6
                                        ; implicit-def: $vgpr13_vgpr14
	s_delay_alu instid0(VALU_DEP_2) | instskip(NEXT) | instid1(VALU_DEP_2)
	v_cmp_ge_i32_e64 s8, v63, v42
	v_cmp_lt_i32_e64 s9, v62, v43
	s_or_b32 s7, s8, s7
	s_wait_alu 0xfffe
	s_and_b32 s7, s9, s7
	s_wait_alu 0xfffe
	s_xor_b32 s8, s7, -1
	s_delay_alu instid0(SALU_CYCLE_1) | instskip(NEXT) | instid1(SALU_CYCLE_1)
	s_and_saveexec_b32 s9, s8
	s_xor_b32 s8, exec_lo, s9
; %bb.79:                               ;   in Loop: Header=BB126_2 Depth=1
	v_lshlrev_b32_e32 v13, 3, v63
	ds_load_b64 v[13:14], v13 offset:8
; %bb.80:                               ;   in Loop: Header=BB126_2 Depth=1
	s_or_saveexec_b32 s8, s8
	v_dual_mov_b32 v16, v12 :: v_dual_mov_b32 v15, v11
	s_xor_b32 exec_lo, exec_lo, s8
	s_cbranch_execz .LBB126_82
; %bb.81:                               ;   in Loop: Header=BB126_2 Depth=1
	s_wait_dscnt 0x0
	v_lshlrev_b32_e32 v13, 3, v62
	ds_load_b64 v[15:16], v13 offset:8
	v_dual_mov_b32 v14, v10 :: v_dual_mov_b32 v13, v9
.LBB126_82:                             ;   in Loop: Header=BB126_2 Depth=1
	s_or_b32 exec_lo, exec_lo, s8
	v_add_nc_u32_e32 v64, 1, v63
	v_add_nc_u32_e32 v65, 1, v62
	v_cndmask_b32_e64 v11, v9, v11, s7
	v_cndmask_b32_e64 v6, v6, v8, s6
	;; [unrolled: 1-line block ×5, first 2 shown]
	s_wait_dscnt 0x0
	v_cmp_lt_i64_e64 s6, v[15:16], v[13:14]
	v_cndmask_b32_e64 v12, v10, v12, s7
	v_cndmask_b32_e64 v2, v2, v4, s5
	v_cmp_ge_i32_e64 s7, v9, v42
	v_cmp_lt_i32_e64 s8, v8, v43
	v_cndmask_b32_e64 v1, v1, v3, s5
	v_mov_b32_e32 v9, v50
	s_wait_loadcnt 0x0
	s_or_b32 s5, s7, s6
	s_barrier_signal -1
	s_wait_alu 0xfffe
	s_and_b32 s5, s8, s5
	s_barrier_wait -1
	s_wait_alu 0xfffe
	v_cndmask_b32_e64 v4, v14, v16, s5
	v_cndmask_b32_e64 v3, v13, v15, s5
	global_inv scope:SCOPE_SE
	ds_store_2addr_b64 v21, v[1:2], v[5:6] offset1:1
	ds_store_2addr_b64 v21, v[11:12], v[3:4] offset0:2 offset1:3
	s_wait_loadcnt_dscnt 0x0
	s_barrier_signal -1
	s_barrier_wait -1
	global_inv scope:SCOPE_SE
	s_and_saveexec_b32 s6, s4
	s_cbranch_execz .LBB126_86
; %bb.83:                               ;   in Loop: Header=BB126_2 Depth=1
	v_mov_b32_e32 v9, v50
	v_mov_b32_e32 v1, v51
	s_mov_b32 s7, 0
.LBB126_84:                             ;   Parent Loop BB126_2 Depth=1
                                        ; =>  This Inner Loop Header: Depth=2
	s_delay_alu instid0(VALU_DEP_1) | instskip(NEXT) | instid1(VALU_DEP_1)
	v_sub_nc_u32_e32 v2, v1, v9
	v_lshrrev_b32_e32 v2, 1, v2
	s_delay_alu instid0(VALU_DEP_1) | instskip(NEXT) | instid1(VALU_DEP_1)
	v_add_nc_u32_e32 v6, v2, v9
	v_not_b32_e32 v2, v6
	v_lshlrev_b32_e32 v3, 3, v6
	s_delay_alu instid0(VALU_DEP_2)
	v_lshl_add_u32 v4, v2, 3, v61
	ds_load_b64 v[2:3], v3
	ds_load_b64 v[4:5], v4
	s_wait_dscnt 0x0
	v_cmp_lt_i64_e64 s5, v[4:5], v[2:3]
	v_add_nc_u32_e32 v2, 1, v6
	s_wait_alu 0xf1ff
	s_delay_alu instid0(VALU_DEP_2) | instskip(NEXT) | instid1(VALU_DEP_2)
	v_cndmask_b32_e64 v1, v1, v6, s5
	v_cndmask_b32_e64 v9, v2, v9, s5
	s_delay_alu instid0(VALU_DEP_1)
	v_cmp_ge_i32_e64 s5, v9, v1
	s_wait_alu 0xfffe
	s_or_b32 s7, s5, s7
	s_wait_alu 0xfffe
	s_and_not1_b32 exec_lo, exec_lo, s7
	s_cbranch_execnz .LBB126_84
; %bb.85:                               ;   in Loop: Header=BB126_2 Depth=1
	s_or_b32 exec_lo, exec_lo, s7
.LBB126_86:                             ;   in Loop: Header=BB126_2 Depth=1
	s_wait_alu 0xfffe
	s_or_b32 exec_lo, exec_lo, s6
	v_sub_nc_u32_e32 v10, v55, v9
	v_lshlrev_b32_e32 v7, 3, v9
	v_cmp_le_i32_e64 s6, 0x80, v9
                                        ; implicit-def: $vgpr3_vgpr4
	s_delay_alu instid0(VALU_DEP_3)
	v_lshlrev_b32_e32 v11, 3, v10
	v_cmp_gt_i32_e64 s7, 0x100, v10
	ds_load_b64 v[1:2], v7
	ds_load_b64 v[5:6], v11
	s_wait_dscnt 0x0
	v_cmp_lt_i64_e64 s5, v[5:6], v[1:2]
	s_or_b32 s5, s6, s5
	s_wait_alu 0xfffe
	s_and_b32 s5, s7, s5
	s_wait_alu 0xfffe
	s_xor_b32 s6, s5, -1
	s_wait_alu 0xfffe
	s_and_saveexec_b32 s7, s6
	s_wait_alu 0xfffe
	s_xor_b32 s6, exec_lo, s7
; %bb.87:                               ;   in Loop: Header=BB126_2 Depth=1
	ds_load_b64 v[3:4], v7 offset:8
                                        ; implicit-def: $vgpr11
; %bb.88:                               ;   in Loop: Header=BB126_2 Depth=1
	s_wait_alu 0xfffe
	s_or_saveexec_b32 s6, s6
	v_dual_mov_b32 v8, v6 :: v_dual_mov_b32 v7, v5
	s_wait_alu 0xfffe
	s_xor_b32 exec_lo, exec_lo, s6
	s_cbranch_execz .LBB126_90
; %bb.89:                               ;   in Loop: Header=BB126_2 Depth=1
	ds_load_b64 v[7:8], v11 offset:8
	s_wait_dscnt 0x1
	v_dual_mov_b32 v4, v2 :: v_dual_mov_b32 v3, v1
.LBB126_90:                             ;   in Loop: Header=BB126_2 Depth=1
	s_or_b32 exec_lo, exec_lo, s6
	v_add_nc_u32_e32 v11, 1, v9
	v_add_nc_u32_e32 v12, 1, v10
	s_wait_dscnt 0x0
	v_cmp_lt_i64_e64 s6, v[7:8], v[3:4]
	s_delay_alu instid0(VALU_DEP_3) | instskip(NEXT) | instid1(VALU_DEP_3)
	v_cndmask_b32_e64 v14, v11, v9, s5
	v_cndmask_b32_e64 v13, v10, v12, s5
                                        ; implicit-def: $vgpr9_vgpr10
	s_delay_alu instid0(VALU_DEP_2) | instskip(NEXT) | instid1(VALU_DEP_2)
	v_cmp_le_i32_e64 s7, 0x80, v14
	v_cmp_gt_i32_e64 s8, 0x100, v13
	s_or_b32 s6, s7, s6
	s_wait_alu 0xfffe
	s_and_b32 s6, s8, s6
	s_wait_alu 0xfffe
	s_xor_b32 s7, s6, -1
	s_wait_alu 0xfffe
	s_and_saveexec_b32 s8, s7
	s_delay_alu instid0(SALU_CYCLE_1)
	s_xor_b32 s7, exec_lo, s8
; %bb.91:                               ;   in Loop: Header=BB126_2 Depth=1
	v_lshlrev_b32_e32 v9, 3, v14
	ds_load_b64 v[9:10], v9 offset:8
; %bb.92:                               ;   in Loop: Header=BB126_2 Depth=1
	s_wait_alu 0xfffe
	s_or_saveexec_b32 s7, s7
	v_dual_mov_b32 v12, v8 :: v_dual_mov_b32 v11, v7
	s_wait_alu 0xfffe
	s_xor_b32 exec_lo, exec_lo, s7
	s_cbranch_execz .LBB126_94
; %bb.93:                               ;   in Loop: Header=BB126_2 Depth=1
	s_wait_dscnt 0x0
	v_lshlrev_b32_e32 v9, 3, v13
	ds_load_b64 v[11:12], v9 offset:8
	v_dual_mov_b32 v10, v4 :: v_dual_mov_b32 v9, v3
.LBB126_94:                             ;   in Loop: Header=BB126_2 Depth=1
	s_or_b32 exec_lo, exec_lo, s7
	v_add_nc_u32_e32 v15, 1, v14
	v_add_nc_u32_e32 v16, 1, v13
	s_wait_dscnt 0x0
	v_cmp_lt_i64_e64 s7, v[11:12], v[9:10]
                                        ; implicit-def: $vgpr63
	s_delay_alu instid0(VALU_DEP_3) | instskip(NEXT) | instid1(VALU_DEP_3)
	v_cndmask_b32_e64 v64, v15, v14, s6
	v_cndmask_b32_e64 v62, v13, v16, s6
                                        ; implicit-def: $vgpr13_vgpr14
	s_delay_alu instid0(VALU_DEP_2) | instskip(NEXT) | instid1(VALU_DEP_2)
	v_cmp_le_i32_e64 s8, 0x80, v64
	v_cmp_gt_i32_e64 s9, 0x100, v62
	s_or_b32 s7, s8, s7
	s_wait_alu 0xfffe
	s_and_b32 s7, s9, s7
	s_wait_alu 0xfffe
	s_xor_b32 s8, s7, -1
	s_delay_alu instid0(SALU_CYCLE_1) | instskip(NEXT) | instid1(SALU_CYCLE_1)
	s_and_saveexec_b32 s9, s8
	s_xor_b32 s8, exec_lo, s9
; %bb.95:                               ;   in Loop: Header=BB126_2 Depth=1
	v_lshlrev_b32_e32 v13, 3, v64
	v_add_nc_u32_e32 v63, 1, v64
                                        ; implicit-def: $vgpr64
	ds_load_b64 v[13:14], v13 offset:8
; %bb.96:                               ;   in Loop: Header=BB126_2 Depth=1
	s_or_saveexec_b32 s8, s8
	v_dual_mov_b32 v16, v12 :: v_dual_mov_b32 v15, v11
	s_xor_b32 exec_lo, exec_lo, s8
	s_cbranch_execz .LBB126_1
; %bb.97:                               ;   in Loop: Header=BB126_2 Depth=1
	s_wait_dscnt 0x0
	v_lshlrev_b32_e32 v13, 3, v62
	v_dual_mov_b32 v63, v64 :: v_dual_add_nc_u32 v62, 1, v62
	ds_load_b64 v[15:16], v13 offset:8
	v_dual_mov_b32 v14, v10 :: v_dual_mov_b32 v13, v9
	s_branch .LBB126_1
.LBB126_98:
	v_lshlrev_b32_e32 v0, 3, v0
	s_add_nc_u64 s[0:1], s[10:11], s[14:15]
	s_clause 0x3
	global_store_b64 v0, v[1:2], s[0:1]
	global_store_b64 v0, v[7:8], s[0:1] offset:512
	global_store_b64 v0, v[3:4], s[0:1] offset:1024
	global_store_b64 v0, v[5:6], s[0:1] offset:1536
	s_endpgm
	.section	.rodata,"a",@progbits
	.p2align	6, 0x0
	.amdhsa_kernel _Z16sort_keys_kernelIxLj64ELj4EN10test_utils4lessELj10EEvPKT_PS2_T2_
		.amdhsa_group_segment_fixed_size 2056
		.amdhsa_private_segment_fixed_size 0
		.amdhsa_kernarg_size 20
		.amdhsa_user_sgpr_count 2
		.amdhsa_user_sgpr_dispatch_ptr 0
		.amdhsa_user_sgpr_queue_ptr 0
		.amdhsa_user_sgpr_kernarg_segment_ptr 1
		.amdhsa_user_sgpr_dispatch_id 0
		.amdhsa_user_sgpr_private_segment_size 0
		.amdhsa_wavefront_size32 1
		.amdhsa_uses_dynamic_stack 0
		.amdhsa_enable_private_segment 0
		.amdhsa_system_sgpr_workgroup_id_x 1
		.amdhsa_system_sgpr_workgroup_id_y 0
		.amdhsa_system_sgpr_workgroup_id_z 0
		.amdhsa_system_sgpr_workgroup_info 0
		.amdhsa_system_vgpr_workitem_id 0
		.amdhsa_next_free_vgpr 67
		.amdhsa_next_free_sgpr 16
		.amdhsa_reserve_vcc 1
		.amdhsa_float_round_mode_32 0
		.amdhsa_float_round_mode_16_64 0
		.amdhsa_float_denorm_mode_32 3
		.amdhsa_float_denorm_mode_16_64 3
		.amdhsa_fp16_overflow 0
		.amdhsa_workgroup_processor_mode 1
		.amdhsa_memory_ordered 1
		.amdhsa_forward_progress 1
		.amdhsa_inst_pref_size 48
		.amdhsa_round_robin_scheduling 0
		.amdhsa_exception_fp_ieee_invalid_op 0
		.amdhsa_exception_fp_denorm_src 0
		.amdhsa_exception_fp_ieee_div_zero 0
		.amdhsa_exception_fp_ieee_overflow 0
		.amdhsa_exception_fp_ieee_underflow 0
		.amdhsa_exception_fp_ieee_inexact 0
		.amdhsa_exception_int_div_zero 0
	.end_amdhsa_kernel
	.section	.text._Z16sort_keys_kernelIxLj64ELj4EN10test_utils4lessELj10EEvPKT_PS2_T2_,"axG",@progbits,_Z16sort_keys_kernelIxLj64ELj4EN10test_utils4lessELj10EEvPKT_PS2_T2_,comdat
.Lfunc_end126:
	.size	_Z16sort_keys_kernelIxLj64ELj4EN10test_utils4lessELj10EEvPKT_PS2_T2_, .Lfunc_end126-_Z16sort_keys_kernelIxLj64ELj4EN10test_utils4lessELj10EEvPKT_PS2_T2_
                                        ; -- End function
	.set _Z16sort_keys_kernelIxLj64ELj4EN10test_utils4lessELj10EEvPKT_PS2_T2_.num_vgpr, 67
	.set _Z16sort_keys_kernelIxLj64ELj4EN10test_utils4lessELj10EEvPKT_PS2_T2_.num_agpr, 0
	.set _Z16sort_keys_kernelIxLj64ELj4EN10test_utils4lessELj10EEvPKT_PS2_T2_.numbered_sgpr, 16
	.set _Z16sort_keys_kernelIxLj64ELj4EN10test_utils4lessELj10EEvPKT_PS2_T2_.num_named_barrier, 0
	.set _Z16sort_keys_kernelIxLj64ELj4EN10test_utils4lessELj10EEvPKT_PS2_T2_.private_seg_size, 0
	.set _Z16sort_keys_kernelIxLj64ELj4EN10test_utils4lessELj10EEvPKT_PS2_T2_.uses_vcc, 1
	.set _Z16sort_keys_kernelIxLj64ELj4EN10test_utils4lessELj10EEvPKT_PS2_T2_.uses_flat_scratch, 0
	.set _Z16sort_keys_kernelIxLj64ELj4EN10test_utils4lessELj10EEvPKT_PS2_T2_.has_dyn_sized_stack, 0
	.set _Z16sort_keys_kernelIxLj64ELj4EN10test_utils4lessELj10EEvPKT_PS2_T2_.has_recursion, 0
	.set _Z16sort_keys_kernelIxLj64ELj4EN10test_utils4lessELj10EEvPKT_PS2_T2_.has_indirect_call, 0
	.section	.AMDGPU.csdata,"",@progbits
; Kernel info:
; codeLenInByte = 6076
; TotalNumSgprs: 18
; NumVgprs: 67
; ScratchSize: 0
; MemoryBound: 0
; FloatMode: 240
; IeeeMode: 1
; LDSByteSize: 2056 bytes/workgroup (compile time only)
; SGPRBlocks: 0
; VGPRBlocks: 8
; NumSGPRsForWavesPerEU: 18
; NumVGPRsForWavesPerEU: 67
; Occupancy: 16
; WaveLimiterHint : 1
; COMPUTE_PGM_RSRC2:SCRATCH_EN: 0
; COMPUTE_PGM_RSRC2:USER_SGPR: 2
; COMPUTE_PGM_RSRC2:TRAP_HANDLER: 0
; COMPUTE_PGM_RSRC2:TGID_X_EN: 1
; COMPUTE_PGM_RSRC2:TGID_Y_EN: 0
; COMPUTE_PGM_RSRC2:TGID_Z_EN: 0
; COMPUTE_PGM_RSRC2:TIDIG_COMP_CNT: 0
	.section	.text._Z17sort_pairs_kernelIxLj64ELj4EN10test_utils4lessELj10EEvPKT_PS2_T2_,"axG",@progbits,_Z17sort_pairs_kernelIxLj64ELj4EN10test_utils4lessELj10EEvPKT_PS2_T2_,comdat
	.protected	_Z17sort_pairs_kernelIxLj64ELj4EN10test_utils4lessELj10EEvPKT_PS2_T2_ ; -- Begin function _Z17sort_pairs_kernelIxLj64ELj4EN10test_utils4lessELj10EEvPKT_PS2_T2_
	.globl	_Z17sort_pairs_kernelIxLj64ELj4EN10test_utils4lessELj10EEvPKT_PS2_T2_
	.p2align	8
	.type	_Z17sort_pairs_kernelIxLj64ELj4EN10test_utils4lessELj10EEvPKT_PS2_T2_,@function
_Z17sort_pairs_kernelIxLj64ELj4EN10test_utils4lessELj10EEvPKT_PS2_T2_: ; @_Z17sort_pairs_kernelIxLj64ELj4EN10test_utils4lessELj10EEvPKT_PS2_T2_
; %bb.0:
	s_load_b128 s[16:19], s[0:1], 0x0
	s_lshl_b32 s22, ttmp9, 8
	s_mov_b32 s23, 0
	v_lshlrev_b32_e32 v1, 3, v0
	s_lshl_b64 s[20:21], s[22:23], 3
	v_lshlrev_b32_e32 v27, 5, v0
	s_delay_alu instid0(VALU_DEP_1)
	v_add_nc_u32_e32 v71, 0x400, v27
	s_wait_kmcnt 0x0
	s_add_nc_u64 s[0:1], s[16:17], s[20:21]
	s_clause 0x3
	global_load_b64 v[15:16], v1, s[0:1]
	global_load_b64 v[13:14], v1, s[0:1] offset:512
	global_load_b64 v[11:12], v1, s[0:1] offset:1024
	;; [unrolled: 1-line block ×3, first 2 shown]
	v_lshlrev_b32_e32 v1, 2, v0
	s_delay_alu instid0(VALU_DEP_1)
	v_and_b32_e32 v28, 0xf8, v1
	v_and_b32_e32 v2, 4, v1
	;; [unrolled: 1-line block ×5, first 2 shown]
	v_or_b32_e32 v36, 4, v28
	v_add_nc_u32_e32 v37, 8, v28
	v_and_b32_e32 v4, 28, v1
	v_and_b32_e32 v31, 0xc0, v1
	;; [unrolled: 1-line block ×5, first 2 shown]
	v_subrev_nc_u32_e64 v33, 0x80, v1 clamp
	v_min_i32_e32 v34, 0x80, v1
	v_add_nc_u32_e32 v35, 0x80, v1
	v_or_b32_e32 v39, 8, v29
	v_add_nc_u32_e32 v40, 16, v29
	v_lshlrev_b32_e32 v1, 3, v2
	v_sub_nc_u32_e32 v20, v37, v36
	v_or_b32_e32 v42, 16, v30
	v_add_nc_u32_e32 v43, 32, v30
	v_lshlrev_b32_e32 v7, 3, v3
	v_sub_nc_u32_e32 v22, v40, v39
	v_lshl_add_u32 v56, v36, 3, v1
	v_sub_nc_u32_e32 v1, v2, v20
	v_cmp_ge_i32_e64 s0, v2, v20
	v_or_b32_e32 v45, 32, v31
	v_add_nc_u32_e32 v46, 64, v31
	v_lshlrev_b32_e32 v8, 3, v4
	v_sub_nc_u32_e32 v24, v43, v42
	v_lshl_add_u32 v57, v39, 3, v7
	v_sub_nc_u32_e32 v7, v3, v22
	v_cndmask_b32_e64 v66, 0, v1, s0
	v_cmp_ge_i32_e64 s0, v3, v22
	v_or_b32_e32 v48, 64, v32
	v_add_nc_u32_e32 v49, 0x80, v32
	v_lshlrev_b32_e32 v17, 3, v5
	v_sub_nc_u32_e32 v26, v46, v45
	v_lshl_add_u32 v58, v42, 3, v8
	v_sub_nc_u32_e32 v8, v4, v24
	s_wait_alu 0xf1ff
	v_cndmask_b32_e64 v67, 0, v7, s0
	v_cmp_ge_i32_e64 s0, v4, v24
	v_lshlrev_b32_e32 v18, 3, v6
	v_sub_nc_u32_e32 v70, v49, v48
	v_lshl_add_u32 v59, v45, 3, v17
	v_sub_nc_u32_e32 v17, v5, v26
	s_wait_alu 0xf1ff
	v_cndmask_b32_e64 v68, 0, v8, s0
	v_cmp_ge_i32_e64 s0, v5, v26
	v_sub_nc_u32_e32 v25, v45, v31
	v_sub_nc_u32_e32 v19, v36, v28
	;; [unrolled: 1-line block ×5, first 2 shown]
	v_lshl_add_u32 v60, v48, 3, v18
	v_sub_nc_u32_e32 v18, v6, v70
	s_wait_alu 0xf1ff
	v_cndmask_b32_e64 v69, 0, v17, s0
	v_cmp_ge_i32_e64 s0, v6, v70
	v_add_nc_u32_e32 v54, v45, v5
	v_min_i32_e32 v64, v5, v25
	v_min_i32_e32 v61, v2, v19
	;; [unrolled: 1-line block ×5, first 2 shown]
	s_wait_alu 0xf1ff
	v_cndmask_b32_e64 v70, 0, v18, s0
	v_add_nc_u32_e32 v52, v39, v3
	v_add_nc_u32_e32 v55, v48, v6
	;; [unrolled: 1-line block ×3, first 2 shown]
	v_lshlrev_b32_e32 v38, 3, v28
	v_lshlrev_b32_e32 v41, 3, v29
	;; [unrolled: 1-line block ×5, first 2 shown]
	v_add_nc_u32_e32 v51, v36, v2
	v_cmp_lt_i32_e64 s0, v66, v61
	v_cmp_lt_i32_e64 s1, v67, v62
	;; [unrolled: 1-line block ×5, first 2 shown]
	v_cmp_lt_i32_e32 vcc_lo, v33, v34
	s_wait_loadcnt 0x3
	v_add_co_u32 v7, s5, v15, 1
	s_delay_alu instid0(VALU_DEP_1)
	v_add_co_ci_u32_e64 v8, null, 0, v16, s5
	s_wait_loadcnt 0x2
	v_add_co_u32 v5, s5, v13, 1
	s_wait_alu 0xf1ff
	v_add_co_ci_u32_e64 v6, null, 0, v14, s5
	s_wait_loadcnt 0x1
	v_add_co_u32 v3, s5, v11, 1
	s_wait_alu 0xf1ff
	;; [unrolled: 4-line block ×3, first 2 shown]
	v_add_co_ci_u32_e64 v2, null, 0, v10, s5
	s_branch .LBB127_2
.LBB127_1:                              ;   in Loop: Header=BB127_2 Depth=1
	s_or_b32 exec_lo, exec_lo, s8
	s_wait_dscnt 0x0
	s_delay_alu instid0(VALU_DEP_1)
	v_cmp_lt_i64_e64 s8, v[25:26], v[9:10]
	v_cmp_le_i32_e64 s9, 0x80, v76
	v_cmp_gt_i32_e64 s10, 0x100, v74
	v_cndmask_b32_e64 v15, v15, v16, s5
	v_cndmask_b32_e64 v72, v72, v73, s6
	s_wait_loadcnt 0x0
	s_or_b32 s8, s9, s8
	s_barrier_signal -1
	s_wait_alu 0xfffe
	s_and_b32 s8, s10, s8
	s_barrier_wait -1
	s_wait_alu 0xfffe
	v_cndmask_b32_e64 v16, v76, v74, s8
	global_inv scope:SCOPE_SE
	ds_store_2addr_b64 v27, v[5:6], v[7:8] offset1:1
	ds_store_2addr_b64 v27, v[1:2], v[3:4] offset0:2 offset1:3
	v_lshlrev_b32_e32 v1, 3, v15
	v_lshlrev_b32_e32 v2, 3, v72
	;; [unrolled: 1-line block ×4, first 2 shown]
	s_wait_loadcnt_dscnt 0x0
	s_barrier_signal -1
	s_barrier_wait -1
	global_inv scope:SCOPE_SE
	ds_load_b64 v[7:8], v1
	ds_load_b64 v[5:6], v2
	;; [unrolled: 1-line block ×4, first 2 shown]
	v_cndmask_b32_e64 v10, v10, v26, s8
	v_cndmask_b32_e64 v16, v12, v14, s5
	;; [unrolled: 1-line block ×8, first 2 shown]
	s_add_co_i32 s23, s23, 1
	s_delay_alu instid0(SALU_CYCLE_1)
	s_cmp_eq_u32 s23, 10
	s_cbranch_scc1 .LBB127_98
.LBB127_2:                              ; =>This Loop Header: Depth=1
                                        ;     Child Loop BB127_4 Depth 2
                                        ;     Child Loop BB127_20 Depth 2
	;; [unrolled: 1-line block ×6, first 2 shown]
	v_cmp_lt_i64_e64 s5, v[13:14], v[15:16]
	v_cmp_lt_i64_e64 s6, v[9:10], v[11:12]
	s_barrier_signal -1
	s_barrier_wait -1
	global_inv scope:SCOPE_SE
	s_wait_alu 0xf1ff
	v_cndmask_b32_e64 v21, v14, v16, s5
	v_cndmask_b32_e64 v20, v13, v15, s5
	;; [unrolled: 1-line block ×8, first 2 shown]
	v_cmp_lt_i64_e64 s7, v[22:23], v[20:21]
	s_wait_alu 0xf1ff
	s_delay_alu instid0(VALU_DEP_1) | instskip(SKIP_3) | instid1(VALU_DEP_2)
	v_cndmask_b32_e64 v10, v23, v21, s7
	v_cndmask_b32_e64 v12, v21, v23, s7
	;; [unrolled: 1-line block ×4, first 2 shown]
	v_cmp_lt_i64_e64 s8, v[11:12], v[16:17]
	s_delay_alu instid0(VALU_DEP_2) | instskip(SKIP_1) | instid1(VALU_DEP_2)
	v_cmp_lt_i64_e64 s9, v[18:19], v[9:10]
	s_wait_alu 0xf1ff
	v_cndmask_b32_e64 v14, v12, v17, s8
	v_cndmask_b32_e64 v13, v11, v16, s8
	s_delay_alu instid0(VALU_DEP_3)
	v_cndmask_b32_e64 v22, v10, v19, s9
	v_cndmask_b32_e64 v21, v9, v18, s9
	;; [unrolled: 1-line block ×6, first 2 shown]
	v_cmp_lt_i64_e64 s10, v[21:22], v[13:14]
	s_wait_alu 0xf1ff
	s_delay_alu instid0(VALU_DEP_1)
	v_cndmask_b32_e64 v10, v22, v14, s10
	v_cndmask_b32_e64 v15, v14, v22, s10
	;; [unrolled: 1-line block ×4, first 2 shown]
	v_mov_b32_e32 v13, v66
	ds_store_2addr_b64 v27, v[11:12], v[14:15] offset1:1
	ds_store_2addr_b64 v27, v[9:10], v[19:20] offset0:2 offset1:3
	s_wait_loadcnt_dscnt 0x0
	s_barrier_signal -1
	s_barrier_wait -1
	global_inv scope:SCOPE_SE
	s_and_saveexec_b32 s12, s0
	s_cbranch_execz .LBB127_6
; %bb.3:                                ;   in Loop: Header=BB127_2 Depth=1
	v_mov_b32_e32 v13, v66
	v_mov_b32_e32 v9, v61
	s_mov_b32 s13, 0
.LBB127_4:                              ;   Parent Loop BB127_2 Depth=1
                                        ; =>  This Inner Loop Header: Depth=2
	s_delay_alu instid0(VALU_DEP_1) | instskip(NEXT) | instid1(VALU_DEP_1)
	v_sub_nc_u32_e32 v10, v9, v13
	v_lshrrev_b32_e32 v10, 1, v10
	s_delay_alu instid0(VALU_DEP_1) | instskip(NEXT) | instid1(VALU_DEP_1)
	v_add_nc_u32_e32 v12, v10, v13
	v_not_b32_e32 v10, v12
	v_lshl_add_u32 v11, v12, 3, v38
	s_delay_alu instid0(VALU_DEP_2)
	v_lshl_add_u32 v14, v10, 3, v56
	ds_load_b64 v[10:11], v11
	ds_load_b64 v[14:15], v14
	s_wait_dscnt 0x0
	v_cmp_lt_i64_e64 s11, v[14:15], v[10:11]
	v_add_nc_u32_e32 v10, 1, v12
	s_wait_alu 0xf1ff
	s_delay_alu instid0(VALU_DEP_2) | instskip(NEXT) | instid1(VALU_DEP_2)
	v_cndmask_b32_e64 v9, v9, v12, s11
	v_cndmask_b32_e64 v13, v10, v13, s11
	s_delay_alu instid0(VALU_DEP_1)
	v_cmp_ge_i32_e64 s11, v13, v9
	s_wait_alu 0xfffe
	s_or_b32 s13, s11, s13
	s_wait_alu 0xfffe
	s_and_not1_b32 exec_lo, exec_lo, s13
	s_cbranch_execnz .LBB127_4
; %bb.5:                                ;   in Loop: Header=BB127_2 Depth=1
	s_or_b32 exec_lo, exec_lo, s13
.LBB127_6:                              ;   in Loop: Header=BB127_2 Depth=1
	s_wait_alu 0xfffe
	s_or_b32 exec_lo, exec_lo, s12
	v_sub_nc_u32_e32 v25, v51, v13
	v_lshl_add_u32 v15, v13, 3, v38
	v_add_nc_u32_e32 v26, v13, v28
                                        ; implicit-def: $vgpr13_vgpr14
	s_delay_alu instid0(VALU_DEP_3) | instskip(SKIP_1) | instid1(VALU_DEP_3)
	v_lshlrev_b32_e32 v17, 3, v25
	v_cmp_gt_i32_e64 s13, v37, v25
	v_cmp_le_i32_e64 s12, v36, v26
	ds_load_b64 v[9:10], v15
	ds_load_b64 v[11:12], v17
	s_wait_dscnt 0x0
	v_cmp_lt_i64_e64 s11, v[11:12], v[9:10]
	s_or_b32 s11, s12, s11
	s_wait_alu 0xfffe
	s_and_b32 s11, s13, s11
	s_wait_alu 0xfffe
	s_xor_b32 s12, s11, -1
	s_wait_alu 0xfffe
	s_and_saveexec_b32 s13, s12
	s_wait_alu 0xfffe
	s_xor_b32 s12, exec_lo, s13
; %bb.7:                                ;   in Loop: Header=BB127_2 Depth=1
	ds_load_b64 v[13:14], v15 offset:8
                                        ; implicit-def: $vgpr17
; %bb.8:                                ;   in Loop: Header=BB127_2 Depth=1
	s_wait_alu 0xfffe
	s_or_saveexec_b32 s12, s12
	v_dual_mov_b32 v16, v12 :: v_dual_mov_b32 v15, v11
	s_wait_alu 0xfffe
	s_xor_b32 exec_lo, exec_lo, s12
	s_cbranch_execz .LBB127_10
; %bb.9:                                ;   in Loop: Header=BB127_2 Depth=1
	ds_load_b64 v[15:16], v17 offset:8
	s_wait_dscnt 0x1
	v_dual_mov_b32 v14, v10 :: v_dual_mov_b32 v13, v9
.LBB127_10:                             ;   in Loop: Header=BB127_2 Depth=1
	s_or_b32 exec_lo, exec_lo, s12
	v_add_nc_u32_e32 v17, 1, v26
	v_add_nc_u32_e32 v18, 1, v25
	s_wait_dscnt 0x0
	v_cmp_lt_i64_e64 s12, v[15:16], v[13:14]
	s_delay_alu instid0(VALU_DEP_3) | instskip(NEXT) | instid1(VALU_DEP_3)
	v_cndmask_b32_e64 v72, v17, v26, s11
	v_cndmask_b32_e64 v73, v25, v18, s11
                                        ; implicit-def: $vgpr17_vgpr18
	s_delay_alu instid0(VALU_DEP_2) | instskip(NEXT) | instid1(VALU_DEP_2)
	v_cmp_ge_i32_e64 s13, v72, v36
	v_cmp_lt_i32_e64 s14, v73, v37
	s_or_b32 s12, s13, s12
	s_wait_alu 0xfffe
	s_and_b32 s12, s14, s12
	s_wait_alu 0xfffe
	s_xor_b32 s13, s12, -1
	s_wait_alu 0xfffe
	s_and_saveexec_b32 s14, s13
	s_delay_alu instid0(SALU_CYCLE_1)
	s_xor_b32 s13, exec_lo, s14
; %bb.11:                               ;   in Loop: Header=BB127_2 Depth=1
	v_lshlrev_b32_e32 v17, 3, v72
	ds_load_b64 v[17:18], v17 offset:8
; %bb.12:                               ;   in Loop: Header=BB127_2 Depth=1
	s_wait_alu 0xfffe
	s_or_saveexec_b32 s13, s13
	v_dual_mov_b32 v20, v16 :: v_dual_mov_b32 v19, v15
	s_wait_alu 0xfffe
	s_xor_b32 exec_lo, exec_lo, s13
	s_cbranch_execz .LBB127_14
; %bb.13:                               ;   in Loop: Header=BB127_2 Depth=1
	s_wait_dscnt 0x0
	v_lshlrev_b32_e32 v17, 3, v73
	ds_load_b64 v[19:20], v17 offset:8
	v_dual_mov_b32 v18, v14 :: v_dual_mov_b32 v17, v13
.LBB127_14:                             ;   in Loop: Header=BB127_2 Depth=1
	s_or_b32 exec_lo, exec_lo, s13
	v_add_nc_u32_e32 v21, 1, v72
	v_add_nc_u32_e32 v22, 1, v73
	s_wait_dscnt 0x0
	v_cmp_lt_i64_e64 s13, v[19:20], v[17:18]
	s_delay_alu instid0(VALU_DEP_3) | instskip(NEXT) | instid1(VALU_DEP_3)
	v_cndmask_b32_e64 v74, v21, v72, s12
	v_cndmask_b32_e64 v75, v73, v22, s12
                                        ; implicit-def: $vgpr21_vgpr22
	s_delay_alu instid0(VALU_DEP_2) | instskip(NEXT) | instid1(VALU_DEP_2)
	v_cmp_ge_i32_e64 s14, v74, v36
	v_cmp_lt_i32_e64 s15, v75, v37
	s_or_b32 s13, s14, s13
	s_wait_alu 0xfffe
	s_and_b32 s13, s15, s13
	s_wait_alu 0xfffe
	s_xor_b32 s14, s13, -1
	s_delay_alu instid0(SALU_CYCLE_1) | instskip(NEXT) | instid1(SALU_CYCLE_1)
	s_and_saveexec_b32 s15, s14
	s_xor_b32 s14, exec_lo, s15
; %bb.15:                               ;   in Loop: Header=BB127_2 Depth=1
	v_lshlrev_b32_e32 v21, 3, v74
	ds_load_b64 v[21:22], v21 offset:8
; %bb.16:                               ;   in Loop: Header=BB127_2 Depth=1
	s_or_saveexec_b32 s14, s14
	v_dual_mov_b32 v24, v20 :: v_dual_mov_b32 v23, v19
	s_xor_b32 exec_lo, exec_lo, s14
	s_cbranch_execz .LBB127_18
; %bb.17:                               ;   in Loop: Header=BB127_2 Depth=1
	s_wait_dscnt 0x0
	v_lshlrev_b32_e32 v21, 3, v75
	ds_load_b64 v[23:24], v21 offset:8
	v_dual_mov_b32 v22, v18 :: v_dual_mov_b32 v21, v17
.LBB127_18:                             ;   in Loop: Header=BB127_2 Depth=1
	s_or_b32 exec_lo, exec_lo, s14
	v_add_nc_u32_e32 v76, 1, v75
	v_add_nc_u32_e32 v77, 1, v74
	v_cndmask_b32_e64 v78, v74, v75, s13
	v_cndmask_b32_e64 v72, v72, v73, s12
	;; [unrolled: 1-line block ×17, first 2 shown]
	s_wait_dscnt 0x0
	v_cmp_lt_i64_e64 s5, v[23:24], v[21:22]
	v_cmp_ge_i32_e64 s6, v74, v36
	v_cndmask_b32_e64 v2, v6, v3, s8
	v_cndmask_b32_e64 v1, v5, v8, s8
	;; [unrolled: 1-line block ×8, first 2 shown]
	v_cmp_lt_i32_e64 s7, v73, v37
	s_or_b32 s5, s6, s5
	v_cndmask_b32_e64 v6, v26, v8, s10
	v_cndmask_b32_e64 v8, v8, v26, s10
	;; [unrolled: 1-line block ×4, first 2 shown]
	s_wait_alu 0xfffe
	s_and_b32 s5, s7, s5
	s_wait_loadcnt 0x0
	s_wait_alu 0xfffe
	v_cndmask_b32_e64 v22, v22, v24, s5
	v_cndmask_b32_e64 v24, v74, v73, s5
	s_barrier_signal -1
	s_barrier_wait -1
	global_inv scope:SCOPE_SE
	ds_store_2addr_b64 v27, v[1:2], v[7:8] offset1:1
	ds_store_2addr_b64 v27, v[5:6], v[3:4] offset0:2 offset1:3
	v_lshlrev_b32_e32 v1, 3, v25
	v_lshlrev_b32_e32 v2, 3, v72
	;; [unrolled: 1-line block ×4, first 2 shown]
	s_wait_loadcnt_dscnt 0x0
	s_barrier_signal -1
	s_barrier_wait -1
	global_inv scope:SCOPE_SE
	ds_load_b64 v[5:6], v1
	ds_load_b64 v[7:8], v2
	;; [unrolled: 1-line block ×4, first 2 shown]
	v_cndmask_b32_e64 v14, v14, v16, s12
	v_cndmask_b32_e64 v13, v13, v15, s12
	;; [unrolled: 1-line block ×7, first 2 shown]
	s_wait_loadcnt_dscnt 0x0
	s_barrier_signal -1
	s_barrier_wait -1
	global_inv scope:SCOPE_SE
	ds_store_2addr_b64 v27, v[9:10], v[13:14] offset1:1
	ds_store_2addr_b64 v27, v[17:18], v[21:22] offset0:2 offset1:3
	v_mov_b32_e32 v13, v67
	s_wait_loadcnt_dscnt 0x0
	s_barrier_signal -1
	s_barrier_wait -1
	global_inv scope:SCOPE_SE
	s_and_saveexec_b32 s6, s1
	s_cbranch_execz .LBB127_22
; %bb.19:                               ;   in Loop: Header=BB127_2 Depth=1
	v_mov_b32_e32 v13, v67
	v_mov_b32_e32 v9, v62
	s_mov_b32 s7, 0
.LBB127_20:                             ;   Parent Loop BB127_2 Depth=1
                                        ; =>  This Inner Loop Header: Depth=2
	s_delay_alu instid0(VALU_DEP_1) | instskip(NEXT) | instid1(VALU_DEP_1)
	v_sub_nc_u32_e32 v10, v9, v13
	v_lshrrev_b32_e32 v10, 1, v10
	s_delay_alu instid0(VALU_DEP_1) | instskip(NEXT) | instid1(VALU_DEP_1)
	v_add_nc_u32_e32 v12, v10, v13
	v_not_b32_e32 v10, v12
	v_lshl_add_u32 v11, v12, 3, v41
	s_delay_alu instid0(VALU_DEP_2)
	v_lshl_add_u32 v14, v10, 3, v57
	ds_load_b64 v[10:11], v11
	ds_load_b64 v[14:15], v14
	s_wait_dscnt 0x0
	v_cmp_lt_i64_e64 s5, v[14:15], v[10:11]
	v_add_nc_u32_e32 v10, 1, v12
	s_wait_alu 0xf1ff
	s_delay_alu instid0(VALU_DEP_2) | instskip(NEXT) | instid1(VALU_DEP_2)
	v_cndmask_b32_e64 v9, v9, v12, s5
	v_cndmask_b32_e64 v13, v10, v13, s5
	s_delay_alu instid0(VALU_DEP_1)
	v_cmp_ge_i32_e64 s5, v13, v9
	s_wait_alu 0xfffe
	s_or_b32 s7, s5, s7
	s_wait_alu 0xfffe
	s_and_not1_b32 exec_lo, exec_lo, s7
	s_cbranch_execnz .LBB127_20
; %bb.21:                               ;   in Loop: Header=BB127_2 Depth=1
	s_or_b32 exec_lo, exec_lo, s7
.LBB127_22:                             ;   in Loop: Header=BB127_2 Depth=1
	s_wait_alu 0xfffe
	s_or_b32 exec_lo, exec_lo, s6
	v_sub_nc_u32_e32 v25, v52, v13
	v_lshl_add_u32 v15, v13, 3, v41
	v_add_nc_u32_e32 v26, v13, v29
                                        ; implicit-def: $vgpr13_vgpr14
	s_delay_alu instid0(VALU_DEP_3) | instskip(SKIP_1) | instid1(VALU_DEP_3)
	v_lshlrev_b32_e32 v17, 3, v25
	v_cmp_gt_i32_e64 s7, v40, v25
	v_cmp_le_i32_e64 s6, v39, v26
	ds_load_b64 v[9:10], v15
	ds_load_b64 v[11:12], v17
	s_wait_dscnt 0x0
	v_cmp_lt_i64_e64 s5, v[11:12], v[9:10]
	s_or_b32 s5, s6, s5
	s_wait_alu 0xfffe
	s_and_b32 s5, s7, s5
	s_wait_alu 0xfffe
	s_xor_b32 s6, s5, -1
	s_wait_alu 0xfffe
	s_and_saveexec_b32 s7, s6
	s_wait_alu 0xfffe
	s_xor_b32 s6, exec_lo, s7
; %bb.23:                               ;   in Loop: Header=BB127_2 Depth=1
	ds_load_b64 v[13:14], v15 offset:8
                                        ; implicit-def: $vgpr17
; %bb.24:                               ;   in Loop: Header=BB127_2 Depth=1
	s_wait_alu 0xfffe
	s_or_saveexec_b32 s6, s6
	v_dual_mov_b32 v16, v12 :: v_dual_mov_b32 v15, v11
	s_wait_alu 0xfffe
	s_xor_b32 exec_lo, exec_lo, s6
	s_cbranch_execz .LBB127_26
; %bb.25:                               ;   in Loop: Header=BB127_2 Depth=1
	ds_load_b64 v[15:16], v17 offset:8
	s_wait_dscnt 0x1
	v_dual_mov_b32 v14, v10 :: v_dual_mov_b32 v13, v9
.LBB127_26:                             ;   in Loop: Header=BB127_2 Depth=1
	s_or_b32 exec_lo, exec_lo, s6
	v_add_nc_u32_e32 v17, 1, v26
	v_add_nc_u32_e32 v18, 1, v25
	s_wait_dscnt 0x0
	v_cmp_lt_i64_e64 s6, v[15:16], v[13:14]
	s_delay_alu instid0(VALU_DEP_3) | instskip(NEXT) | instid1(VALU_DEP_3)
	v_cndmask_b32_e64 v72, v17, v26, s5
	v_cndmask_b32_e64 v73, v25, v18, s5
                                        ; implicit-def: $vgpr17_vgpr18
	s_delay_alu instid0(VALU_DEP_2) | instskip(NEXT) | instid1(VALU_DEP_2)
	v_cmp_ge_i32_e64 s7, v72, v39
	v_cmp_lt_i32_e64 s8, v73, v40
	s_or_b32 s6, s7, s6
	s_wait_alu 0xfffe
	s_and_b32 s6, s8, s6
	s_wait_alu 0xfffe
	s_xor_b32 s7, s6, -1
	s_wait_alu 0xfffe
	s_and_saveexec_b32 s8, s7
	s_wait_alu 0xfffe
	s_xor_b32 s7, exec_lo, s8
; %bb.27:                               ;   in Loop: Header=BB127_2 Depth=1
	v_lshlrev_b32_e32 v17, 3, v72
	ds_load_b64 v[17:18], v17 offset:8
; %bb.28:                               ;   in Loop: Header=BB127_2 Depth=1
	s_wait_alu 0xfffe
	s_or_saveexec_b32 s7, s7
	v_dual_mov_b32 v20, v16 :: v_dual_mov_b32 v19, v15
	s_wait_alu 0xfffe
	s_xor_b32 exec_lo, exec_lo, s7
	s_cbranch_execz .LBB127_30
; %bb.29:                               ;   in Loop: Header=BB127_2 Depth=1
	s_wait_dscnt 0x0
	v_lshlrev_b32_e32 v17, 3, v73
	ds_load_b64 v[19:20], v17 offset:8
	v_dual_mov_b32 v18, v14 :: v_dual_mov_b32 v17, v13
.LBB127_30:                             ;   in Loop: Header=BB127_2 Depth=1
	s_or_b32 exec_lo, exec_lo, s7
	v_add_nc_u32_e32 v21, 1, v72
	v_add_nc_u32_e32 v22, 1, v73
	s_wait_dscnt 0x0
	v_cmp_lt_i64_e64 s7, v[19:20], v[17:18]
	s_delay_alu instid0(VALU_DEP_3) | instskip(NEXT) | instid1(VALU_DEP_3)
	v_cndmask_b32_e64 v75, v21, v72, s6
	v_cndmask_b32_e64 v74, v73, v22, s6
                                        ; implicit-def: $vgpr21_vgpr22
	s_delay_alu instid0(VALU_DEP_2) | instskip(NEXT) | instid1(VALU_DEP_2)
	v_cmp_ge_i32_e64 s8, v75, v39
	v_cmp_lt_i32_e64 s9, v74, v40
	s_or_b32 s7, s8, s7
	s_wait_alu 0xfffe
	s_and_b32 s7, s9, s7
	s_wait_alu 0xfffe
	s_xor_b32 s8, s7, -1
	s_wait_alu 0xfffe
	s_and_saveexec_b32 s9, s8
	s_wait_alu 0xfffe
	s_xor_b32 s8, exec_lo, s9
; %bb.31:                               ;   in Loop: Header=BB127_2 Depth=1
	v_lshlrev_b32_e32 v21, 3, v75
	ds_load_b64 v[21:22], v21 offset:8
; %bb.32:                               ;   in Loop: Header=BB127_2 Depth=1
	s_wait_alu 0xfffe
	s_or_saveexec_b32 s8, s8
	v_dual_mov_b32 v24, v20 :: v_dual_mov_b32 v23, v19
	s_wait_alu 0xfffe
	s_xor_b32 exec_lo, exec_lo, s8
	s_cbranch_execz .LBB127_34
; %bb.33:                               ;   in Loop: Header=BB127_2 Depth=1
	s_wait_dscnt 0x0
	v_lshlrev_b32_e32 v21, 3, v74
	ds_load_b64 v[23:24], v21 offset:8
	v_dual_mov_b32 v22, v18 :: v_dual_mov_b32 v21, v17
.LBB127_34:                             ;   in Loop: Header=BB127_2 Depth=1
	s_or_b32 exec_lo, exec_lo, s8
	v_add_nc_u32_e32 v76, 1, v75
	v_add_nc_u32_e32 v77, 1, v74
	v_cndmask_b32_e64 v72, v72, v73, s6
	v_cndmask_b32_e64 v25, v26, v25, s5
	s_wait_dscnt 0x0
	v_cmp_lt_i64_e64 s8, v[23:24], v[21:22]
	v_cndmask_b32_e64 v73, v76, v75, s7
	v_cndmask_b32_e64 v26, v74, v77, s7
	;; [unrolled: 1-line block ×3, first 2 shown]
	s_wait_loadcnt 0x0
	s_barrier_signal -1
	v_cmp_ge_i32_e64 s9, v73, v39
	v_cmp_lt_i32_e64 s10, v26, v40
	s_barrier_wait -1
	global_inv scope:SCOPE_SE
	ds_store_2addr_b64 v27, v[5:6], v[7:8] offset1:1
	ds_store_2addr_b64 v27, v[1:2], v[3:4] offset0:2 offset1:3
	s_or_b32 s8, s9, s8
	v_lshlrev_b32_e32 v2, 3, v25
	s_wait_alu 0xfffe
	s_and_b32 s8, s10, s8
	v_lshlrev_b32_e32 v3, 3, v72
	s_wait_alu 0xfffe
	v_cndmask_b32_e64 v1, v73, v26, s8
	v_lshlrev_b32_e32 v4, 3, v78
	v_cndmask_b32_e64 v22, v22, v24, s8
	s_wait_loadcnt_dscnt 0x0
	s_barrier_signal -1
	v_lshlrev_b32_e32 v24, 3, v1
	s_barrier_wait -1
	global_inv scope:SCOPE_SE
	ds_load_b64 v[5:6], v2
	ds_load_b64 v[7:8], v3
	;; [unrolled: 1-line block ×4, first 2 shown]
	v_cndmask_b32_e64 v14, v14, v16, s6
	v_cndmask_b32_e64 v13, v13, v15, s6
	;; [unrolled: 1-line block ×7, first 2 shown]
	s_wait_loadcnt_dscnt 0x0
	s_barrier_signal -1
	s_barrier_wait -1
	global_inv scope:SCOPE_SE
	ds_store_2addr_b64 v27, v[9:10], v[13:14] offset1:1
	ds_store_2addr_b64 v27, v[17:18], v[21:22] offset0:2 offset1:3
	v_mov_b32_e32 v13, v68
	s_wait_loadcnt_dscnt 0x0
	s_barrier_signal -1
	s_barrier_wait -1
	global_inv scope:SCOPE_SE
	s_and_saveexec_b32 s6, s2
	s_cbranch_execz .LBB127_38
; %bb.35:                               ;   in Loop: Header=BB127_2 Depth=1
	v_mov_b32_e32 v13, v68
	v_mov_b32_e32 v9, v63
	s_mov_b32 s7, 0
.LBB127_36:                             ;   Parent Loop BB127_2 Depth=1
                                        ; =>  This Inner Loop Header: Depth=2
	s_delay_alu instid0(VALU_DEP_1) | instskip(NEXT) | instid1(VALU_DEP_1)
	v_sub_nc_u32_e32 v10, v9, v13
	v_lshrrev_b32_e32 v10, 1, v10
	s_delay_alu instid0(VALU_DEP_1) | instskip(NEXT) | instid1(VALU_DEP_1)
	v_add_nc_u32_e32 v12, v10, v13
	v_not_b32_e32 v10, v12
	v_lshl_add_u32 v11, v12, 3, v44
	s_delay_alu instid0(VALU_DEP_2)
	v_lshl_add_u32 v14, v10, 3, v58
	ds_load_b64 v[10:11], v11
	ds_load_b64 v[14:15], v14
	s_wait_dscnt 0x0
	v_cmp_lt_i64_e64 s5, v[14:15], v[10:11]
	v_add_nc_u32_e32 v10, 1, v12
	s_wait_alu 0xf1ff
	s_delay_alu instid0(VALU_DEP_2) | instskip(NEXT) | instid1(VALU_DEP_2)
	v_cndmask_b32_e64 v9, v9, v12, s5
	v_cndmask_b32_e64 v13, v10, v13, s5
	s_delay_alu instid0(VALU_DEP_1)
	v_cmp_ge_i32_e64 s5, v13, v9
	s_wait_alu 0xfffe
	s_or_b32 s7, s5, s7
	s_wait_alu 0xfffe
	s_and_not1_b32 exec_lo, exec_lo, s7
	s_cbranch_execnz .LBB127_36
; %bb.37:                               ;   in Loop: Header=BB127_2 Depth=1
	s_or_b32 exec_lo, exec_lo, s7
.LBB127_38:                             ;   in Loop: Header=BB127_2 Depth=1
	s_wait_alu 0xfffe
	s_or_b32 exec_lo, exec_lo, s6
	v_sub_nc_u32_e32 v25, v53, v13
	v_lshl_add_u32 v15, v13, 3, v44
	v_add_nc_u32_e32 v26, v13, v30
                                        ; implicit-def: $vgpr13_vgpr14
	s_delay_alu instid0(VALU_DEP_3) | instskip(SKIP_1) | instid1(VALU_DEP_3)
	v_lshlrev_b32_e32 v17, 3, v25
	v_cmp_gt_i32_e64 s7, v43, v25
	v_cmp_le_i32_e64 s6, v42, v26
	ds_load_b64 v[9:10], v15
	ds_load_b64 v[11:12], v17
	s_wait_dscnt 0x0
	v_cmp_lt_i64_e64 s5, v[11:12], v[9:10]
	s_or_b32 s5, s6, s5
	s_wait_alu 0xfffe
	s_and_b32 s5, s7, s5
	s_wait_alu 0xfffe
	s_xor_b32 s6, s5, -1
	s_wait_alu 0xfffe
	s_and_saveexec_b32 s7, s6
	s_wait_alu 0xfffe
	s_xor_b32 s6, exec_lo, s7
; %bb.39:                               ;   in Loop: Header=BB127_2 Depth=1
	ds_load_b64 v[13:14], v15 offset:8
                                        ; implicit-def: $vgpr17
; %bb.40:                               ;   in Loop: Header=BB127_2 Depth=1
	s_wait_alu 0xfffe
	s_or_saveexec_b32 s6, s6
	v_dual_mov_b32 v16, v12 :: v_dual_mov_b32 v15, v11
	s_wait_alu 0xfffe
	s_xor_b32 exec_lo, exec_lo, s6
	s_cbranch_execz .LBB127_42
; %bb.41:                               ;   in Loop: Header=BB127_2 Depth=1
	ds_load_b64 v[15:16], v17 offset:8
	s_wait_dscnt 0x1
	v_dual_mov_b32 v14, v10 :: v_dual_mov_b32 v13, v9
.LBB127_42:                             ;   in Loop: Header=BB127_2 Depth=1
	s_or_b32 exec_lo, exec_lo, s6
	v_add_nc_u32_e32 v17, 1, v26
	v_add_nc_u32_e32 v18, 1, v25
	s_wait_dscnt 0x0
	v_cmp_lt_i64_e64 s6, v[15:16], v[13:14]
	s_delay_alu instid0(VALU_DEP_3) | instskip(NEXT) | instid1(VALU_DEP_3)
	v_cndmask_b32_e64 v72, v17, v26, s5
	v_cndmask_b32_e64 v73, v25, v18, s5
                                        ; implicit-def: $vgpr17_vgpr18
	s_delay_alu instid0(VALU_DEP_2) | instskip(NEXT) | instid1(VALU_DEP_2)
	v_cmp_ge_i32_e64 s7, v72, v42
	v_cmp_lt_i32_e64 s8, v73, v43
	s_or_b32 s6, s7, s6
	s_wait_alu 0xfffe
	s_and_b32 s6, s8, s6
	s_wait_alu 0xfffe
	s_xor_b32 s7, s6, -1
	s_wait_alu 0xfffe
	s_and_saveexec_b32 s8, s7
	s_wait_alu 0xfffe
	s_xor_b32 s7, exec_lo, s8
; %bb.43:                               ;   in Loop: Header=BB127_2 Depth=1
	v_lshlrev_b32_e32 v17, 3, v72
	ds_load_b64 v[17:18], v17 offset:8
; %bb.44:                               ;   in Loop: Header=BB127_2 Depth=1
	s_wait_alu 0xfffe
	s_or_saveexec_b32 s7, s7
	v_dual_mov_b32 v20, v16 :: v_dual_mov_b32 v19, v15
	s_wait_alu 0xfffe
	s_xor_b32 exec_lo, exec_lo, s7
	s_cbranch_execz .LBB127_46
; %bb.45:                               ;   in Loop: Header=BB127_2 Depth=1
	s_wait_dscnt 0x0
	v_lshlrev_b32_e32 v17, 3, v73
	ds_load_b64 v[19:20], v17 offset:8
	v_dual_mov_b32 v18, v14 :: v_dual_mov_b32 v17, v13
.LBB127_46:                             ;   in Loop: Header=BB127_2 Depth=1
	s_or_b32 exec_lo, exec_lo, s7
	v_add_nc_u32_e32 v21, 1, v72
	v_add_nc_u32_e32 v22, 1, v73
	s_wait_dscnt 0x0
	v_cmp_lt_i64_e64 s7, v[19:20], v[17:18]
	s_delay_alu instid0(VALU_DEP_3) | instskip(NEXT) | instid1(VALU_DEP_3)
	v_cndmask_b32_e64 v75, v21, v72, s6
	v_cndmask_b32_e64 v74, v73, v22, s6
                                        ; implicit-def: $vgpr21_vgpr22
	s_delay_alu instid0(VALU_DEP_2) | instskip(NEXT) | instid1(VALU_DEP_2)
	v_cmp_ge_i32_e64 s8, v75, v42
	v_cmp_lt_i32_e64 s9, v74, v43
	s_or_b32 s7, s8, s7
	s_wait_alu 0xfffe
	s_and_b32 s7, s9, s7
	s_wait_alu 0xfffe
	s_xor_b32 s8, s7, -1
	s_wait_alu 0xfffe
	s_and_saveexec_b32 s9, s8
	s_wait_alu 0xfffe
	s_xor_b32 s8, exec_lo, s9
; %bb.47:                               ;   in Loop: Header=BB127_2 Depth=1
	v_lshlrev_b32_e32 v21, 3, v75
	ds_load_b64 v[21:22], v21 offset:8
; %bb.48:                               ;   in Loop: Header=BB127_2 Depth=1
	s_wait_alu 0xfffe
	s_or_saveexec_b32 s8, s8
	v_dual_mov_b32 v24, v20 :: v_dual_mov_b32 v23, v19
	s_wait_alu 0xfffe
	s_xor_b32 exec_lo, exec_lo, s8
	s_cbranch_execz .LBB127_50
; %bb.49:                               ;   in Loop: Header=BB127_2 Depth=1
	s_wait_dscnt 0x0
	v_lshlrev_b32_e32 v21, 3, v74
	ds_load_b64 v[23:24], v21 offset:8
	v_dual_mov_b32 v22, v18 :: v_dual_mov_b32 v21, v17
.LBB127_50:                             ;   in Loop: Header=BB127_2 Depth=1
	s_or_b32 exec_lo, exec_lo, s8
	v_add_nc_u32_e32 v76, 1, v75
	v_add_nc_u32_e32 v77, 1, v74
	v_cndmask_b32_e64 v72, v72, v73, s6
	v_cndmask_b32_e64 v25, v26, v25, s5
	s_wait_dscnt 0x0
	v_cmp_lt_i64_e64 s8, v[23:24], v[21:22]
	v_cndmask_b32_e64 v73, v76, v75, s7
	v_cndmask_b32_e64 v26, v74, v77, s7
	v_cndmask_b32_e64 v78, v75, v74, s7
	s_wait_loadcnt 0x0
	s_barrier_signal -1
	v_cmp_ge_i32_e64 s9, v73, v42
	v_cmp_lt_i32_e64 s10, v26, v43
	s_barrier_wait -1
	global_inv scope:SCOPE_SE
	ds_store_2addr_b64 v27, v[5:6], v[7:8] offset1:1
	ds_store_2addr_b64 v27, v[1:2], v[3:4] offset0:2 offset1:3
	s_or_b32 s8, s9, s8
	v_lshlrev_b32_e32 v2, 3, v25
	s_wait_alu 0xfffe
	s_and_b32 s8, s10, s8
	v_lshlrev_b32_e32 v3, 3, v72
	s_wait_alu 0xfffe
	v_cndmask_b32_e64 v1, v73, v26, s8
	v_lshlrev_b32_e32 v4, 3, v78
	v_cndmask_b32_e64 v22, v22, v24, s8
	s_wait_loadcnt_dscnt 0x0
	s_barrier_signal -1
	v_lshlrev_b32_e32 v24, 3, v1
	s_barrier_wait -1
	global_inv scope:SCOPE_SE
	ds_load_b64 v[5:6], v2
	ds_load_b64 v[7:8], v3
	;; [unrolled: 1-line block ×4, first 2 shown]
	v_cndmask_b32_e64 v14, v14, v16, s6
	v_cndmask_b32_e64 v13, v13, v15, s6
	;; [unrolled: 1-line block ×7, first 2 shown]
	s_wait_loadcnt_dscnt 0x0
	s_barrier_signal -1
	s_barrier_wait -1
	global_inv scope:SCOPE_SE
	ds_store_2addr_b64 v27, v[9:10], v[13:14] offset1:1
	ds_store_2addr_b64 v27, v[17:18], v[21:22] offset0:2 offset1:3
	v_mov_b32_e32 v13, v69
	s_wait_loadcnt_dscnt 0x0
	s_barrier_signal -1
	s_barrier_wait -1
	global_inv scope:SCOPE_SE
	s_and_saveexec_b32 s6, s3
	s_cbranch_execz .LBB127_54
; %bb.51:                               ;   in Loop: Header=BB127_2 Depth=1
	v_mov_b32_e32 v13, v69
	v_mov_b32_e32 v9, v64
	s_mov_b32 s7, 0
.LBB127_52:                             ;   Parent Loop BB127_2 Depth=1
                                        ; =>  This Inner Loop Header: Depth=2
	s_delay_alu instid0(VALU_DEP_1) | instskip(NEXT) | instid1(VALU_DEP_1)
	v_sub_nc_u32_e32 v10, v9, v13
	v_lshrrev_b32_e32 v10, 1, v10
	s_delay_alu instid0(VALU_DEP_1) | instskip(NEXT) | instid1(VALU_DEP_1)
	v_add_nc_u32_e32 v12, v10, v13
	v_not_b32_e32 v10, v12
	v_lshl_add_u32 v11, v12, 3, v47
	s_delay_alu instid0(VALU_DEP_2)
	v_lshl_add_u32 v14, v10, 3, v59
	ds_load_b64 v[10:11], v11
	ds_load_b64 v[14:15], v14
	s_wait_dscnt 0x0
	v_cmp_lt_i64_e64 s5, v[14:15], v[10:11]
	v_add_nc_u32_e32 v10, 1, v12
	s_wait_alu 0xf1ff
	s_delay_alu instid0(VALU_DEP_2) | instskip(NEXT) | instid1(VALU_DEP_2)
	v_cndmask_b32_e64 v9, v9, v12, s5
	v_cndmask_b32_e64 v13, v10, v13, s5
	s_delay_alu instid0(VALU_DEP_1)
	v_cmp_ge_i32_e64 s5, v13, v9
	s_wait_alu 0xfffe
	s_or_b32 s7, s5, s7
	s_wait_alu 0xfffe
	s_and_not1_b32 exec_lo, exec_lo, s7
	s_cbranch_execnz .LBB127_52
; %bb.53:                               ;   in Loop: Header=BB127_2 Depth=1
	s_or_b32 exec_lo, exec_lo, s7
.LBB127_54:                             ;   in Loop: Header=BB127_2 Depth=1
	s_wait_alu 0xfffe
	s_or_b32 exec_lo, exec_lo, s6
	v_sub_nc_u32_e32 v25, v54, v13
	v_lshl_add_u32 v15, v13, 3, v47
	v_add_nc_u32_e32 v26, v13, v31
                                        ; implicit-def: $vgpr13_vgpr14
	s_delay_alu instid0(VALU_DEP_3) | instskip(SKIP_1) | instid1(VALU_DEP_3)
	v_lshlrev_b32_e32 v17, 3, v25
	v_cmp_gt_i32_e64 s7, v46, v25
	v_cmp_le_i32_e64 s6, v45, v26
	ds_load_b64 v[9:10], v15
	ds_load_b64 v[11:12], v17
	s_wait_dscnt 0x0
	v_cmp_lt_i64_e64 s5, v[11:12], v[9:10]
	s_or_b32 s5, s6, s5
	s_wait_alu 0xfffe
	s_and_b32 s5, s7, s5
	s_wait_alu 0xfffe
	s_xor_b32 s6, s5, -1
	s_wait_alu 0xfffe
	s_and_saveexec_b32 s7, s6
	s_wait_alu 0xfffe
	s_xor_b32 s6, exec_lo, s7
; %bb.55:                               ;   in Loop: Header=BB127_2 Depth=1
	ds_load_b64 v[13:14], v15 offset:8
                                        ; implicit-def: $vgpr17
; %bb.56:                               ;   in Loop: Header=BB127_2 Depth=1
	s_wait_alu 0xfffe
	s_or_saveexec_b32 s6, s6
	v_dual_mov_b32 v16, v12 :: v_dual_mov_b32 v15, v11
	s_wait_alu 0xfffe
	s_xor_b32 exec_lo, exec_lo, s6
	s_cbranch_execz .LBB127_58
; %bb.57:                               ;   in Loop: Header=BB127_2 Depth=1
	ds_load_b64 v[15:16], v17 offset:8
	s_wait_dscnt 0x1
	v_dual_mov_b32 v14, v10 :: v_dual_mov_b32 v13, v9
.LBB127_58:                             ;   in Loop: Header=BB127_2 Depth=1
	s_or_b32 exec_lo, exec_lo, s6
	v_add_nc_u32_e32 v17, 1, v26
	v_add_nc_u32_e32 v18, 1, v25
	s_wait_dscnt 0x0
	v_cmp_lt_i64_e64 s6, v[15:16], v[13:14]
	s_delay_alu instid0(VALU_DEP_3) | instskip(NEXT) | instid1(VALU_DEP_3)
	v_cndmask_b32_e64 v72, v17, v26, s5
	v_cndmask_b32_e64 v73, v25, v18, s5
                                        ; implicit-def: $vgpr17_vgpr18
	s_delay_alu instid0(VALU_DEP_2) | instskip(NEXT) | instid1(VALU_DEP_2)
	v_cmp_ge_i32_e64 s7, v72, v45
	v_cmp_lt_i32_e64 s8, v73, v46
	s_or_b32 s6, s7, s6
	s_wait_alu 0xfffe
	s_and_b32 s6, s8, s6
	s_wait_alu 0xfffe
	s_xor_b32 s7, s6, -1
	s_wait_alu 0xfffe
	s_and_saveexec_b32 s8, s7
	s_wait_alu 0xfffe
	s_xor_b32 s7, exec_lo, s8
; %bb.59:                               ;   in Loop: Header=BB127_2 Depth=1
	v_lshlrev_b32_e32 v17, 3, v72
	ds_load_b64 v[17:18], v17 offset:8
; %bb.60:                               ;   in Loop: Header=BB127_2 Depth=1
	s_wait_alu 0xfffe
	s_or_saveexec_b32 s7, s7
	v_dual_mov_b32 v20, v16 :: v_dual_mov_b32 v19, v15
	s_wait_alu 0xfffe
	s_xor_b32 exec_lo, exec_lo, s7
	s_cbranch_execz .LBB127_62
; %bb.61:                               ;   in Loop: Header=BB127_2 Depth=1
	s_wait_dscnt 0x0
	v_lshlrev_b32_e32 v17, 3, v73
	ds_load_b64 v[19:20], v17 offset:8
	v_dual_mov_b32 v18, v14 :: v_dual_mov_b32 v17, v13
.LBB127_62:                             ;   in Loop: Header=BB127_2 Depth=1
	s_or_b32 exec_lo, exec_lo, s7
	v_add_nc_u32_e32 v21, 1, v72
	v_add_nc_u32_e32 v22, 1, v73
	s_wait_dscnt 0x0
	v_cmp_lt_i64_e64 s7, v[19:20], v[17:18]
	s_delay_alu instid0(VALU_DEP_3) | instskip(NEXT) | instid1(VALU_DEP_3)
	v_cndmask_b32_e64 v75, v21, v72, s6
	v_cndmask_b32_e64 v74, v73, v22, s6
                                        ; implicit-def: $vgpr21_vgpr22
	s_delay_alu instid0(VALU_DEP_2) | instskip(NEXT) | instid1(VALU_DEP_2)
	v_cmp_ge_i32_e64 s8, v75, v45
	v_cmp_lt_i32_e64 s9, v74, v46
	s_or_b32 s7, s8, s7
	s_wait_alu 0xfffe
	s_and_b32 s7, s9, s7
	s_wait_alu 0xfffe
	s_xor_b32 s8, s7, -1
	s_wait_alu 0xfffe
	s_and_saveexec_b32 s9, s8
	s_wait_alu 0xfffe
	s_xor_b32 s8, exec_lo, s9
; %bb.63:                               ;   in Loop: Header=BB127_2 Depth=1
	v_lshlrev_b32_e32 v21, 3, v75
	ds_load_b64 v[21:22], v21 offset:8
; %bb.64:                               ;   in Loop: Header=BB127_2 Depth=1
	s_wait_alu 0xfffe
	s_or_saveexec_b32 s8, s8
	v_dual_mov_b32 v24, v20 :: v_dual_mov_b32 v23, v19
	s_wait_alu 0xfffe
	s_xor_b32 exec_lo, exec_lo, s8
	s_cbranch_execz .LBB127_66
; %bb.65:                               ;   in Loop: Header=BB127_2 Depth=1
	s_wait_dscnt 0x0
	v_lshlrev_b32_e32 v21, 3, v74
	ds_load_b64 v[23:24], v21 offset:8
	v_dual_mov_b32 v22, v18 :: v_dual_mov_b32 v21, v17
.LBB127_66:                             ;   in Loop: Header=BB127_2 Depth=1
	s_or_b32 exec_lo, exec_lo, s8
	v_add_nc_u32_e32 v76, 1, v75
	v_add_nc_u32_e32 v77, 1, v74
	v_cndmask_b32_e64 v72, v72, v73, s6
	v_cndmask_b32_e64 v25, v26, v25, s5
	s_wait_dscnt 0x0
	v_cmp_lt_i64_e64 s8, v[23:24], v[21:22]
	v_cndmask_b32_e64 v73, v76, v75, s7
	v_cndmask_b32_e64 v26, v74, v77, s7
	;; [unrolled: 1-line block ×3, first 2 shown]
	s_wait_loadcnt 0x0
	s_barrier_signal -1
	v_cmp_ge_i32_e64 s9, v73, v45
	v_cmp_lt_i32_e64 s10, v26, v46
	s_barrier_wait -1
	global_inv scope:SCOPE_SE
	ds_store_2addr_b64 v27, v[5:6], v[7:8] offset1:1
	ds_store_2addr_b64 v27, v[1:2], v[3:4] offset0:2 offset1:3
	s_or_b32 s8, s9, s8
	v_lshlrev_b32_e32 v2, 3, v25
	s_wait_alu 0xfffe
	s_and_b32 s8, s10, s8
	v_lshlrev_b32_e32 v3, 3, v72
	s_wait_alu 0xfffe
	v_cndmask_b32_e64 v1, v73, v26, s8
	v_lshlrev_b32_e32 v4, 3, v78
	v_cndmask_b32_e64 v22, v22, v24, s8
	s_wait_loadcnt_dscnt 0x0
	s_barrier_signal -1
	v_lshlrev_b32_e32 v24, 3, v1
	s_barrier_wait -1
	global_inv scope:SCOPE_SE
	ds_load_b64 v[5:6], v2
	ds_load_b64 v[7:8], v3
	;; [unrolled: 1-line block ×4, first 2 shown]
	v_cndmask_b32_e64 v14, v14, v16, s6
	v_cndmask_b32_e64 v13, v13, v15, s6
	;; [unrolled: 1-line block ×7, first 2 shown]
	s_wait_loadcnt_dscnt 0x0
	s_barrier_signal -1
	s_barrier_wait -1
	global_inv scope:SCOPE_SE
	ds_store_2addr_b64 v27, v[9:10], v[13:14] offset1:1
	ds_store_2addr_b64 v27, v[17:18], v[21:22] offset0:2 offset1:3
	v_mov_b32_e32 v13, v70
	s_wait_loadcnt_dscnt 0x0
	s_barrier_signal -1
	s_barrier_wait -1
	global_inv scope:SCOPE_SE
	s_and_saveexec_b32 s6, s4
	s_cbranch_execz .LBB127_70
; %bb.67:                               ;   in Loop: Header=BB127_2 Depth=1
	v_mov_b32_e32 v13, v70
	v_mov_b32_e32 v9, v65
	s_mov_b32 s7, 0
.LBB127_68:                             ;   Parent Loop BB127_2 Depth=1
                                        ; =>  This Inner Loop Header: Depth=2
	s_delay_alu instid0(VALU_DEP_1) | instskip(NEXT) | instid1(VALU_DEP_1)
	v_sub_nc_u32_e32 v10, v9, v13
	v_lshrrev_b32_e32 v10, 1, v10
	s_delay_alu instid0(VALU_DEP_1) | instskip(NEXT) | instid1(VALU_DEP_1)
	v_add_nc_u32_e32 v12, v10, v13
	v_not_b32_e32 v10, v12
	v_lshl_add_u32 v11, v12, 3, v50
	s_delay_alu instid0(VALU_DEP_2)
	v_lshl_add_u32 v14, v10, 3, v60
	ds_load_b64 v[10:11], v11
	ds_load_b64 v[14:15], v14
	s_wait_dscnt 0x0
	v_cmp_lt_i64_e64 s5, v[14:15], v[10:11]
	v_add_nc_u32_e32 v10, 1, v12
	s_wait_alu 0xf1ff
	s_delay_alu instid0(VALU_DEP_2) | instskip(NEXT) | instid1(VALU_DEP_2)
	v_cndmask_b32_e64 v9, v9, v12, s5
	v_cndmask_b32_e64 v13, v10, v13, s5
	s_delay_alu instid0(VALU_DEP_1)
	v_cmp_ge_i32_e64 s5, v13, v9
	s_wait_alu 0xfffe
	s_or_b32 s7, s5, s7
	s_wait_alu 0xfffe
	s_and_not1_b32 exec_lo, exec_lo, s7
	s_cbranch_execnz .LBB127_68
; %bb.69:                               ;   in Loop: Header=BB127_2 Depth=1
	s_or_b32 exec_lo, exec_lo, s7
.LBB127_70:                             ;   in Loop: Header=BB127_2 Depth=1
	s_wait_alu 0xfffe
	s_or_b32 exec_lo, exec_lo, s6
	v_sub_nc_u32_e32 v25, v55, v13
	v_lshl_add_u32 v15, v13, 3, v50
	v_add_nc_u32_e32 v26, v13, v32
                                        ; implicit-def: $vgpr13_vgpr14
	s_delay_alu instid0(VALU_DEP_3) | instskip(SKIP_1) | instid1(VALU_DEP_3)
	v_lshlrev_b32_e32 v17, 3, v25
	v_cmp_gt_i32_e64 s7, v49, v25
	v_cmp_le_i32_e64 s6, v48, v26
	ds_load_b64 v[9:10], v15
	ds_load_b64 v[11:12], v17
	s_wait_dscnt 0x0
	v_cmp_lt_i64_e64 s5, v[11:12], v[9:10]
	s_or_b32 s5, s6, s5
	s_wait_alu 0xfffe
	s_and_b32 s5, s7, s5
	s_wait_alu 0xfffe
	s_xor_b32 s6, s5, -1
	s_wait_alu 0xfffe
	s_and_saveexec_b32 s7, s6
	s_wait_alu 0xfffe
	s_xor_b32 s6, exec_lo, s7
; %bb.71:                               ;   in Loop: Header=BB127_2 Depth=1
	ds_load_b64 v[13:14], v15 offset:8
                                        ; implicit-def: $vgpr17
; %bb.72:                               ;   in Loop: Header=BB127_2 Depth=1
	s_wait_alu 0xfffe
	s_or_saveexec_b32 s6, s6
	v_dual_mov_b32 v16, v12 :: v_dual_mov_b32 v15, v11
	s_wait_alu 0xfffe
	s_xor_b32 exec_lo, exec_lo, s6
	s_cbranch_execz .LBB127_74
; %bb.73:                               ;   in Loop: Header=BB127_2 Depth=1
	ds_load_b64 v[15:16], v17 offset:8
	s_wait_dscnt 0x1
	v_dual_mov_b32 v14, v10 :: v_dual_mov_b32 v13, v9
.LBB127_74:                             ;   in Loop: Header=BB127_2 Depth=1
	s_or_b32 exec_lo, exec_lo, s6
	v_add_nc_u32_e32 v17, 1, v26
	v_add_nc_u32_e32 v18, 1, v25
	s_wait_dscnt 0x0
	v_cmp_lt_i64_e64 s6, v[15:16], v[13:14]
	s_delay_alu instid0(VALU_DEP_3) | instskip(NEXT) | instid1(VALU_DEP_3)
	v_cndmask_b32_e64 v72, v17, v26, s5
	v_cndmask_b32_e64 v73, v25, v18, s5
                                        ; implicit-def: $vgpr17_vgpr18
	s_delay_alu instid0(VALU_DEP_2) | instskip(NEXT) | instid1(VALU_DEP_2)
	v_cmp_ge_i32_e64 s7, v72, v48
	v_cmp_lt_i32_e64 s8, v73, v49
	s_or_b32 s6, s7, s6
	s_wait_alu 0xfffe
	s_and_b32 s6, s8, s6
	s_wait_alu 0xfffe
	s_xor_b32 s7, s6, -1
	s_wait_alu 0xfffe
	s_and_saveexec_b32 s8, s7
	s_wait_alu 0xfffe
	s_xor_b32 s7, exec_lo, s8
; %bb.75:                               ;   in Loop: Header=BB127_2 Depth=1
	v_lshlrev_b32_e32 v17, 3, v72
	ds_load_b64 v[17:18], v17 offset:8
; %bb.76:                               ;   in Loop: Header=BB127_2 Depth=1
	s_wait_alu 0xfffe
	s_or_saveexec_b32 s7, s7
	v_dual_mov_b32 v20, v16 :: v_dual_mov_b32 v19, v15
	s_wait_alu 0xfffe
	s_xor_b32 exec_lo, exec_lo, s7
	s_cbranch_execz .LBB127_78
; %bb.77:                               ;   in Loop: Header=BB127_2 Depth=1
	s_wait_dscnt 0x0
	v_lshlrev_b32_e32 v17, 3, v73
	ds_load_b64 v[19:20], v17 offset:8
	v_dual_mov_b32 v18, v14 :: v_dual_mov_b32 v17, v13
.LBB127_78:                             ;   in Loop: Header=BB127_2 Depth=1
	s_or_b32 exec_lo, exec_lo, s7
	v_add_nc_u32_e32 v21, 1, v72
	v_add_nc_u32_e32 v22, 1, v73
	s_wait_dscnt 0x0
	v_cmp_lt_i64_e64 s7, v[19:20], v[17:18]
	s_delay_alu instid0(VALU_DEP_3) | instskip(NEXT) | instid1(VALU_DEP_3)
	v_cndmask_b32_e64 v75, v21, v72, s6
	v_cndmask_b32_e64 v74, v73, v22, s6
                                        ; implicit-def: $vgpr21_vgpr22
	s_delay_alu instid0(VALU_DEP_2) | instskip(NEXT) | instid1(VALU_DEP_2)
	v_cmp_ge_i32_e64 s8, v75, v48
	v_cmp_lt_i32_e64 s9, v74, v49
	s_or_b32 s7, s8, s7
	s_wait_alu 0xfffe
	s_and_b32 s7, s9, s7
	s_wait_alu 0xfffe
	s_xor_b32 s8, s7, -1
	s_wait_alu 0xfffe
	s_and_saveexec_b32 s9, s8
	s_wait_alu 0xfffe
	s_xor_b32 s8, exec_lo, s9
; %bb.79:                               ;   in Loop: Header=BB127_2 Depth=1
	v_lshlrev_b32_e32 v21, 3, v75
	ds_load_b64 v[21:22], v21 offset:8
; %bb.80:                               ;   in Loop: Header=BB127_2 Depth=1
	s_wait_alu 0xfffe
	s_or_saveexec_b32 s8, s8
	v_dual_mov_b32 v24, v20 :: v_dual_mov_b32 v23, v19
	s_wait_alu 0xfffe
	s_xor_b32 exec_lo, exec_lo, s8
	s_cbranch_execz .LBB127_82
; %bb.81:                               ;   in Loop: Header=BB127_2 Depth=1
	s_wait_dscnt 0x0
	v_lshlrev_b32_e32 v21, 3, v74
	ds_load_b64 v[23:24], v21 offset:8
	v_dual_mov_b32 v22, v18 :: v_dual_mov_b32 v21, v17
.LBB127_82:                             ;   in Loop: Header=BB127_2 Depth=1
	s_or_b32 exec_lo, exec_lo, s8
	v_add_nc_u32_e32 v76, 1, v75
	v_add_nc_u32_e32 v77, 1, v74
	v_cndmask_b32_e64 v72, v72, v73, s6
	v_cndmask_b32_e64 v13, v13, v15, s6
	v_mov_b32_e32 v15, v33
	v_cndmask_b32_e64 v73, v76, v75, s7
	v_cndmask_b32_e64 v25, v26, v25, s5
	;; [unrolled: 1-line block ×3, first 2 shown]
	s_wait_dscnt 0x0
	v_cmp_lt_i64_e64 s8, v[23:24], v[21:22]
	v_cndmask_b32_e64 v78, v75, v74, s7
	v_cmp_ge_i32_e64 s9, v73, v48
	s_wait_loadcnt 0x0
	v_cmp_lt_i32_e64 s10, v26, v49
	s_barrier_signal -1
	s_barrier_wait -1
	s_or_b32 s8, s9, s8
	global_inv scope:SCOPE_SE
	s_wait_alu 0xfffe
	s_and_b32 s8, s10, s8
	ds_store_2addr_b64 v27, v[5:6], v[7:8] offset1:1
	ds_store_2addr_b64 v27, v[1:2], v[3:4] offset0:2 offset1:3
	s_wait_alu 0xfffe
	v_cndmask_b32_e64 v1, v73, v26, s8
	v_lshlrev_b32_e32 v2, 3, v25
	v_lshlrev_b32_e32 v3, 3, v72
	;; [unrolled: 1-line block ×3, first 2 shown]
	v_cndmask_b32_e64 v22, v22, v24, s8
	v_lshlrev_b32_e32 v24, 3, v1
	s_wait_loadcnt_dscnt 0x0
	s_barrier_signal -1
	s_barrier_wait -1
	global_inv scope:SCOPE_SE
	ds_load_b64 v[5:6], v2
	ds_load_b64 v[7:8], v3
	;; [unrolled: 1-line block ×4, first 2 shown]
	v_cndmask_b32_e64 v14, v14, v16, s6
	v_cndmask_b32_e64 v10, v10, v12, s5
	;; [unrolled: 1-line block ×6, first 2 shown]
	s_wait_loadcnt_dscnt 0x0
	s_barrier_signal -1
	s_barrier_wait -1
	global_inv scope:SCOPE_SE
	ds_store_2addr_b64 v27, v[9:10], v[13:14] offset1:1
	ds_store_2addr_b64 v27, v[17:18], v[21:22] offset0:2 offset1:3
	s_wait_loadcnt_dscnt 0x0
	s_barrier_signal -1
	s_barrier_wait -1
	global_inv scope:SCOPE_SE
	s_and_saveexec_b32 s6, vcc_lo
	s_cbranch_execz .LBB127_86
; %bb.83:                               ;   in Loop: Header=BB127_2 Depth=1
	v_mov_b32_e32 v15, v33
	v_mov_b32_e32 v9, v34
	s_mov_b32 s7, 0
.LBB127_84:                             ;   Parent Loop BB127_2 Depth=1
                                        ; =>  This Inner Loop Header: Depth=2
	s_delay_alu instid0(VALU_DEP_1) | instskip(NEXT) | instid1(VALU_DEP_1)
	v_sub_nc_u32_e32 v10, v9, v15
	v_lshrrev_b32_e32 v10, 1, v10
	s_delay_alu instid0(VALU_DEP_1) | instskip(NEXT) | instid1(VALU_DEP_1)
	v_add_nc_u32_e32 v14, v10, v15
	v_not_b32_e32 v10, v14
	v_lshlrev_b32_e32 v11, 3, v14
	s_delay_alu instid0(VALU_DEP_2)
	v_lshl_add_u32 v12, v10, 3, v71
	ds_load_b64 v[10:11], v11
	ds_load_b64 v[12:13], v12
	s_wait_dscnt 0x0
	v_cmp_lt_i64_e64 s5, v[12:13], v[10:11]
	v_add_nc_u32_e32 v10, 1, v14
	s_wait_alu 0xf1ff
	s_delay_alu instid0(VALU_DEP_2) | instskip(NEXT) | instid1(VALU_DEP_2)
	v_cndmask_b32_e64 v9, v9, v14, s5
	v_cndmask_b32_e64 v15, v10, v15, s5
	s_delay_alu instid0(VALU_DEP_1)
	v_cmp_ge_i32_e64 s5, v15, v9
	s_wait_alu 0xfffe
	s_or_b32 s7, s5, s7
	s_wait_alu 0xfffe
	s_and_not1_b32 exec_lo, exec_lo, s7
	s_cbranch_execnz .LBB127_84
; %bb.85:                               ;   in Loop: Header=BB127_2 Depth=1
	s_or_b32 exec_lo, exec_lo, s7
.LBB127_86:                             ;   in Loop: Header=BB127_2 Depth=1
	s_wait_alu 0xfffe
	s_or_b32 exec_lo, exec_lo, s6
	v_sub_nc_u32_e32 v16, v35, v15
	v_lshlrev_b32_e32 v10, 3, v15
	v_cmp_le_i32_e64 s6, 0x80, v15
                                        ; implicit-def: $vgpr17_vgpr18
	s_delay_alu instid0(VALU_DEP_3)
	v_lshlrev_b32_e32 v9, 3, v16
	v_cmp_gt_i32_e64 s7, 0x100, v16
	ds_load_b64 v[11:12], v10
	ds_load_b64 v[13:14], v9
	s_wait_dscnt 0x0
	v_cmp_lt_i64_e64 s5, v[13:14], v[11:12]
	s_or_b32 s5, s6, s5
	s_wait_alu 0xfffe
	s_and_b32 s5, s7, s5
	s_wait_alu 0xfffe
	s_xor_b32 s6, s5, -1
	s_wait_alu 0xfffe
	s_and_saveexec_b32 s7, s6
	s_wait_alu 0xfffe
	s_xor_b32 s6, exec_lo, s7
; %bb.87:                               ;   in Loop: Header=BB127_2 Depth=1
	ds_load_b64 v[17:18], v10 offset:8
                                        ; implicit-def: $vgpr9
; %bb.88:                               ;   in Loop: Header=BB127_2 Depth=1
	s_wait_alu 0xfffe
	s_or_saveexec_b32 s6, s6
	v_dual_mov_b32 v20, v14 :: v_dual_mov_b32 v19, v13
	s_wait_alu 0xfffe
	s_xor_b32 exec_lo, exec_lo, s6
	s_cbranch_execz .LBB127_90
; %bb.89:                               ;   in Loop: Header=BB127_2 Depth=1
	ds_load_b64 v[19:20], v9 offset:8
	s_wait_dscnt 0x1
	v_dual_mov_b32 v18, v12 :: v_dual_mov_b32 v17, v11
.LBB127_90:                             ;   in Loop: Header=BB127_2 Depth=1
	s_or_b32 exec_lo, exec_lo, s6
	v_add_nc_u32_e32 v9, 1, v15
	v_add_nc_u32_e32 v10, 1, v16
	s_wait_dscnt 0x0
	v_cmp_lt_i64_e64 s6, v[19:20], v[17:18]
                                        ; implicit-def: $vgpr21_vgpr22
	s_delay_alu instid0(VALU_DEP_3) | instskip(NEXT) | instid1(VALU_DEP_3)
	v_cndmask_b32_e64 v72, v9, v15, s5
	v_cndmask_b32_e64 v73, v16, v10, s5
	s_delay_alu instid0(VALU_DEP_2) | instskip(NEXT) | instid1(VALU_DEP_2)
	v_cmp_le_i32_e64 s7, 0x80, v72
	v_cmp_gt_i32_e64 s8, 0x100, v73
	s_or_b32 s6, s7, s6
	s_wait_alu 0xfffe
	s_and_b32 s6, s8, s6
	s_wait_alu 0xfffe
	s_xor_b32 s7, s6, -1
	s_wait_alu 0xfffe
	s_and_saveexec_b32 s8, s7
	s_wait_alu 0xfffe
	s_xor_b32 s7, exec_lo, s8
; %bb.91:                               ;   in Loop: Header=BB127_2 Depth=1
	v_lshlrev_b32_e32 v9, 3, v72
	ds_load_b64 v[21:22], v9 offset:8
; %bb.92:                               ;   in Loop: Header=BB127_2 Depth=1
	s_wait_alu 0xfffe
	s_or_saveexec_b32 s7, s7
	v_dual_mov_b32 v24, v20 :: v_dual_mov_b32 v23, v19
	s_wait_alu 0xfffe
	s_xor_b32 exec_lo, exec_lo, s7
	s_cbranch_execz .LBB127_94
; %bb.93:                               ;   in Loop: Header=BB127_2 Depth=1
	s_wait_dscnt 0x0
	v_dual_mov_b32 v22, v18 :: v_dual_lshlrev_b32 v9, 3, v73
	v_mov_b32_e32 v21, v17
	ds_load_b64 v[23:24], v9 offset:8
.LBB127_94:                             ;   in Loop: Header=BB127_2 Depth=1
	s_or_b32 exec_lo, exec_lo, s7
	v_add_nc_u32_e32 v9, 1, v72
	v_add_nc_u32_e32 v10, 1, v73
	s_wait_dscnt 0x0
	v_cmp_lt_i64_e64 s7, v[23:24], v[21:22]
                                        ; implicit-def: $vgpr76
	s_delay_alu instid0(VALU_DEP_3) | instskip(NEXT) | instid1(VALU_DEP_3)
	v_cndmask_b32_e64 v77, v9, v72, s6
	v_cndmask_b32_e64 v74, v73, v10, s6
                                        ; implicit-def: $vgpr9_vgpr10
	s_delay_alu instid0(VALU_DEP_2) | instskip(NEXT) | instid1(VALU_DEP_2)
	v_cmp_le_i32_e64 s8, 0x80, v77
	v_cmp_gt_i32_e64 s9, 0x100, v74
	s_or_b32 s7, s8, s7
	s_wait_alu 0xfffe
	s_and_b32 s7, s9, s7
	s_wait_alu 0xfffe
	s_xor_b32 s8, s7, -1
	s_wait_alu 0xfffe
	s_and_saveexec_b32 s9, s8
	s_wait_alu 0xfffe
	s_xor_b32 s8, exec_lo, s9
; %bb.95:                               ;   in Loop: Header=BB127_2 Depth=1
	v_lshlrev_b32_e32 v9, 3, v77
	v_add_nc_u32_e32 v76, 1, v77
	ds_load_b64 v[9:10], v9 offset:8
; %bb.96:                               ;   in Loop: Header=BB127_2 Depth=1
	s_wait_alu 0xfffe
	s_or_saveexec_b32 s8, s8
	v_dual_mov_b32 v75, v77 :: v_dual_mov_b32 v26, v24
	v_mov_b32_e32 v25, v23
	s_wait_alu 0xfffe
	s_xor_b32 exec_lo, exec_lo, s8
	s_cbranch_execz .LBB127_1
; %bb.97:                               ;   in Loop: Header=BB127_2 Depth=1
	s_wait_dscnt 0x0
	v_dual_mov_b32 v76, v77 :: v_dual_lshlrev_b32 v9, 3, v74
	ds_load_b64 v[25:26], v9 offset:8
	v_add_nc_u32_e32 v9, 1, v74
	s_delay_alu instid0(VALU_DEP_1)
	v_dual_mov_b32 v75, v74 :: v_dual_mov_b32 v74, v9
	v_dual_mov_b32 v9, v21 :: v_dual_mov_b32 v10, v22
	s_branch .LBB127_1
.LBB127_98:
	s_wait_dscnt 0x3
	v_add_co_u32 v7, vcc_lo, v15, v7
	s_delay_alu instid0(VALU_DEP_1)
	v_add_co_ci_u32_e64 v8, null, v16, v8, vcc_lo
	s_wait_dscnt 0x2
	v_add_co_u32 v5, vcc_lo, v13, v5
	s_wait_alu 0xfffd
	v_add_co_ci_u32_e64 v6, null, v14, v6, vcc_lo
	s_wait_dscnt 0x1
	v_add_co_u32 v3, vcc_lo, v11, v3
	v_lshlrev_b32_e32 v11, 3, v0
	s_wait_alu 0xfffd
	v_add_co_ci_u32_e64 v4, null, v12, v4, vcc_lo
	s_wait_dscnt 0x0
	v_add_co_u32 v0, vcc_lo, v9, v1
	s_wait_alu 0xfffd
	v_add_co_ci_u32_e64 v1, null, v10, v2, vcc_lo
	s_add_nc_u64 s[0:1], s[18:19], s[20:21]
	s_clause 0x3
	global_store_b64 v11, v[7:8], s[0:1]
	global_store_b64 v11, v[5:6], s[0:1] offset:512
	global_store_b64 v11, v[3:4], s[0:1] offset:1024
	global_store_b64 v11, v[0:1], s[0:1] offset:1536
	s_endpgm
	.section	.rodata,"a",@progbits
	.p2align	6, 0x0
	.amdhsa_kernel _Z17sort_pairs_kernelIxLj64ELj4EN10test_utils4lessELj10EEvPKT_PS2_T2_
		.amdhsa_group_segment_fixed_size 2056
		.amdhsa_private_segment_fixed_size 0
		.amdhsa_kernarg_size 20
		.amdhsa_user_sgpr_count 2
		.amdhsa_user_sgpr_dispatch_ptr 0
		.amdhsa_user_sgpr_queue_ptr 0
		.amdhsa_user_sgpr_kernarg_segment_ptr 1
		.amdhsa_user_sgpr_dispatch_id 0
		.amdhsa_user_sgpr_private_segment_size 0
		.amdhsa_wavefront_size32 1
		.amdhsa_uses_dynamic_stack 0
		.amdhsa_enable_private_segment 0
		.amdhsa_system_sgpr_workgroup_id_x 1
		.amdhsa_system_sgpr_workgroup_id_y 0
		.amdhsa_system_sgpr_workgroup_id_z 0
		.amdhsa_system_sgpr_workgroup_info 0
		.amdhsa_system_vgpr_workitem_id 0
		.amdhsa_next_free_vgpr 80
		.amdhsa_next_free_sgpr 24
		.amdhsa_reserve_vcc 1
		.amdhsa_float_round_mode_32 0
		.amdhsa_float_round_mode_16_64 0
		.amdhsa_float_denorm_mode_32 3
		.amdhsa_float_denorm_mode_16_64 3
		.amdhsa_fp16_overflow 0
		.amdhsa_workgroup_processor_mode 1
		.amdhsa_memory_ordered 1
		.amdhsa_forward_progress 1
		.amdhsa_inst_pref_size 58
		.amdhsa_round_robin_scheduling 0
		.amdhsa_exception_fp_ieee_invalid_op 0
		.amdhsa_exception_fp_denorm_src 0
		.amdhsa_exception_fp_ieee_div_zero 0
		.amdhsa_exception_fp_ieee_overflow 0
		.amdhsa_exception_fp_ieee_underflow 0
		.amdhsa_exception_fp_ieee_inexact 0
		.amdhsa_exception_int_div_zero 0
	.end_amdhsa_kernel
	.section	.text._Z17sort_pairs_kernelIxLj64ELj4EN10test_utils4lessELj10EEvPKT_PS2_T2_,"axG",@progbits,_Z17sort_pairs_kernelIxLj64ELj4EN10test_utils4lessELj10EEvPKT_PS2_T2_,comdat
.Lfunc_end127:
	.size	_Z17sort_pairs_kernelIxLj64ELj4EN10test_utils4lessELj10EEvPKT_PS2_T2_, .Lfunc_end127-_Z17sort_pairs_kernelIxLj64ELj4EN10test_utils4lessELj10EEvPKT_PS2_T2_
                                        ; -- End function
	.set _Z17sort_pairs_kernelIxLj64ELj4EN10test_utils4lessELj10EEvPKT_PS2_T2_.num_vgpr, 80
	.set _Z17sort_pairs_kernelIxLj64ELj4EN10test_utils4lessELj10EEvPKT_PS2_T2_.num_agpr, 0
	.set _Z17sort_pairs_kernelIxLj64ELj4EN10test_utils4lessELj10EEvPKT_PS2_T2_.numbered_sgpr, 24
	.set _Z17sort_pairs_kernelIxLj64ELj4EN10test_utils4lessELj10EEvPKT_PS2_T2_.num_named_barrier, 0
	.set _Z17sort_pairs_kernelIxLj64ELj4EN10test_utils4lessELj10EEvPKT_PS2_T2_.private_seg_size, 0
	.set _Z17sort_pairs_kernelIxLj64ELj4EN10test_utils4lessELj10EEvPKT_PS2_T2_.uses_vcc, 1
	.set _Z17sort_pairs_kernelIxLj64ELj4EN10test_utils4lessELj10EEvPKT_PS2_T2_.uses_flat_scratch, 0
	.set _Z17sort_pairs_kernelIxLj64ELj4EN10test_utils4lessELj10EEvPKT_PS2_T2_.has_dyn_sized_stack, 0
	.set _Z17sort_pairs_kernelIxLj64ELj4EN10test_utils4lessELj10EEvPKT_PS2_T2_.has_recursion, 0
	.set _Z17sort_pairs_kernelIxLj64ELj4EN10test_utils4lessELj10EEvPKT_PS2_T2_.has_indirect_call, 0
	.section	.AMDGPU.csdata,"",@progbits
; Kernel info:
; codeLenInByte = 7312
; TotalNumSgprs: 26
; NumVgprs: 80
; ScratchSize: 0
; MemoryBound: 0
; FloatMode: 240
; IeeeMode: 1
; LDSByteSize: 2056 bytes/workgroup (compile time only)
; SGPRBlocks: 0
; VGPRBlocks: 9
; NumSGPRsForWavesPerEU: 26
; NumVGPRsForWavesPerEU: 80
; Occupancy: 16
; WaveLimiterHint : 1
; COMPUTE_PGM_RSRC2:SCRATCH_EN: 0
; COMPUTE_PGM_RSRC2:USER_SGPR: 2
; COMPUTE_PGM_RSRC2:TRAP_HANDLER: 0
; COMPUTE_PGM_RSRC2:TGID_X_EN: 1
; COMPUTE_PGM_RSRC2:TGID_Y_EN: 0
; COMPUTE_PGM_RSRC2:TGID_Z_EN: 0
; COMPUTE_PGM_RSRC2:TIDIG_COMP_CNT: 0
	.section	.text._Z16sort_keys_kernelIxLj64ELj8EN10test_utils4lessELj10EEvPKT_PS2_T2_,"axG",@progbits,_Z16sort_keys_kernelIxLj64ELj8EN10test_utils4lessELj10EEvPKT_PS2_T2_,comdat
	.protected	_Z16sort_keys_kernelIxLj64ELj8EN10test_utils4lessELj10EEvPKT_PS2_T2_ ; -- Begin function _Z16sort_keys_kernelIxLj64ELj8EN10test_utils4lessELj10EEvPKT_PS2_T2_
	.globl	_Z16sort_keys_kernelIxLj64ELj8EN10test_utils4lessELj10EEvPKT_PS2_T2_
	.p2align	8
	.type	_Z16sort_keys_kernelIxLj64ELj8EN10test_utils4lessELj10EEvPKT_PS2_T2_,@function
_Z16sort_keys_kernelIxLj64ELj8EN10test_utils4lessELj10EEvPKT_PS2_T2_: ; @_Z16sort_keys_kernelIxLj64ELj8EN10test_utils4lessELj10EEvPKT_PS2_T2_
; %bb.0:
	s_load_b128 s[12:15], s[0:1], 0x0
	s_lshl_b32 s16, ttmp9, 9
	s_mov_b32 s17, 0
	v_lshlrev_b32_e32 v17, 3, v0
	s_lshl_b64 s[18:19], s[16:17], 3
	v_lshlrev_b32_e32 v41, 6, v0
	s_delay_alu instid0(VALU_DEP_2)
	v_and_b32_e32 v37, 0x1f0, v17
	v_and_b32_e32 v18, 8, v17
	;; [unrolled: 1-line block ×5, first 2 shown]
	v_or_b32_e32 v38, 8, v37
	v_add_nc_u32_e32 v39, 16, v37
	v_or_b32_e32 v42, 16, v40
	v_add_nc_u32_e32 v43, 32, v40
	;; [unrolled: 2-line block ×3, first 2 shown]
	v_sub_nc_u32_e32 v19, v39, v38
	s_wait_kmcnt 0x0
	s_add_nc_u64 s[0:1], s[12:13], s[18:19]
	v_sub_nc_u32_e32 v22, v42, v40
	s_clause 0x7
	global_load_b64 v[13:14], v17, s[0:1]
	global_load_b64 v[15:16], v17, s[0:1] offset:512
	global_load_b64 v[5:6], v17, s[0:1] offset:1024
	;; [unrolled: 1-line block ×7, first 2 shown]
	v_or_b32_e32 v56, 64, v54
	v_sub_nc_u32_e32 v20, v18, v19
	v_cmp_ge_i32_e32 vcc_lo, v18, v19
	v_and_b32_e32 v19, 24, v17
	v_add_nc_u32_e32 v57, 0x80, v54
	v_and_b32_e32 v59, 0x100, v17
	v_sub_nc_u32_e32 v23, v49, v47
	v_cndmask_b32_e32 v44, 0, v20, vcc_lo
	v_sub_nc_u32_e32 v21, v38, v37
	v_sub_nc_u32_e32 v20, v43, v42
	v_min_i32_e32 v52, v19, v22
	v_or_b32_e32 v62, 0x80, v59
	v_add_nc_u32_e32 v63, 0x100, v59
	v_min_i32_e32 v45, v18, v21
	v_sub_nc_u32_e32 v21, v19, v20
	v_cmp_ge_i32_e64 s0, v19, v20
	v_and_b32_e32 v20, 56, v17
	v_and_b32_e32 v25, 0xf8, v17
	v_sub_nc_u32_e32 v26, v63, v62
	v_sub_nc_u32_e32 v24, v56, v54
	v_cndmask_b32_e64 v51, 0, v21, s0
	v_sub_nc_u32_e32 v21, v50, v49
	v_min_i32_e32 v60, v20, v23
	v_cmp_ge_i32_e64 s3, v25, v26
	v_add_nc_u32_e32 v48, v38, v18
	v_add_nc_u32_e32 v55, v42, v19
	v_sub_nc_u32_e32 v22, v20, v21
	v_cmp_ge_i32_e64 s1, v20, v21
	v_and_b32_e32 v21, 0x78, v17
	v_add_nc_u32_e32 v66, v49, v20
	v_subrev_nc_u32_e64 v70, 0x100, v17 clamp
	v_min_i32_e32 v71, 0x100, v17
	s_wait_alu 0xf1ff
	v_cndmask_b32_e64 v58, 0, v22, s1
	v_sub_nc_u32_e32 v22, v57, v56
	v_min_i32_e32 v65, v21, v24
	v_add_nc_u32_e32 v72, v56, v21
	v_add_nc_u32_e32 v75, 0x100, v17
	v_lshlrev_b32_e32 v17, 3, v18
	v_sub_nc_u32_e32 v23, v21, v22
	v_cmp_ge_i32_e64 s2, v21, v22
	v_sub_nc_u32_e32 v22, v25, v26
	v_lshlrev_b32_e32 v18, 3, v19
	v_lshlrev_b32_e32 v19, 3, v20
	;; [unrolled: 1-line block ×3, first 2 shown]
	v_cndmask_b32_e64 v64, 0, v23, s2
	v_sub_nc_u32_e32 v23, v62, v59
	v_cndmask_b32_e64 v68, 0, v22, s3
	v_lshlrev_b32_e32 v21, 3, v25
	v_lshlrev_b32_e32 v46, 3, v37
	;; [unrolled: 1-line block ×3, first 2 shown]
	v_min_i32_e32 v69, v25, v23
	v_cmp_lt_i32_e64 s0, v51, v52
	v_lshlrev_b32_e32 v61, 3, v47
	v_cmp_lt_i32_e64 s1, v58, v60
	v_lshlrev_b32_e32 v67, 3, v54
	;; [unrolled: 2-line block ×3, first 2 shown]
	v_cmp_lt_i32_e64 s3, v68, v69
	v_add_nc_u32_e32 v74, v62, v25
	v_cmp_lt_i32_e64 s4, v70, v71
	v_lshl_add_u32 v76, v38, 3, v17
	v_lshl_add_u32 v77, v42, 3, v18
	;; [unrolled: 1-line block ×5, first 2 shown]
	v_add_nc_u32_e32 v81, 0x800, v41
	v_cmp_lt_i32_e32 vcc_lo, v44, v45
	s_branch .LBB128_2
.LBB128_1:                              ;   in Loop: Header=BB128_2 Depth=1
	s_or_b32 exec_lo, exec_lo, s12
	v_cndmask_b32_e64 v14, v2, v4, s5
	v_cndmask_b32_e64 v13, v1, v3, s5
	s_wait_dscnt 0x0
	v_cmp_lt_i64_e64 s5, v[35:36], v[33:34]
	v_cndmask_b32_e64 v16, v6, v8, s6
	v_cndmask_b32_e64 v15, v5, v7, s6
	v_cmp_le_i32_e64 s6, 0x100, v83
	v_cndmask_b32_e64 v6, v10, v12, s7
	v_cndmask_b32_e64 v5, v9, v11, s7
	v_cmp_gt_i32_e64 s7, 0x200, v82
	v_cndmask_b32_e64 v10, v18, v20, s8
	s_or_b32 s5, s6, s5
	v_cndmask_b32_e64 v9, v17, v19, s8
	v_cndmask_b32_e64 v2, v22, v24, s9
	s_wait_alu 0xfffe
	s_and_b32 s5, s7, s5
	v_cndmask_b32_e64 v1, v21, v23, s9
	v_cndmask_b32_e64 v12, v26, v28, s10
	;; [unrolled: 1-line block ×5, first 2 shown]
	s_wait_alu 0xfffe
	v_cndmask_b32_e64 v8, v34, v36, s5
	v_cndmask_b32_e64 v7, v33, v35, s5
	s_add_co_i32 s17, s17, 1
	s_delay_alu instid0(SALU_CYCLE_1)
	s_cmp_eq_u32 s17, 10
	s_cbranch_scc1 .LBB128_194
.LBB128_2:                              ; =>This Loop Header: Depth=1
                                        ;     Child Loop BB128_4 Depth 2
                                        ;     Child Loop BB128_36 Depth 2
	;; [unrolled: 1-line block ×6, first 2 shown]
	s_wait_loadcnt 0x6
	v_cmp_lt_i64_e64 s5, v[15:16], v[13:14]
	v_cmp_gt_i64_e64 s6, v[15:16], v[13:14]
	s_wait_loadcnt 0x4
	v_cmp_lt_i64_e64 s7, v[9:10], v[5:6]
	s_wait_loadcnt 0x0
	s_barrier_signal -1
	s_barrier_wait -1
	s_wait_alu 0xf1ff
	v_cndmask_b32_e64 v18, v14, v16, s5
	v_cndmask_b32_e64 v17, v13, v15, s5
	v_cndmask_b32_e64 v19, v15, v13, s5
	v_cndmask_b32_e64 v20, v16, v14, s5
	v_cmp_gt_i64_e64 s5, v[9:10], v[5:6]
	v_cndmask_b32_e64 v14, v14, v16, s6
	v_cndmask_b32_e64 v13, v13, v15, s6
	;; [unrolled: 1-line block ×5, first 2 shown]
	v_cmp_lt_i64_e64 s6, v[11:12], v[1:2]
	v_cndmask_b32_e64 v22, v10, v6, s7
	s_wait_alu 0xf1ff
	v_cndmask_b32_e64 v6, v6, v10, s5
	v_cndmask_b32_e64 v5, v5, v9, s5
	v_cmp_gt_i64_e64 s5, v[11:12], v[1:2]
	v_cmp_lt_i64_e64 s7, v[7:8], v[3:4]
	v_cndmask_b32_e64 v10, v2, v12, s6
	v_cndmask_b32_e64 v9, v1, v11, s6
	;; [unrolled: 1-line block ×4, first 2 shown]
	s_wait_alu 0xf1ff
	v_cndmask_b32_e64 v2, v2, v12, s5
	v_cndmask_b32_e64 v1, v1, v11, s5
	v_cmp_gt_i64_e64 s5, v[7:8], v[3:4]
	v_cndmask_b32_e64 v12, v4, v8, s7
	v_cndmask_b32_e64 v11, v3, v7, s7
	;; [unrolled: 1-line block ×4, first 2 shown]
	v_cmp_lt_i64_e64 s6, v[15:16], v[13:14]
	s_wait_alu 0xf1ff
	v_cndmask_b32_e64 v4, v4, v8, s5
	v_cndmask_b32_e64 v3, v3, v7, s5
	v_cmp_gt_i64_e64 s5, v[15:16], v[13:14]
	v_cmp_lt_i64_e64 s7, v[9:10], v[5:6]
	global_inv scope:SCOPE_SE
	v_cndmask_b32_e64 v27, v16, v14, s6
	v_cndmask_b32_e64 v28, v15, v13, s6
	;; [unrolled: 1-line block ×3, first 2 shown]
	s_wait_alu 0xf1ff
	v_cndmask_b32_e64 v8, v14, v16, s5
	v_cndmask_b32_e64 v7, v13, v15, s5
	v_cmp_gt_i64_e64 s5, v[9:10], v[5:6]
	v_cndmask_b32_e64 v19, v19, v15, s6
	v_cndmask_b32_e64 v29, v13, v15, s6
	;; [unrolled: 1-line block ×3, first 2 shown]
	v_cmp_lt_i64_e64 s6, v[11:12], v[1:2]
	v_cndmask_b32_e64 v31, v10, v6, s7
	s_wait_alu 0xf1ff
	v_cndmask_b32_e64 v14, v6, v10, s5
	v_cndmask_b32_e64 v13, v5, v9, s5
	v_cmp_gt_i64_e64 s5, v[11:12], v[1:2]
	v_cndmask_b32_e64 v32, v9, v5, s7
	v_cndmask_b32_e64 v6, v6, v10, s7
	;; [unrolled: 1-line block ×9, first 2 shown]
	v_cmp_lt_i64_e64 s7, v[15:16], v[17:18]
	s_wait_alu 0xf1ff
	v_cndmask_b32_e64 v35, v1, v11, s5
	v_cndmask_b32_e64 v36, v2, v12, s5
	;; [unrolled: 1-line block ×4, first 2 shown]
	v_cmp_lt_i64_e64 s5, v[5:6], v[7:8]
	v_cmp_gt_i64_e64 s6, v[5:6], v[7:8]
	v_cndmask_b32_e64 v12, v18, v30, s7
	v_cndmask_b32_e64 v11, v17, v29, s7
	;; [unrolled: 1-line block ×6, first 2 shown]
	s_wait_alu 0xf1ff
	v_cndmask_b32_e64 v21, v21, v7, s5
	v_cndmask_b32_e64 v22, v22, v8, s5
	;; [unrolled: 1-line block ×5, first 2 shown]
	v_cmp_lt_i64_e64 s7, v[9:10], v[13:14]
	v_cndmask_b32_e64 v17, v7, v5, s6
	v_cndmask_b32_e64 v6, v8, v6, s5
	;; [unrolled: 1-line block ×3, first 2 shown]
	v_cmp_gt_i64_e64 s5, v[9:10], v[13:14]
	v_cmp_gt_i64_e64 s6, v[1:2], v[3:4]
	s_wait_alu 0xf1ff
	v_cndmask_b32_e64 v29, v32, v9, s7
	v_cndmask_b32_e64 v30, v31, v10, s7
	;; [unrolled: 1-line block ×11, first 2 shown]
	v_cmp_lt_i64_e64 s5, v[5:6], v[15:16]
	v_cndmask_b32_e64 v9, v3, v35, s6
	v_cndmask_b32_e64 v4, v36, v4, s6
	;; [unrolled: 1-line block ×3, first 2 shown]
	v_cmp_gt_i64_e64 s6, v[5:6], v[15:16]
	v_cndmask_b32_e64 v23, v23, v13, s7
	v_cndmask_b32_e64 v24, v24, v14, s7
	s_wait_alu 0xf1ff
	v_cndmask_b32_e64 v27, v27, v16, s5
	v_cndmask_b32_e64 v28, v28, v15, s5
	;; [unrolled: 1-line block ×8, first 2 shown]
	v_cmp_gt_i64_e64 s5, v[7:8], v[17:18]
	v_cmp_lt_i64_e64 s7, v[7:8], v[17:18]
	v_cmp_lt_i64_e64 s6, v[3:4], v[1:2]
	s_wait_alu 0xf1ff
	s_delay_alu instid0(VALU_DEP_3)
	v_cndmask_b32_e64 v16, v18, v8, s5
	v_cndmask_b32_e64 v15, v17, v7, s5
	v_cmp_gt_i64_e64 s5, v[3:4], v[1:2]
	v_cndmask_b32_e64 v30, v30, v18, s7
	v_cndmask_b32_e64 v29, v29, v17, s7
	v_cndmask_b32_e64 v22, v22, v8, s7
	v_cndmask_b32_e64 v21, v21, v7, s7
	v_cndmask_b32_e64 v8, v18, v8, s7
	v_cndmask_b32_e64 v7, v17, v7, s7
	s_wait_alu 0xf1ff
	v_cndmask_b32_e64 v18, v2, v4, s5
	v_cmp_lt_i64_e64 s7, v[5:6], v[11:12]
	v_cndmask_b32_e64 v17, v1, v3, s5
	v_cmp_gt_i64_e64 s5, v[5:6], v[11:12]
	v_cndmask_b32_e64 v32, v32, v2, s6
	v_cndmask_b32_e64 v31, v31, v1, s6
	;; [unrolled: 1-line block ×6, first 2 shown]
	s_wait_alu 0xf1ff
	v_cndmask_b32_e64 v4, v12, v6, s7
	v_cndmask_b32_e64 v3, v11, v5, s7
	;; [unrolled: 1-line block ×4, first 2 shown]
	v_cmp_gt_i64_e64 s5, v[7:8], v[13:14]
	v_cndmask_b32_e64 v19, v19, v11, s7
	v_cndmask_b32_e64 v20, v20, v12, s7
	v_cmp_lt_i64_e64 s6, v[7:8], v[13:14]
	v_cmp_lt_i64_e64 s7, v[1:2], v[15:16]
	s_wait_alu 0xf1ff
	v_cndmask_b32_e64 v12, v14, v8, s5
	v_cndmask_b32_e64 v11, v13, v7, s5
	v_cmp_gt_i64_e64 s5, v[1:2], v[15:16]
	v_cndmask_b32_e64 v21, v21, v13, s6
	v_cndmask_b32_e64 v22, v22, v14, s6
	;; [unrolled: 1-line block ×6, first 2 shown]
	s_wait_alu 0xf1ff
	v_cndmask_b32_e64 v14, v16, v2, s5
	v_cndmask_b32_e64 v13, v15, v1, s5
	v_cmp_gt_i64_e64 s5, v[9:10], v[17:18]
	v_cndmask_b32_e64 v23, v23, v15, s7
	v_cndmask_b32_e64 v24, v24, v16, s7
	;; [unrolled: 1-line block ×4, first 2 shown]
	v_cmp_lt_i64_e64 s6, v[9:10], v[17:18]
	v_cndmask_b32_e64 v2, v16, v2, s7
	v_cndmask_b32_e64 v1, v15, v1, s7
	s_wait_alu 0xf1ff
	v_cndmask_b32_e64 v16, v18, v10, s5
	v_cndmask_b32_e64 v15, v17, v9, s5
	v_cmp_gt_i64_e64 s5, v[7:8], v[5:6]
	v_cndmask_b32_e64 v25, v25, v17, s6
	v_cndmask_b32_e64 v26, v26, v18, s6
	;; [unrolled: 1-line block ×4, first 2 shown]
	v_cmp_lt_i64_e64 s7, v[7:8], v[5:6]
	v_cndmask_b32_e64 v10, v18, v10, s6
	v_cndmask_b32_e64 v9, v17, v9, s6
	s_wait_alu 0xf1ff
	v_cndmask_b32_e64 v18, v6, v8, s5
	v_cmp_lt_i64_e64 s6, v[1:2], v[11:12]
	v_cndmask_b32_e64 v17, v5, v7, s5
	v_cmp_gt_i64_e64 s5, v[1:2], v[11:12]
	v_cndmask_b32_e64 v27, v27, v6, s7
	v_cndmask_b32_e64 v28, v28, v5, s7
	;; [unrolled: 1-line block ×6, first 2 shown]
	s_wait_alu 0xf1ff
	v_cndmask_b32_e64 v30, v30, v12, s6
	v_cndmask_b32_e64 v29, v29, v11, s6
	;; [unrolled: 1-line block ×5, first 2 shown]
	v_cmp_lt_i64_e64 s7, v[9:10], v[13:14]
	v_cndmask_b32_e64 v5, v11, v1, s5
	v_cndmask_b32_e64 v2, v12, v2, s6
	;; [unrolled: 1-line block ×3, first 2 shown]
	v_cmp_gt_i64_e64 s5, v[9:10], v[13:14]
	v_cmp_lt_i64_e64 s6, v[7:8], v[3:4]
	s_wait_alu 0xf1ff
	v_cndmask_b32_e64 v24, v24, v10, s7
	v_cndmask_b32_e64 v23, v23, v9, s7
	;; [unrolled: 1-line block ×9, first 2 shown]
	v_cmp_lt_i64_e64 s5, v[1:2], v[17:18]
	v_cndmask_b32_e64 v20, v20, v4, s6
	v_cndmask_b32_e64 v4, v34, v4, s6
	;; [unrolled: 1-line block ×3, first 2 shown]
	v_cmp_gt_i64_e64 s6, v[1:2], v[17:18]
	v_cndmask_b32_e64 v32, v32, v14, s7
	v_cndmask_b32_e64 v31, v31, v13, s7
	s_wait_alu 0xf1ff
	v_cndmask_b32_e64 v21, v21, v17, s5
	v_cndmask_b32_e64 v22, v22, v18, s5
	;; [unrolled: 1-line block ×5, first 2 shown]
	v_cmp_lt_i64_e64 s7, v[7:8], v[5:6]
	v_cndmask_b32_e64 v11, v17, v1, s6
	v_cndmask_b32_e64 v2, v18, v2, s5
	;; [unrolled: 1-line block ×3, first 2 shown]
	v_cmp_gt_i64_e64 s5, v[7:8], v[5:6]
	v_cmp_gt_i64_e64 s6, v[13:14], v[15:16]
	s_wait_alu 0xf1ff
	v_cndmask_b32_e64 v17, v23, v5, s7
	v_cndmask_b32_e64 v18, v24, v6, s7
	;; [unrolled: 1-line block ×8, first 2 shown]
	v_cmp_lt_i64_e64 s5, v[1:2], v[3:4]
	v_cndmask_b32_e64 v8, v26, v36, s6
	v_cndmask_b32_e64 v7, v25, v35, s6
	;; [unrolled: 1-line block ×6, first 2 shown]
	v_cmp_lt_i64_e64 s6, v[5:6], v[11:12]
	s_wait_alu 0xf1ff
	v_cndmask_b32_e64 v4, v27, v4, s5
	v_cndmask_b32_e64 v3, v28, v3, s5
	;; [unrolled: 1-line block ×4, first 2 shown]
	v_cmp_lt_i64_e64 s5, v[15:16], v[13:14]
	v_cndmask_b32_e64 v6, v22, v6, s6
	v_cndmask_b32_e64 v5, v21, v5, s6
	v_cndmask_b32_e64 v12, v24, v12, s6
	v_cndmask_b32_e64 v11, v23, v11, s6
	s_wait_alu 0xf1ff
	v_cndmask_b32_e64 v16, v18, v16, s5
	v_cndmask_b32_e64 v15, v17, v15, s5
	;; [unrolled: 1-line block ×4, first 2 shown]
	ds_store_2addr_b64 v41, v[9:10], v[1:2] offset1:1
	ds_store_2addr_b64 v41, v[3:4], v[5:6] offset0:2 offset1:3
	ds_store_2addr_b64 v41, v[11:12], v[15:16] offset0:4 offset1:5
	;; [unrolled: 1-line block ×3, first 2 shown]
	v_mov_b32_e32 v5, v44
	s_wait_loadcnt_dscnt 0x0
	s_barrier_signal -1
	s_barrier_wait -1
	global_inv scope:SCOPE_SE
	s_and_saveexec_b32 s6, vcc_lo
	s_cbranch_execz .LBB128_6
; %bb.3:                                ;   in Loop: Header=BB128_2 Depth=1
	v_mov_b32_e32 v5, v44
	v_mov_b32_e32 v1, v45
	s_mov_b32 s7, 0
.LBB128_4:                              ;   Parent Loop BB128_2 Depth=1
                                        ; =>  This Inner Loop Header: Depth=2
	s_delay_alu instid0(VALU_DEP_1) | instskip(NEXT) | instid1(VALU_DEP_1)
	v_sub_nc_u32_e32 v2, v1, v5
	v_lshrrev_b32_e32 v2, 1, v2
	s_delay_alu instid0(VALU_DEP_1) | instskip(NEXT) | instid1(VALU_DEP_1)
	v_add_nc_u32_e32 v4, v2, v5
	v_not_b32_e32 v2, v4
	v_lshl_add_u32 v3, v4, 3, v46
	s_delay_alu instid0(VALU_DEP_2)
	v_lshl_add_u32 v6, v2, 3, v76
	ds_load_b64 v[2:3], v3
	ds_load_b64 v[6:7], v6
	s_wait_dscnt 0x0
	v_cmp_lt_i64_e64 s5, v[6:7], v[2:3]
	v_add_nc_u32_e32 v2, 1, v4
	s_wait_alu 0xf1ff
	s_delay_alu instid0(VALU_DEP_2) | instskip(NEXT) | instid1(VALU_DEP_2)
	v_cndmask_b32_e64 v1, v1, v4, s5
	v_cndmask_b32_e64 v5, v2, v5, s5
	s_delay_alu instid0(VALU_DEP_1)
	v_cmp_ge_i32_e64 s5, v5, v1
	s_wait_alu 0xfffe
	s_or_b32 s7, s5, s7
	s_wait_alu 0xfffe
	s_and_not1_b32 exec_lo, exec_lo, s7
	s_cbranch_execnz .LBB128_4
; %bb.5:                                ;   in Loop: Header=BB128_2 Depth=1
	s_or_b32 exec_lo, exec_lo, s7
.LBB128_6:                              ;   in Loop: Header=BB128_2 Depth=1
	s_wait_alu 0xfffe
	s_or_b32 exec_lo, exec_lo, s6
	v_sub_nc_u32_e32 v9, v48, v5
	v_lshl_add_u32 v7, v5, 3, v46
	v_add_nc_u32_e32 v10, v5, v37
                                        ; implicit-def: $vgpr5_vgpr6
	s_delay_alu instid0(VALU_DEP_3) | instskip(SKIP_1) | instid1(VALU_DEP_3)
	v_lshlrev_b32_e32 v11, 3, v9
	v_cmp_gt_i32_e64 s7, v39, v9
	v_cmp_le_i32_e64 s6, v38, v10
	ds_load_b64 v[1:2], v7
	ds_load_b64 v[3:4], v11
	s_wait_dscnt 0x0
	v_cmp_lt_i64_e64 s5, v[3:4], v[1:2]
	s_or_b32 s5, s6, s5
	s_wait_alu 0xfffe
	s_and_b32 s5, s7, s5
	s_wait_alu 0xfffe
	s_xor_b32 s6, s5, -1
	s_wait_alu 0xfffe
	s_and_saveexec_b32 s7, s6
	s_wait_alu 0xfffe
	s_xor_b32 s6, exec_lo, s7
; %bb.7:                                ;   in Loop: Header=BB128_2 Depth=1
	ds_load_b64 v[5:6], v7 offset:8
                                        ; implicit-def: $vgpr11
; %bb.8:                                ;   in Loop: Header=BB128_2 Depth=1
	s_wait_alu 0xfffe
	s_or_saveexec_b32 s6, s6
	v_dual_mov_b32 v8, v4 :: v_dual_mov_b32 v7, v3
	s_wait_alu 0xfffe
	s_xor_b32 exec_lo, exec_lo, s6
	s_cbranch_execz .LBB128_10
; %bb.9:                                ;   in Loop: Header=BB128_2 Depth=1
	ds_load_b64 v[7:8], v11 offset:8
	s_wait_dscnt 0x1
	v_dual_mov_b32 v6, v2 :: v_dual_mov_b32 v5, v1
.LBB128_10:                             ;   in Loop: Header=BB128_2 Depth=1
	s_or_b32 exec_lo, exec_lo, s6
	v_add_nc_u32_e32 v11, 1, v10
	v_add_nc_u32_e32 v12, 1, v9
	s_wait_dscnt 0x0
	v_cmp_lt_i64_e64 s6, v[7:8], v[5:6]
	s_delay_alu instid0(VALU_DEP_3) | instskip(NEXT) | instid1(VALU_DEP_3)
	v_cndmask_b32_e64 v14, v11, v10, s5
	v_cndmask_b32_e64 v13, v9, v12, s5
                                        ; implicit-def: $vgpr9_vgpr10
	s_delay_alu instid0(VALU_DEP_2) | instskip(NEXT) | instid1(VALU_DEP_2)
	v_cmp_ge_i32_e64 s7, v14, v38
	v_cmp_lt_i32_e64 s8, v13, v39
	s_or_b32 s6, s7, s6
	s_wait_alu 0xfffe
	s_and_b32 s6, s8, s6
	s_wait_alu 0xfffe
	s_xor_b32 s7, s6, -1
	s_wait_alu 0xfffe
	s_and_saveexec_b32 s8, s7
	s_wait_alu 0xfffe
	s_xor_b32 s7, exec_lo, s8
; %bb.11:                               ;   in Loop: Header=BB128_2 Depth=1
	v_lshlrev_b32_e32 v9, 3, v14
	ds_load_b64 v[9:10], v9 offset:8
; %bb.12:                               ;   in Loop: Header=BB128_2 Depth=1
	s_wait_alu 0xfffe
	s_or_saveexec_b32 s7, s7
	v_dual_mov_b32 v12, v8 :: v_dual_mov_b32 v11, v7
	s_wait_alu 0xfffe
	s_xor_b32 exec_lo, exec_lo, s7
	s_cbranch_execz .LBB128_14
; %bb.13:                               ;   in Loop: Header=BB128_2 Depth=1
	s_wait_dscnt 0x0
	v_lshlrev_b32_e32 v9, 3, v13
	ds_load_b64 v[11:12], v9 offset:8
	v_dual_mov_b32 v10, v6 :: v_dual_mov_b32 v9, v5
.LBB128_14:                             ;   in Loop: Header=BB128_2 Depth=1
	s_or_b32 exec_lo, exec_lo, s7
	v_add_nc_u32_e32 v15, 1, v14
	v_add_nc_u32_e32 v16, 1, v13
	s_wait_dscnt 0x0
	v_cmp_lt_i64_e64 s7, v[11:12], v[9:10]
	s_delay_alu instid0(VALU_DEP_3) | instskip(NEXT) | instid1(VALU_DEP_3)
	v_cndmask_b32_e64 v18, v15, v14, s6
	v_cndmask_b32_e64 v17, v13, v16, s6
                                        ; implicit-def: $vgpr13_vgpr14
	s_delay_alu instid0(VALU_DEP_2) | instskip(NEXT) | instid1(VALU_DEP_2)
	v_cmp_ge_i32_e64 s8, v18, v38
	v_cmp_lt_i32_e64 s9, v17, v39
	s_or_b32 s7, s8, s7
	s_wait_alu 0xfffe
	s_and_b32 s7, s9, s7
	s_wait_alu 0xfffe
	s_xor_b32 s8, s7, -1
	s_wait_alu 0xfffe
	s_and_saveexec_b32 s9, s8
	s_wait_alu 0xfffe
	s_xor_b32 s8, exec_lo, s9
; %bb.15:                               ;   in Loop: Header=BB128_2 Depth=1
	v_lshlrev_b32_e32 v13, 3, v18
	ds_load_b64 v[13:14], v13 offset:8
; %bb.16:                               ;   in Loop: Header=BB128_2 Depth=1
	s_wait_alu 0xfffe
	s_or_saveexec_b32 s8, s8
	v_dual_mov_b32 v16, v12 :: v_dual_mov_b32 v15, v11
	s_wait_alu 0xfffe
	s_xor_b32 exec_lo, exec_lo, s8
	s_cbranch_execz .LBB128_18
; %bb.17:                               ;   in Loop: Header=BB128_2 Depth=1
	s_wait_dscnt 0x0
	v_lshlrev_b32_e32 v13, 3, v17
	ds_load_b64 v[15:16], v13 offset:8
	v_dual_mov_b32 v14, v10 :: v_dual_mov_b32 v13, v9
.LBB128_18:                             ;   in Loop: Header=BB128_2 Depth=1
	s_or_b32 exec_lo, exec_lo, s8
	v_add_nc_u32_e32 v19, 1, v18
	v_add_nc_u32_e32 v20, 1, v17
	s_wait_dscnt 0x0
	v_cmp_lt_i64_e64 s8, v[15:16], v[13:14]
	s_delay_alu instid0(VALU_DEP_3) | instskip(NEXT) | instid1(VALU_DEP_3)
	v_cndmask_b32_e64 v22, v19, v18, s7
	v_cndmask_b32_e64 v21, v17, v20, s7
                                        ; implicit-def: $vgpr17_vgpr18
	s_delay_alu instid0(VALU_DEP_2) | instskip(NEXT) | instid1(VALU_DEP_2)
	v_cmp_ge_i32_e64 s9, v22, v38
	v_cmp_lt_i32_e64 s10, v21, v39
	s_or_b32 s8, s9, s8
	s_wait_alu 0xfffe
	s_and_b32 s8, s10, s8
	s_wait_alu 0xfffe
	s_xor_b32 s9, s8, -1
	s_wait_alu 0xfffe
	s_and_saveexec_b32 s10, s9
	s_wait_alu 0xfffe
	s_xor_b32 s9, exec_lo, s10
; %bb.19:                               ;   in Loop: Header=BB128_2 Depth=1
	v_lshlrev_b32_e32 v17, 3, v22
	ds_load_b64 v[17:18], v17 offset:8
; %bb.20:                               ;   in Loop: Header=BB128_2 Depth=1
	s_wait_alu 0xfffe
	s_or_saveexec_b32 s9, s9
	v_dual_mov_b32 v20, v16 :: v_dual_mov_b32 v19, v15
	s_wait_alu 0xfffe
	s_xor_b32 exec_lo, exec_lo, s9
	s_cbranch_execz .LBB128_22
; %bb.21:                               ;   in Loop: Header=BB128_2 Depth=1
	s_wait_dscnt 0x0
	v_lshlrev_b32_e32 v17, 3, v21
	ds_load_b64 v[19:20], v17 offset:8
	v_dual_mov_b32 v18, v14 :: v_dual_mov_b32 v17, v13
.LBB128_22:                             ;   in Loop: Header=BB128_2 Depth=1
	s_or_b32 exec_lo, exec_lo, s9
	v_add_nc_u32_e32 v23, 1, v22
	v_add_nc_u32_e32 v24, 1, v21
	s_wait_dscnt 0x0
	v_cmp_lt_i64_e64 s9, v[19:20], v[17:18]
	s_delay_alu instid0(VALU_DEP_3) | instskip(NEXT) | instid1(VALU_DEP_3)
	v_cndmask_b32_e64 v26, v23, v22, s8
	v_cndmask_b32_e64 v25, v21, v24, s8
                                        ; implicit-def: $vgpr21_vgpr22
	s_delay_alu instid0(VALU_DEP_2) | instskip(NEXT) | instid1(VALU_DEP_2)
	v_cmp_ge_i32_e64 s10, v26, v38
	v_cmp_lt_i32_e64 s11, v25, v39
	s_or_b32 s9, s10, s9
	s_wait_alu 0xfffe
	s_and_b32 s9, s11, s9
	s_wait_alu 0xfffe
	s_xor_b32 s10, s9, -1
	s_wait_alu 0xfffe
	s_and_saveexec_b32 s11, s10
	s_wait_alu 0xfffe
	s_xor_b32 s10, exec_lo, s11
; %bb.23:                               ;   in Loop: Header=BB128_2 Depth=1
	v_lshlrev_b32_e32 v21, 3, v26
	ds_load_b64 v[21:22], v21 offset:8
; %bb.24:                               ;   in Loop: Header=BB128_2 Depth=1
	s_wait_alu 0xfffe
	s_or_saveexec_b32 s10, s10
	v_dual_mov_b32 v24, v20 :: v_dual_mov_b32 v23, v19
	s_wait_alu 0xfffe
	s_xor_b32 exec_lo, exec_lo, s10
	s_cbranch_execz .LBB128_26
; %bb.25:                               ;   in Loop: Header=BB128_2 Depth=1
	s_wait_dscnt 0x0
	v_lshlrev_b32_e32 v21, 3, v25
	ds_load_b64 v[23:24], v21 offset:8
	v_dual_mov_b32 v22, v18 :: v_dual_mov_b32 v21, v17
.LBB128_26:                             ;   in Loop: Header=BB128_2 Depth=1
	s_or_b32 exec_lo, exec_lo, s10
	v_add_nc_u32_e32 v27, 1, v26
	v_add_nc_u32_e32 v28, 1, v25
	s_wait_dscnt 0x0
	v_cmp_lt_i64_e64 s10, v[23:24], v[21:22]
	s_delay_alu instid0(VALU_DEP_3) | instskip(NEXT) | instid1(VALU_DEP_3)
	v_cndmask_b32_e64 v30, v27, v26, s9
	v_cndmask_b32_e64 v29, v25, v28, s9
                                        ; implicit-def: $vgpr25_vgpr26
	s_delay_alu instid0(VALU_DEP_2) | instskip(NEXT) | instid1(VALU_DEP_2)
	v_cmp_ge_i32_e64 s11, v30, v38
	v_cmp_lt_i32_e64 s12, v29, v39
	s_or_b32 s10, s11, s10
	s_wait_alu 0xfffe
	s_and_b32 s10, s12, s10
	s_wait_alu 0xfffe
	s_xor_b32 s11, s10, -1
	s_wait_alu 0xfffe
	s_and_saveexec_b32 s12, s11
	s_delay_alu instid0(SALU_CYCLE_1)
	s_xor_b32 s11, exec_lo, s12
; %bb.27:                               ;   in Loop: Header=BB128_2 Depth=1
	v_lshlrev_b32_e32 v25, 3, v30
	ds_load_b64 v[25:26], v25 offset:8
; %bb.28:                               ;   in Loop: Header=BB128_2 Depth=1
	s_wait_alu 0xfffe
	s_or_saveexec_b32 s11, s11
	v_dual_mov_b32 v28, v24 :: v_dual_mov_b32 v27, v23
	s_wait_alu 0xfffe
	s_xor_b32 exec_lo, exec_lo, s11
	s_cbranch_execz .LBB128_30
; %bb.29:                               ;   in Loop: Header=BB128_2 Depth=1
	s_wait_dscnt 0x0
	v_lshlrev_b32_e32 v25, 3, v29
	ds_load_b64 v[27:28], v25 offset:8
	v_dual_mov_b32 v26, v22 :: v_dual_mov_b32 v25, v21
.LBB128_30:                             ;   in Loop: Header=BB128_2 Depth=1
	s_or_b32 exec_lo, exec_lo, s11
	v_add_nc_u32_e32 v31, 1, v30
	v_add_nc_u32_e32 v32, 1, v29
	s_wait_dscnt 0x0
	v_cmp_lt_i64_e64 s11, v[27:28], v[25:26]
	s_delay_alu instid0(VALU_DEP_3) | instskip(NEXT) | instid1(VALU_DEP_3)
	v_cndmask_b32_e64 v33, v31, v30, s10
	v_cndmask_b32_e64 v34, v29, v32, s10
                                        ; implicit-def: $vgpr29_vgpr30
	s_delay_alu instid0(VALU_DEP_2) | instskip(NEXT) | instid1(VALU_DEP_2)
	v_cmp_ge_i32_e64 s12, v33, v38
	v_cmp_lt_i32_e64 s13, v34, v39
	s_or_b32 s11, s12, s11
	s_wait_alu 0xfffe
	s_and_b32 s11, s13, s11
	s_wait_alu 0xfffe
	s_xor_b32 s12, s11, -1
	s_delay_alu instid0(SALU_CYCLE_1) | instskip(NEXT) | instid1(SALU_CYCLE_1)
	s_and_saveexec_b32 s13, s12
	s_xor_b32 s12, exec_lo, s13
; %bb.31:                               ;   in Loop: Header=BB128_2 Depth=1
	v_lshlrev_b32_e32 v29, 3, v33
	ds_load_b64 v[29:30], v29 offset:8
; %bb.32:                               ;   in Loop: Header=BB128_2 Depth=1
	s_or_saveexec_b32 s12, s12
	v_dual_mov_b32 v32, v28 :: v_dual_mov_b32 v31, v27
	s_xor_b32 exec_lo, exec_lo, s12
	s_cbranch_execz .LBB128_34
; %bb.33:                               ;   in Loop: Header=BB128_2 Depth=1
	s_wait_dscnt 0x0
	v_lshlrev_b32_e32 v29, 3, v34
	ds_load_b64 v[31:32], v29 offset:8
	v_dual_mov_b32 v30, v26 :: v_dual_mov_b32 v29, v25
.LBB128_34:                             ;   in Loop: Header=BB128_2 Depth=1
	s_or_b32 exec_lo, exec_lo, s12
	v_add_nc_u32_e32 v36, 1, v33
	v_add_nc_u32_e32 v35, 1, v34
	v_cndmask_b32_e64 v26, v26, v28, s11
	v_cndmask_b32_e64 v25, v25, v27, s11
	;; [unrolled: 1-line block ×6, first 2 shown]
	s_wait_dscnt 0x0
	v_cmp_lt_i64_e64 s7, v[31:32], v[29:30]
	v_cndmask_b32_e64 v14, v14, v16, s8
	v_cndmask_b32_e64 v13, v13, v15, s8
	v_cmp_ge_i32_e64 s8, v28, v38
	v_cndmask_b32_e64 v18, v18, v20, s9
	v_cndmask_b32_e64 v17, v17, v19, s9
	v_cmp_lt_i32_e64 s9, v27, v39
	v_cndmask_b32_e64 v6, v6, v8, s6
	v_cndmask_b32_e64 v5, v5, v7, s6
	s_or_b32 s6, s8, s7
	v_cndmask_b32_e64 v2, v2, v4, s5
	v_cndmask_b32_e64 v1, v1, v3, s5
	s_wait_alu 0xfffe
	s_and_b32 s5, s9, s6
	v_cndmask_b32_e64 v22, v22, v24, s10
	v_cndmask_b32_e64 v21, v21, v23, s10
	s_wait_alu 0xfffe
	v_cndmask_b32_e64 v4, v30, v32, s5
	v_cndmask_b32_e64 v3, v29, v31, s5
	s_wait_loadcnt 0x0
	s_barrier_signal -1
	s_barrier_wait -1
	global_inv scope:SCOPE_SE
	ds_store_2addr_b64 v41, v[1:2], v[5:6] offset1:1
	ds_store_2addr_b64 v41, v[9:10], v[13:14] offset0:2 offset1:3
	ds_store_2addr_b64 v41, v[17:18], v[21:22] offset0:4 offset1:5
	;; [unrolled: 1-line block ×3, first 2 shown]
	v_mov_b32_e32 v5, v51
	s_wait_loadcnt_dscnt 0x0
	s_barrier_signal -1
	s_barrier_wait -1
	global_inv scope:SCOPE_SE
	s_and_saveexec_b32 s6, s0
	s_cbranch_execz .LBB128_38
; %bb.35:                               ;   in Loop: Header=BB128_2 Depth=1
	v_mov_b32_e32 v5, v51
	v_mov_b32_e32 v1, v52
	s_mov_b32 s7, 0
.LBB128_36:                             ;   Parent Loop BB128_2 Depth=1
                                        ; =>  This Inner Loop Header: Depth=2
	s_delay_alu instid0(VALU_DEP_1) | instskip(NEXT) | instid1(VALU_DEP_1)
	v_sub_nc_u32_e32 v2, v1, v5
	v_lshrrev_b32_e32 v2, 1, v2
	s_delay_alu instid0(VALU_DEP_1) | instskip(NEXT) | instid1(VALU_DEP_1)
	v_add_nc_u32_e32 v4, v2, v5
	v_not_b32_e32 v2, v4
	v_lshl_add_u32 v3, v4, 3, v53
	s_delay_alu instid0(VALU_DEP_2)
	v_lshl_add_u32 v6, v2, 3, v77
	ds_load_b64 v[2:3], v3
	ds_load_b64 v[6:7], v6
	s_wait_dscnt 0x0
	v_cmp_lt_i64_e64 s5, v[6:7], v[2:3]
	v_add_nc_u32_e32 v2, 1, v4
	s_wait_alu 0xf1ff
	s_delay_alu instid0(VALU_DEP_2) | instskip(NEXT) | instid1(VALU_DEP_2)
	v_cndmask_b32_e64 v1, v1, v4, s5
	v_cndmask_b32_e64 v5, v2, v5, s5
	s_delay_alu instid0(VALU_DEP_1)
	v_cmp_ge_i32_e64 s5, v5, v1
	s_wait_alu 0xfffe
	s_or_b32 s7, s5, s7
	s_wait_alu 0xfffe
	s_and_not1_b32 exec_lo, exec_lo, s7
	s_cbranch_execnz .LBB128_36
; %bb.37:                               ;   in Loop: Header=BB128_2 Depth=1
	s_or_b32 exec_lo, exec_lo, s7
.LBB128_38:                             ;   in Loop: Header=BB128_2 Depth=1
	s_wait_alu 0xfffe
	s_or_b32 exec_lo, exec_lo, s6
	v_sub_nc_u32_e32 v9, v55, v5
	v_lshl_add_u32 v7, v5, 3, v53
	v_add_nc_u32_e32 v10, v5, v40
                                        ; implicit-def: $vgpr5_vgpr6
	s_delay_alu instid0(VALU_DEP_3) | instskip(SKIP_1) | instid1(VALU_DEP_3)
	v_lshlrev_b32_e32 v11, 3, v9
	v_cmp_gt_i32_e64 s7, v43, v9
	v_cmp_le_i32_e64 s6, v42, v10
	ds_load_b64 v[1:2], v7
	ds_load_b64 v[3:4], v11
	s_wait_dscnt 0x0
	v_cmp_lt_i64_e64 s5, v[3:4], v[1:2]
	s_or_b32 s5, s6, s5
	s_wait_alu 0xfffe
	s_and_b32 s5, s7, s5
	s_wait_alu 0xfffe
	s_xor_b32 s6, s5, -1
	s_wait_alu 0xfffe
	s_and_saveexec_b32 s7, s6
	s_wait_alu 0xfffe
	s_xor_b32 s6, exec_lo, s7
; %bb.39:                               ;   in Loop: Header=BB128_2 Depth=1
	ds_load_b64 v[5:6], v7 offset:8
                                        ; implicit-def: $vgpr11
; %bb.40:                               ;   in Loop: Header=BB128_2 Depth=1
	s_wait_alu 0xfffe
	s_or_saveexec_b32 s6, s6
	v_dual_mov_b32 v8, v4 :: v_dual_mov_b32 v7, v3
	s_wait_alu 0xfffe
	s_xor_b32 exec_lo, exec_lo, s6
	s_cbranch_execz .LBB128_42
; %bb.41:                               ;   in Loop: Header=BB128_2 Depth=1
	ds_load_b64 v[7:8], v11 offset:8
	s_wait_dscnt 0x1
	v_dual_mov_b32 v6, v2 :: v_dual_mov_b32 v5, v1
.LBB128_42:                             ;   in Loop: Header=BB128_2 Depth=1
	s_or_b32 exec_lo, exec_lo, s6
	v_add_nc_u32_e32 v11, 1, v10
	v_add_nc_u32_e32 v12, 1, v9
	s_wait_dscnt 0x0
	v_cmp_lt_i64_e64 s6, v[7:8], v[5:6]
	s_delay_alu instid0(VALU_DEP_3) | instskip(NEXT) | instid1(VALU_DEP_3)
	v_cndmask_b32_e64 v14, v11, v10, s5
	v_cndmask_b32_e64 v13, v9, v12, s5
                                        ; implicit-def: $vgpr9_vgpr10
	s_delay_alu instid0(VALU_DEP_2) | instskip(NEXT) | instid1(VALU_DEP_2)
	v_cmp_ge_i32_e64 s7, v14, v42
	v_cmp_lt_i32_e64 s8, v13, v43
	s_or_b32 s6, s7, s6
	s_wait_alu 0xfffe
	s_and_b32 s6, s8, s6
	s_wait_alu 0xfffe
	s_xor_b32 s7, s6, -1
	s_wait_alu 0xfffe
	s_and_saveexec_b32 s8, s7
	s_wait_alu 0xfffe
	s_xor_b32 s7, exec_lo, s8
; %bb.43:                               ;   in Loop: Header=BB128_2 Depth=1
	v_lshlrev_b32_e32 v9, 3, v14
	ds_load_b64 v[9:10], v9 offset:8
; %bb.44:                               ;   in Loop: Header=BB128_2 Depth=1
	s_wait_alu 0xfffe
	s_or_saveexec_b32 s7, s7
	v_dual_mov_b32 v12, v8 :: v_dual_mov_b32 v11, v7
	s_wait_alu 0xfffe
	s_xor_b32 exec_lo, exec_lo, s7
	s_cbranch_execz .LBB128_46
; %bb.45:                               ;   in Loop: Header=BB128_2 Depth=1
	s_wait_dscnt 0x0
	v_lshlrev_b32_e32 v9, 3, v13
	ds_load_b64 v[11:12], v9 offset:8
	v_dual_mov_b32 v10, v6 :: v_dual_mov_b32 v9, v5
.LBB128_46:                             ;   in Loop: Header=BB128_2 Depth=1
	s_or_b32 exec_lo, exec_lo, s7
	v_add_nc_u32_e32 v15, 1, v14
	v_add_nc_u32_e32 v16, 1, v13
	s_wait_dscnt 0x0
	v_cmp_lt_i64_e64 s7, v[11:12], v[9:10]
	s_delay_alu instid0(VALU_DEP_3) | instskip(NEXT) | instid1(VALU_DEP_3)
	v_cndmask_b32_e64 v18, v15, v14, s6
	v_cndmask_b32_e64 v17, v13, v16, s6
                                        ; implicit-def: $vgpr13_vgpr14
	s_delay_alu instid0(VALU_DEP_2) | instskip(NEXT) | instid1(VALU_DEP_2)
	v_cmp_ge_i32_e64 s8, v18, v42
	v_cmp_lt_i32_e64 s9, v17, v43
	s_or_b32 s7, s8, s7
	s_wait_alu 0xfffe
	s_and_b32 s7, s9, s7
	s_wait_alu 0xfffe
	s_xor_b32 s8, s7, -1
	s_wait_alu 0xfffe
	s_and_saveexec_b32 s9, s8
	s_wait_alu 0xfffe
	s_xor_b32 s8, exec_lo, s9
; %bb.47:                               ;   in Loop: Header=BB128_2 Depth=1
	v_lshlrev_b32_e32 v13, 3, v18
	ds_load_b64 v[13:14], v13 offset:8
; %bb.48:                               ;   in Loop: Header=BB128_2 Depth=1
	s_wait_alu 0xfffe
	s_or_saveexec_b32 s8, s8
	v_dual_mov_b32 v16, v12 :: v_dual_mov_b32 v15, v11
	s_wait_alu 0xfffe
	s_xor_b32 exec_lo, exec_lo, s8
	s_cbranch_execz .LBB128_50
; %bb.49:                               ;   in Loop: Header=BB128_2 Depth=1
	s_wait_dscnt 0x0
	v_lshlrev_b32_e32 v13, 3, v17
	ds_load_b64 v[15:16], v13 offset:8
	v_dual_mov_b32 v14, v10 :: v_dual_mov_b32 v13, v9
.LBB128_50:                             ;   in Loop: Header=BB128_2 Depth=1
	s_or_b32 exec_lo, exec_lo, s8
	v_add_nc_u32_e32 v19, 1, v18
	v_add_nc_u32_e32 v20, 1, v17
	s_wait_dscnt 0x0
	v_cmp_lt_i64_e64 s8, v[15:16], v[13:14]
	s_delay_alu instid0(VALU_DEP_3) | instskip(NEXT) | instid1(VALU_DEP_3)
	v_cndmask_b32_e64 v22, v19, v18, s7
	v_cndmask_b32_e64 v21, v17, v20, s7
                                        ; implicit-def: $vgpr17_vgpr18
	s_delay_alu instid0(VALU_DEP_2) | instskip(NEXT) | instid1(VALU_DEP_2)
	v_cmp_ge_i32_e64 s9, v22, v42
	v_cmp_lt_i32_e64 s10, v21, v43
	s_or_b32 s8, s9, s8
	s_wait_alu 0xfffe
	s_and_b32 s8, s10, s8
	s_wait_alu 0xfffe
	s_xor_b32 s9, s8, -1
	s_wait_alu 0xfffe
	s_and_saveexec_b32 s10, s9
	s_wait_alu 0xfffe
	s_xor_b32 s9, exec_lo, s10
; %bb.51:                               ;   in Loop: Header=BB128_2 Depth=1
	v_lshlrev_b32_e32 v17, 3, v22
	ds_load_b64 v[17:18], v17 offset:8
; %bb.52:                               ;   in Loop: Header=BB128_2 Depth=1
	s_wait_alu 0xfffe
	s_or_saveexec_b32 s9, s9
	v_dual_mov_b32 v20, v16 :: v_dual_mov_b32 v19, v15
	s_wait_alu 0xfffe
	s_xor_b32 exec_lo, exec_lo, s9
	s_cbranch_execz .LBB128_54
; %bb.53:                               ;   in Loop: Header=BB128_2 Depth=1
	s_wait_dscnt 0x0
	v_lshlrev_b32_e32 v17, 3, v21
	ds_load_b64 v[19:20], v17 offset:8
	v_dual_mov_b32 v18, v14 :: v_dual_mov_b32 v17, v13
.LBB128_54:                             ;   in Loop: Header=BB128_2 Depth=1
	s_or_b32 exec_lo, exec_lo, s9
	v_add_nc_u32_e32 v23, 1, v22
	v_add_nc_u32_e32 v24, 1, v21
	s_wait_dscnt 0x0
	v_cmp_lt_i64_e64 s9, v[19:20], v[17:18]
	s_delay_alu instid0(VALU_DEP_3) | instskip(NEXT) | instid1(VALU_DEP_3)
	v_cndmask_b32_e64 v26, v23, v22, s8
	v_cndmask_b32_e64 v25, v21, v24, s8
                                        ; implicit-def: $vgpr21_vgpr22
	s_delay_alu instid0(VALU_DEP_2) | instskip(NEXT) | instid1(VALU_DEP_2)
	v_cmp_ge_i32_e64 s10, v26, v42
	v_cmp_lt_i32_e64 s11, v25, v43
	s_or_b32 s9, s10, s9
	s_wait_alu 0xfffe
	s_and_b32 s9, s11, s9
	s_wait_alu 0xfffe
	s_xor_b32 s10, s9, -1
	s_wait_alu 0xfffe
	s_and_saveexec_b32 s11, s10
	s_wait_alu 0xfffe
	s_xor_b32 s10, exec_lo, s11
; %bb.55:                               ;   in Loop: Header=BB128_2 Depth=1
	v_lshlrev_b32_e32 v21, 3, v26
	ds_load_b64 v[21:22], v21 offset:8
; %bb.56:                               ;   in Loop: Header=BB128_2 Depth=1
	s_wait_alu 0xfffe
	s_or_saveexec_b32 s10, s10
	v_dual_mov_b32 v24, v20 :: v_dual_mov_b32 v23, v19
	s_wait_alu 0xfffe
	s_xor_b32 exec_lo, exec_lo, s10
	s_cbranch_execz .LBB128_58
; %bb.57:                               ;   in Loop: Header=BB128_2 Depth=1
	s_wait_dscnt 0x0
	v_lshlrev_b32_e32 v21, 3, v25
	ds_load_b64 v[23:24], v21 offset:8
	v_dual_mov_b32 v22, v18 :: v_dual_mov_b32 v21, v17
.LBB128_58:                             ;   in Loop: Header=BB128_2 Depth=1
	s_or_b32 exec_lo, exec_lo, s10
	v_add_nc_u32_e32 v27, 1, v26
	v_add_nc_u32_e32 v28, 1, v25
	s_wait_dscnt 0x0
	v_cmp_lt_i64_e64 s10, v[23:24], v[21:22]
	s_delay_alu instid0(VALU_DEP_3) | instskip(NEXT) | instid1(VALU_DEP_3)
	v_cndmask_b32_e64 v30, v27, v26, s9
	v_cndmask_b32_e64 v29, v25, v28, s9
                                        ; implicit-def: $vgpr25_vgpr26
	s_delay_alu instid0(VALU_DEP_2) | instskip(NEXT) | instid1(VALU_DEP_2)
	v_cmp_ge_i32_e64 s11, v30, v42
	v_cmp_lt_i32_e64 s12, v29, v43
	s_or_b32 s10, s11, s10
	s_wait_alu 0xfffe
	s_and_b32 s10, s12, s10
	s_wait_alu 0xfffe
	s_xor_b32 s11, s10, -1
	s_wait_alu 0xfffe
	s_and_saveexec_b32 s12, s11
	s_delay_alu instid0(SALU_CYCLE_1)
	s_xor_b32 s11, exec_lo, s12
; %bb.59:                               ;   in Loop: Header=BB128_2 Depth=1
	v_lshlrev_b32_e32 v25, 3, v30
	ds_load_b64 v[25:26], v25 offset:8
; %bb.60:                               ;   in Loop: Header=BB128_2 Depth=1
	s_wait_alu 0xfffe
	s_or_saveexec_b32 s11, s11
	v_dual_mov_b32 v28, v24 :: v_dual_mov_b32 v27, v23
	s_wait_alu 0xfffe
	s_xor_b32 exec_lo, exec_lo, s11
	s_cbranch_execz .LBB128_62
; %bb.61:                               ;   in Loop: Header=BB128_2 Depth=1
	s_wait_dscnt 0x0
	v_lshlrev_b32_e32 v25, 3, v29
	ds_load_b64 v[27:28], v25 offset:8
	v_dual_mov_b32 v26, v22 :: v_dual_mov_b32 v25, v21
.LBB128_62:                             ;   in Loop: Header=BB128_2 Depth=1
	s_or_b32 exec_lo, exec_lo, s11
	v_add_nc_u32_e32 v31, 1, v30
	v_add_nc_u32_e32 v32, 1, v29
	s_wait_dscnt 0x0
	v_cmp_lt_i64_e64 s11, v[27:28], v[25:26]
	s_delay_alu instid0(VALU_DEP_3) | instskip(NEXT) | instid1(VALU_DEP_3)
	v_cndmask_b32_e64 v33, v31, v30, s10
	v_cndmask_b32_e64 v34, v29, v32, s10
                                        ; implicit-def: $vgpr29_vgpr30
	s_delay_alu instid0(VALU_DEP_2) | instskip(NEXT) | instid1(VALU_DEP_2)
	v_cmp_ge_i32_e64 s12, v33, v42
	v_cmp_lt_i32_e64 s13, v34, v43
	s_or_b32 s11, s12, s11
	s_wait_alu 0xfffe
	s_and_b32 s11, s13, s11
	s_wait_alu 0xfffe
	s_xor_b32 s12, s11, -1
	s_delay_alu instid0(SALU_CYCLE_1) | instskip(NEXT) | instid1(SALU_CYCLE_1)
	s_and_saveexec_b32 s13, s12
	s_xor_b32 s12, exec_lo, s13
; %bb.63:                               ;   in Loop: Header=BB128_2 Depth=1
	v_lshlrev_b32_e32 v29, 3, v33
	ds_load_b64 v[29:30], v29 offset:8
; %bb.64:                               ;   in Loop: Header=BB128_2 Depth=1
	s_or_saveexec_b32 s12, s12
	v_dual_mov_b32 v32, v28 :: v_dual_mov_b32 v31, v27
	s_xor_b32 exec_lo, exec_lo, s12
	s_cbranch_execz .LBB128_66
; %bb.65:                               ;   in Loop: Header=BB128_2 Depth=1
	s_wait_dscnt 0x0
	v_lshlrev_b32_e32 v29, 3, v34
	ds_load_b64 v[31:32], v29 offset:8
	v_dual_mov_b32 v30, v26 :: v_dual_mov_b32 v29, v25
.LBB128_66:                             ;   in Loop: Header=BB128_2 Depth=1
	s_or_b32 exec_lo, exec_lo, s12
	v_add_nc_u32_e32 v36, 1, v33
	v_add_nc_u32_e32 v35, 1, v34
	v_cndmask_b32_e64 v26, v26, v28, s11
	v_cndmask_b32_e64 v25, v25, v27, s11
	;; [unrolled: 1-line block ×6, first 2 shown]
	s_wait_dscnt 0x0
	v_cmp_lt_i64_e64 s7, v[31:32], v[29:30]
	v_cndmask_b32_e64 v14, v14, v16, s8
	v_cndmask_b32_e64 v13, v13, v15, s8
	v_cmp_ge_i32_e64 s8, v28, v42
	v_cndmask_b32_e64 v18, v18, v20, s9
	v_cndmask_b32_e64 v17, v17, v19, s9
	v_cmp_lt_i32_e64 s9, v27, v43
	v_cndmask_b32_e64 v6, v6, v8, s6
	v_cndmask_b32_e64 v5, v5, v7, s6
	s_or_b32 s6, s8, s7
	v_cndmask_b32_e64 v2, v2, v4, s5
	v_cndmask_b32_e64 v1, v1, v3, s5
	s_wait_alu 0xfffe
	s_and_b32 s5, s9, s6
	v_cndmask_b32_e64 v22, v22, v24, s10
	v_cndmask_b32_e64 v21, v21, v23, s10
	s_wait_alu 0xfffe
	v_cndmask_b32_e64 v4, v30, v32, s5
	v_cndmask_b32_e64 v3, v29, v31, s5
	s_wait_loadcnt 0x0
	s_barrier_signal -1
	s_barrier_wait -1
	global_inv scope:SCOPE_SE
	ds_store_2addr_b64 v41, v[1:2], v[5:6] offset1:1
	ds_store_2addr_b64 v41, v[9:10], v[13:14] offset0:2 offset1:3
	ds_store_2addr_b64 v41, v[17:18], v[21:22] offset0:4 offset1:5
	;; [unrolled: 1-line block ×3, first 2 shown]
	v_mov_b32_e32 v5, v58
	s_wait_loadcnt_dscnt 0x0
	s_barrier_signal -1
	s_barrier_wait -1
	global_inv scope:SCOPE_SE
	s_and_saveexec_b32 s6, s1
	s_cbranch_execz .LBB128_70
; %bb.67:                               ;   in Loop: Header=BB128_2 Depth=1
	v_mov_b32_e32 v5, v58
	v_mov_b32_e32 v1, v60
	s_mov_b32 s7, 0
.LBB128_68:                             ;   Parent Loop BB128_2 Depth=1
                                        ; =>  This Inner Loop Header: Depth=2
	s_delay_alu instid0(VALU_DEP_1) | instskip(NEXT) | instid1(VALU_DEP_1)
	v_sub_nc_u32_e32 v2, v1, v5
	v_lshrrev_b32_e32 v2, 1, v2
	s_delay_alu instid0(VALU_DEP_1) | instskip(NEXT) | instid1(VALU_DEP_1)
	v_add_nc_u32_e32 v4, v2, v5
	v_not_b32_e32 v2, v4
	v_lshl_add_u32 v3, v4, 3, v61
	s_delay_alu instid0(VALU_DEP_2)
	v_lshl_add_u32 v6, v2, 3, v78
	ds_load_b64 v[2:3], v3
	ds_load_b64 v[6:7], v6
	s_wait_dscnt 0x0
	v_cmp_lt_i64_e64 s5, v[6:7], v[2:3]
	v_add_nc_u32_e32 v2, 1, v4
	s_wait_alu 0xf1ff
	s_delay_alu instid0(VALU_DEP_2) | instskip(NEXT) | instid1(VALU_DEP_2)
	v_cndmask_b32_e64 v1, v1, v4, s5
	v_cndmask_b32_e64 v5, v2, v5, s5
	s_delay_alu instid0(VALU_DEP_1)
	v_cmp_ge_i32_e64 s5, v5, v1
	s_wait_alu 0xfffe
	s_or_b32 s7, s5, s7
	s_wait_alu 0xfffe
	s_and_not1_b32 exec_lo, exec_lo, s7
	s_cbranch_execnz .LBB128_68
; %bb.69:                               ;   in Loop: Header=BB128_2 Depth=1
	s_or_b32 exec_lo, exec_lo, s7
.LBB128_70:                             ;   in Loop: Header=BB128_2 Depth=1
	s_wait_alu 0xfffe
	s_or_b32 exec_lo, exec_lo, s6
	v_sub_nc_u32_e32 v9, v66, v5
	v_lshl_add_u32 v7, v5, 3, v61
	v_add_nc_u32_e32 v10, v5, v47
                                        ; implicit-def: $vgpr5_vgpr6
	s_delay_alu instid0(VALU_DEP_3) | instskip(SKIP_1) | instid1(VALU_DEP_3)
	v_lshlrev_b32_e32 v11, 3, v9
	v_cmp_gt_i32_e64 s7, v50, v9
	v_cmp_le_i32_e64 s6, v49, v10
	ds_load_b64 v[1:2], v7
	ds_load_b64 v[3:4], v11
	s_wait_dscnt 0x0
	v_cmp_lt_i64_e64 s5, v[3:4], v[1:2]
	s_or_b32 s5, s6, s5
	s_wait_alu 0xfffe
	s_and_b32 s5, s7, s5
	s_wait_alu 0xfffe
	s_xor_b32 s6, s5, -1
	s_wait_alu 0xfffe
	s_and_saveexec_b32 s7, s6
	s_wait_alu 0xfffe
	s_xor_b32 s6, exec_lo, s7
; %bb.71:                               ;   in Loop: Header=BB128_2 Depth=1
	ds_load_b64 v[5:6], v7 offset:8
                                        ; implicit-def: $vgpr11
; %bb.72:                               ;   in Loop: Header=BB128_2 Depth=1
	s_wait_alu 0xfffe
	s_or_saveexec_b32 s6, s6
	v_dual_mov_b32 v8, v4 :: v_dual_mov_b32 v7, v3
	s_wait_alu 0xfffe
	s_xor_b32 exec_lo, exec_lo, s6
	s_cbranch_execz .LBB128_74
; %bb.73:                               ;   in Loop: Header=BB128_2 Depth=1
	ds_load_b64 v[7:8], v11 offset:8
	s_wait_dscnt 0x1
	v_dual_mov_b32 v6, v2 :: v_dual_mov_b32 v5, v1
.LBB128_74:                             ;   in Loop: Header=BB128_2 Depth=1
	s_or_b32 exec_lo, exec_lo, s6
	v_add_nc_u32_e32 v11, 1, v10
	v_add_nc_u32_e32 v12, 1, v9
	s_wait_dscnt 0x0
	v_cmp_lt_i64_e64 s6, v[7:8], v[5:6]
	s_delay_alu instid0(VALU_DEP_3) | instskip(NEXT) | instid1(VALU_DEP_3)
	v_cndmask_b32_e64 v14, v11, v10, s5
	v_cndmask_b32_e64 v13, v9, v12, s5
                                        ; implicit-def: $vgpr9_vgpr10
	s_delay_alu instid0(VALU_DEP_2) | instskip(NEXT) | instid1(VALU_DEP_2)
	v_cmp_ge_i32_e64 s7, v14, v49
	v_cmp_lt_i32_e64 s8, v13, v50
	s_or_b32 s6, s7, s6
	s_wait_alu 0xfffe
	s_and_b32 s6, s8, s6
	s_wait_alu 0xfffe
	s_xor_b32 s7, s6, -1
	s_wait_alu 0xfffe
	s_and_saveexec_b32 s8, s7
	s_wait_alu 0xfffe
	s_xor_b32 s7, exec_lo, s8
; %bb.75:                               ;   in Loop: Header=BB128_2 Depth=1
	v_lshlrev_b32_e32 v9, 3, v14
	ds_load_b64 v[9:10], v9 offset:8
; %bb.76:                               ;   in Loop: Header=BB128_2 Depth=1
	s_wait_alu 0xfffe
	s_or_saveexec_b32 s7, s7
	v_dual_mov_b32 v12, v8 :: v_dual_mov_b32 v11, v7
	s_wait_alu 0xfffe
	s_xor_b32 exec_lo, exec_lo, s7
	s_cbranch_execz .LBB128_78
; %bb.77:                               ;   in Loop: Header=BB128_2 Depth=1
	s_wait_dscnt 0x0
	v_lshlrev_b32_e32 v9, 3, v13
	ds_load_b64 v[11:12], v9 offset:8
	v_dual_mov_b32 v10, v6 :: v_dual_mov_b32 v9, v5
.LBB128_78:                             ;   in Loop: Header=BB128_2 Depth=1
	s_or_b32 exec_lo, exec_lo, s7
	v_add_nc_u32_e32 v15, 1, v14
	v_add_nc_u32_e32 v16, 1, v13
	s_wait_dscnt 0x0
	v_cmp_lt_i64_e64 s7, v[11:12], v[9:10]
	s_delay_alu instid0(VALU_DEP_3) | instskip(NEXT) | instid1(VALU_DEP_3)
	v_cndmask_b32_e64 v18, v15, v14, s6
	v_cndmask_b32_e64 v17, v13, v16, s6
                                        ; implicit-def: $vgpr13_vgpr14
	s_delay_alu instid0(VALU_DEP_2) | instskip(NEXT) | instid1(VALU_DEP_2)
	v_cmp_ge_i32_e64 s8, v18, v49
	v_cmp_lt_i32_e64 s9, v17, v50
	s_or_b32 s7, s8, s7
	s_wait_alu 0xfffe
	s_and_b32 s7, s9, s7
	s_wait_alu 0xfffe
	s_xor_b32 s8, s7, -1
	s_wait_alu 0xfffe
	s_and_saveexec_b32 s9, s8
	s_wait_alu 0xfffe
	s_xor_b32 s8, exec_lo, s9
; %bb.79:                               ;   in Loop: Header=BB128_2 Depth=1
	v_lshlrev_b32_e32 v13, 3, v18
	ds_load_b64 v[13:14], v13 offset:8
; %bb.80:                               ;   in Loop: Header=BB128_2 Depth=1
	s_wait_alu 0xfffe
	s_or_saveexec_b32 s8, s8
	v_dual_mov_b32 v16, v12 :: v_dual_mov_b32 v15, v11
	s_wait_alu 0xfffe
	s_xor_b32 exec_lo, exec_lo, s8
	s_cbranch_execz .LBB128_82
; %bb.81:                               ;   in Loop: Header=BB128_2 Depth=1
	s_wait_dscnt 0x0
	v_lshlrev_b32_e32 v13, 3, v17
	ds_load_b64 v[15:16], v13 offset:8
	v_dual_mov_b32 v14, v10 :: v_dual_mov_b32 v13, v9
.LBB128_82:                             ;   in Loop: Header=BB128_2 Depth=1
	s_or_b32 exec_lo, exec_lo, s8
	v_add_nc_u32_e32 v19, 1, v18
	v_add_nc_u32_e32 v20, 1, v17
	s_wait_dscnt 0x0
	v_cmp_lt_i64_e64 s8, v[15:16], v[13:14]
	s_delay_alu instid0(VALU_DEP_3) | instskip(NEXT) | instid1(VALU_DEP_3)
	v_cndmask_b32_e64 v22, v19, v18, s7
	v_cndmask_b32_e64 v21, v17, v20, s7
                                        ; implicit-def: $vgpr17_vgpr18
	s_delay_alu instid0(VALU_DEP_2) | instskip(NEXT) | instid1(VALU_DEP_2)
	v_cmp_ge_i32_e64 s9, v22, v49
	v_cmp_lt_i32_e64 s10, v21, v50
	s_or_b32 s8, s9, s8
	s_wait_alu 0xfffe
	s_and_b32 s8, s10, s8
	s_wait_alu 0xfffe
	s_xor_b32 s9, s8, -1
	s_wait_alu 0xfffe
	s_and_saveexec_b32 s10, s9
	s_wait_alu 0xfffe
	s_xor_b32 s9, exec_lo, s10
; %bb.83:                               ;   in Loop: Header=BB128_2 Depth=1
	v_lshlrev_b32_e32 v17, 3, v22
	ds_load_b64 v[17:18], v17 offset:8
; %bb.84:                               ;   in Loop: Header=BB128_2 Depth=1
	s_wait_alu 0xfffe
	s_or_saveexec_b32 s9, s9
	v_dual_mov_b32 v20, v16 :: v_dual_mov_b32 v19, v15
	s_wait_alu 0xfffe
	s_xor_b32 exec_lo, exec_lo, s9
	s_cbranch_execz .LBB128_86
; %bb.85:                               ;   in Loop: Header=BB128_2 Depth=1
	s_wait_dscnt 0x0
	v_lshlrev_b32_e32 v17, 3, v21
	ds_load_b64 v[19:20], v17 offset:8
	v_dual_mov_b32 v18, v14 :: v_dual_mov_b32 v17, v13
.LBB128_86:                             ;   in Loop: Header=BB128_2 Depth=1
	s_or_b32 exec_lo, exec_lo, s9
	v_add_nc_u32_e32 v23, 1, v22
	v_add_nc_u32_e32 v24, 1, v21
	s_wait_dscnt 0x0
	v_cmp_lt_i64_e64 s9, v[19:20], v[17:18]
	s_delay_alu instid0(VALU_DEP_3) | instskip(NEXT) | instid1(VALU_DEP_3)
	v_cndmask_b32_e64 v26, v23, v22, s8
	v_cndmask_b32_e64 v25, v21, v24, s8
                                        ; implicit-def: $vgpr21_vgpr22
	s_delay_alu instid0(VALU_DEP_2) | instskip(NEXT) | instid1(VALU_DEP_2)
	v_cmp_ge_i32_e64 s10, v26, v49
	v_cmp_lt_i32_e64 s11, v25, v50
	s_or_b32 s9, s10, s9
	s_wait_alu 0xfffe
	s_and_b32 s9, s11, s9
	s_wait_alu 0xfffe
	s_xor_b32 s10, s9, -1
	s_wait_alu 0xfffe
	s_and_saveexec_b32 s11, s10
	s_wait_alu 0xfffe
	s_xor_b32 s10, exec_lo, s11
; %bb.87:                               ;   in Loop: Header=BB128_2 Depth=1
	v_lshlrev_b32_e32 v21, 3, v26
	ds_load_b64 v[21:22], v21 offset:8
; %bb.88:                               ;   in Loop: Header=BB128_2 Depth=1
	s_wait_alu 0xfffe
	s_or_saveexec_b32 s10, s10
	v_dual_mov_b32 v24, v20 :: v_dual_mov_b32 v23, v19
	s_wait_alu 0xfffe
	s_xor_b32 exec_lo, exec_lo, s10
	s_cbranch_execz .LBB128_90
; %bb.89:                               ;   in Loop: Header=BB128_2 Depth=1
	s_wait_dscnt 0x0
	v_lshlrev_b32_e32 v21, 3, v25
	ds_load_b64 v[23:24], v21 offset:8
	v_dual_mov_b32 v22, v18 :: v_dual_mov_b32 v21, v17
.LBB128_90:                             ;   in Loop: Header=BB128_2 Depth=1
	s_or_b32 exec_lo, exec_lo, s10
	v_add_nc_u32_e32 v27, 1, v26
	v_add_nc_u32_e32 v28, 1, v25
	s_wait_dscnt 0x0
	v_cmp_lt_i64_e64 s10, v[23:24], v[21:22]
	s_delay_alu instid0(VALU_DEP_3) | instskip(NEXT) | instid1(VALU_DEP_3)
	v_cndmask_b32_e64 v30, v27, v26, s9
	v_cndmask_b32_e64 v29, v25, v28, s9
                                        ; implicit-def: $vgpr25_vgpr26
	s_delay_alu instid0(VALU_DEP_2) | instskip(NEXT) | instid1(VALU_DEP_2)
	v_cmp_ge_i32_e64 s11, v30, v49
	v_cmp_lt_i32_e64 s12, v29, v50
	s_or_b32 s10, s11, s10
	s_wait_alu 0xfffe
	s_and_b32 s10, s12, s10
	s_wait_alu 0xfffe
	s_xor_b32 s11, s10, -1
	s_wait_alu 0xfffe
	s_and_saveexec_b32 s12, s11
	s_delay_alu instid0(SALU_CYCLE_1)
	s_xor_b32 s11, exec_lo, s12
; %bb.91:                               ;   in Loop: Header=BB128_2 Depth=1
	v_lshlrev_b32_e32 v25, 3, v30
	ds_load_b64 v[25:26], v25 offset:8
; %bb.92:                               ;   in Loop: Header=BB128_2 Depth=1
	s_wait_alu 0xfffe
	s_or_saveexec_b32 s11, s11
	v_dual_mov_b32 v28, v24 :: v_dual_mov_b32 v27, v23
	s_wait_alu 0xfffe
	s_xor_b32 exec_lo, exec_lo, s11
	s_cbranch_execz .LBB128_94
; %bb.93:                               ;   in Loop: Header=BB128_2 Depth=1
	s_wait_dscnt 0x0
	v_lshlrev_b32_e32 v25, 3, v29
	ds_load_b64 v[27:28], v25 offset:8
	v_dual_mov_b32 v26, v22 :: v_dual_mov_b32 v25, v21
.LBB128_94:                             ;   in Loop: Header=BB128_2 Depth=1
	s_or_b32 exec_lo, exec_lo, s11
	v_add_nc_u32_e32 v31, 1, v30
	v_add_nc_u32_e32 v32, 1, v29
	s_wait_dscnt 0x0
	v_cmp_lt_i64_e64 s11, v[27:28], v[25:26]
	s_delay_alu instid0(VALU_DEP_3) | instskip(NEXT) | instid1(VALU_DEP_3)
	v_cndmask_b32_e64 v33, v31, v30, s10
	v_cndmask_b32_e64 v34, v29, v32, s10
                                        ; implicit-def: $vgpr29_vgpr30
	s_delay_alu instid0(VALU_DEP_2) | instskip(NEXT) | instid1(VALU_DEP_2)
	v_cmp_ge_i32_e64 s12, v33, v49
	v_cmp_lt_i32_e64 s13, v34, v50
	s_or_b32 s11, s12, s11
	s_wait_alu 0xfffe
	s_and_b32 s11, s13, s11
	s_wait_alu 0xfffe
	s_xor_b32 s12, s11, -1
	s_delay_alu instid0(SALU_CYCLE_1) | instskip(NEXT) | instid1(SALU_CYCLE_1)
	s_and_saveexec_b32 s13, s12
	s_xor_b32 s12, exec_lo, s13
; %bb.95:                               ;   in Loop: Header=BB128_2 Depth=1
	v_lshlrev_b32_e32 v29, 3, v33
	ds_load_b64 v[29:30], v29 offset:8
; %bb.96:                               ;   in Loop: Header=BB128_2 Depth=1
	s_or_saveexec_b32 s12, s12
	v_dual_mov_b32 v32, v28 :: v_dual_mov_b32 v31, v27
	s_xor_b32 exec_lo, exec_lo, s12
	s_cbranch_execz .LBB128_98
; %bb.97:                               ;   in Loop: Header=BB128_2 Depth=1
	s_wait_dscnt 0x0
	v_lshlrev_b32_e32 v29, 3, v34
	ds_load_b64 v[31:32], v29 offset:8
	v_dual_mov_b32 v30, v26 :: v_dual_mov_b32 v29, v25
.LBB128_98:                             ;   in Loop: Header=BB128_2 Depth=1
	s_or_b32 exec_lo, exec_lo, s12
	v_add_nc_u32_e32 v36, 1, v33
	v_add_nc_u32_e32 v35, 1, v34
	v_cndmask_b32_e64 v26, v26, v28, s11
	v_cndmask_b32_e64 v25, v25, v27, s11
	;; [unrolled: 1-line block ×6, first 2 shown]
	s_wait_dscnt 0x0
	v_cmp_lt_i64_e64 s7, v[31:32], v[29:30]
	v_cndmask_b32_e64 v14, v14, v16, s8
	v_cndmask_b32_e64 v13, v13, v15, s8
	v_cmp_ge_i32_e64 s8, v28, v49
	v_cndmask_b32_e64 v18, v18, v20, s9
	v_cndmask_b32_e64 v17, v17, v19, s9
	v_cmp_lt_i32_e64 s9, v27, v50
	v_cndmask_b32_e64 v6, v6, v8, s6
	v_cndmask_b32_e64 v5, v5, v7, s6
	s_or_b32 s6, s8, s7
	v_cndmask_b32_e64 v2, v2, v4, s5
	v_cndmask_b32_e64 v1, v1, v3, s5
	s_wait_alu 0xfffe
	s_and_b32 s5, s9, s6
	v_cndmask_b32_e64 v22, v22, v24, s10
	v_cndmask_b32_e64 v21, v21, v23, s10
	s_wait_alu 0xfffe
	v_cndmask_b32_e64 v4, v30, v32, s5
	v_cndmask_b32_e64 v3, v29, v31, s5
	s_wait_loadcnt 0x0
	s_barrier_signal -1
	s_barrier_wait -1
	global_inv scope:SCOPE_SE
	ds_store_2addr_b64 v41, v[1:2], v[5:6] offset1:1
	ds_store_2addr_b64 v41, v[9:10], v[13:14] offset0:2 offset1:3
	ds_store_2addr_b64 v41, v[17:18], v[21:22] offset0:4 offset1:5
	;; [unrolled: 1-line block ×3, first 2 shown]
	v_mov_b32_e32 v5, v64
	s_wait_loadcnt_dscnt 0x0
	s_barrier_signal -1
	s_barrier_wait -1
	global_inv scope:SCOPE_SE
	s_and_saveexec_b32 s6, s2
	s_cbranch_execz .LBB128_102
; %bb.99:                               ;   in Loop: Header=BB128_2 Depth=1
	v_mov_b32_e32 v5, v64
	v_mov_b32_e32 v1, v65
	s_mov_b32 s7, 0
.LBB128_100:                            ;   Parent Loop BB128_2 Depth=1
                                        ; =>  This Inner Loop Header: Depth=2
	s_delay_alu instid0(VALU_DEP_1) | instskip(NEXT) | instid1(VALU_DEP_1)
	v_sub_nc_u32_e32 v2, v1, v5
	v_lshrrev_b32_e32 v2, 1, v2
	s_delay_alu instid0(VALU_DEP_1) | instskip(NEXT) | instid1(VALU_DEP_1)
	v_add_nc_u32_e32 v4, v2, v5
	v_not_b32_e32 v2, v4
	v_lshl_add_u32 v3, v4, 3, v67
	s_delay_alu instid0(VALU_DEP_2)
	v_lshl_add_u32 v6, v2, 3, v79
	ds_load_b64 v[2:3], v3
	ds_load_b64 v[6:7], v6
	s_wait_dscnt 0x0
	v_cmp_lt_i64_e64 s5, v[6:7], v[2:3]
	v_add_nc_u32_e32 v2, 1, v4
	s_wait_alu 0xf1ff
	s_delay_alu instid0(VALU_DEP_2) | instskip(NEXT) | instid1(VALU_DEP_2)
	v_cndmask_b32_e64 v1, v1, v4, s5
	v_cndmask_b32_e64 v5, v2, v5, s5
	s_delay_alu instid0(VALU_DEP_1)
	v_cmp_ge_i32_e64 s5, v5, v1
	s_wait_alu 0xfffe
	s_or_b32 s7, s5, s7
	s_wait_alu 0xfffe
	s_and_not1_b32 exec_lo, exec_lo, s7
	s_cbranch_execnz .LBB128_100
; %bb.101:                              ;   in Loop: Header=BB128_2 Depth=1
	s_or_b32 exec_lo, exec_lo, s7
.LBB128_102:                            ;   in Loop: Header=BB128_2 Depth=1
	s_wait_alu 0xfffe
	s_or_b32 exec_lo, exec_lo, s6
	v_sub_nc_u32_e32 v9, v72, v5
	v_lshl_add_u32 v7, v5, 3, v67
	v_add_nc_u32_e32 v10, v5, v54
                                        ; implicit-def: $vgpr5_vgpr6
	s_delay_alu instid0(VALU_DEP_3) | instskip(SKIP_1) | instid1(VALU_DEP_3)
	v_lshlrev_b32_e32 v11, 3, v9
	v_cmp_gt_i32_e64 s7, v57, v9
	v_cmp_le_i32_e64 s6, v56, v10
	ds_load_b64 v[1:2], v7
	ds_load_b64 v[3:4], v11
	s_wait_dscnt 0x0
	v_cmp_lt_i64_e64 s5, v[3:4], v[1:2]
	s_or_b32 s5, s6, s5
	s_wait_alu 0xfffe
	s_and_b32 s5, s7, s5
	s_wait_alu 0xfffe
	s_xor_b32 s6, s5, -1
	s_wait_alu 0xfffe
	s_and_saveexec_b32 s7, s6
	s_wait_alu 0xfffe
	s_xor_b32 s6, exec_lo, s7
; %bb.103:                              ;   in Loop: Header=BB128_2 Depth=1
	ds_load_b64 v[5:6], v7 offset:8
                                        ; implicit-def: $vgpr11
; %bb.104:                              ;   in Loop: Header=BB128_2 Depth=1
	s_wait_alu 0xfffe
	s_or_saveexec_b32 s6, s6
	v_dual_mov_b32 v8, v4 :: v_dual_mov_b32 v7, v3
	s_wait_alu 0xfffe
	s_xor_b32 exec_lo, exec_lo, s6
	s_cbranch_execz .LBB128_106
; %bb.105:                              ;   in Loop: Header=BB128_2 Depth=1
	ds_load_b64 v[7:8], v11 offset:8
	s_wait_dscnt 0x1
	v_dual_mov_b32 v6, v2 :: v_dual_mov_b32 v5, v1
.LBB128_106:                            ;   in Loop: Header=BB128_2 Depth=1
	s_or_b32 exec_lo, exec_lo, s6
	v_add_nc_u32_e32 v11, 1, v10
	v_add_nc_u32_e32 v12, 1, v9
	s_wait_dscnt 0x0
	v_cmp_lt_i64_e64 s6, v[7:8], v[5:6]
	s_delay_alu instid0(VALU_DEP_3) | instskip(NEXT) | instid1(VALU_DEP_3)
	v_cndmask_b32_e64 v14, v11, v10, s5
	v_cndmask_b32_e64 v13, v9, v12, s5
                                        ; implicit-def: $vgpr9_vgpr10
	s_delay_alu instid0(VALU_DEP_2) | instskip(NEXT) | instid1(VALU_DEP_2)
	v_cmp_ge_i32_e64 s7, v14, v56
	v_cmp_lt_i32_e64 s8, v13, v57
	s_or_b32 s6, s7, s6
	s_wait_alu 0xfffe
	s_and_b32 s6, s8, s6
	s_wait_alu 0xfffe
	s_xor_b32 s7, s6, -1
	s_wait_alu 0xfffe
	s_and_saveexec_b32 s8, s7
	s_wait_alu 0xfffe
	s_xor_b32 s7, exec_lo, s8
; %bb.107:                              ;   in Loop: Header=BB128_2 Depth=1
	v_lshlrev_b32_e32 v9, 3, v14
	ds_load_b64 v[9:10], v9 offset:8
; %bb.108:                              ;   in Loop: Header=BB128_2 Depth=1
	s_wait_alu 0xfffe
	s_or_saveexec_b32 s7, s7
	v_dual_mov_b32 v12, v8 :: v_dual_mov_b32 v11, v7
	s_wait_alu 0xfffe
	s_xor_b32 exec_lo, exec_lo, s7
	s_cbranch_execz .LBB128_110
; %bb.109:                              ;   in Loop: Header=BB128_2 Depth=1
	s_wait_dscnt 0x0
	v_lshlrev_b32_e32 v9, 3, v13
	ds_load_b64 v[11:12], v9 offset:8
	v_dual_mov_b32 v10, v6 :: v_dual_mov_b32 v9, v5
.LBB128_110:                            ;   in Loop: Header=BB128_2 Depth=1
	s_or_b32 exec_lo, exec_lo, s7
	v_add_nc_u32_e32 v15, 1, v14
	v_add_nc_u32_e32 v16, 1, v13
	s_wait_dscnt 0x0
	v_cmp_lt_i64_e64 s7, v[11:12], v[9:10]
	s_delay_alu instid0(VALU_DEP_3) | instskip(NEXT) | instid1(VALU_DEP_3)
	v_cndmask_b32_e64 v18, v15, v14, s6
	v_cndmask_b32_e64 v17, v13, v16, s6
                                        ; implicit-def: $vgpr13_vgpr14
	s_delay_alu instid0(VALU_DEP_2) | instskip(NEXT) | instid1(VALU_DEP_2)
	v_cmp_ge_i32_e64 s8, v18, v56
	v_cmp_lt_i32_e64 s9, v17, v57
	s_or_b32 s7, s8, s7
	s_wait_alu 0xfffe
	s_and_b32 s7, s9, s7
	s_wait_alu 0xfffe
	s_xor_b32 s8, s7, -1
	s_wait_alu 0xfffe
	s_and_saveexec_b32 s9, s8
	s_wait_alu 0xfffe
	s_xor_b32 s8, exec_lo, s9
; %bb.111:                              ;   in Loop: Header=BB128_2 Depth=1
	v_lshlrev_b32_e32 v13, 3, v18
	ds_load_b64 v[13:14], v13 offset:8
; %bb.112:                              ;   in Loop: Header=BB128_2 Depth=1
	s_wait_alu 0xfffe
	s_or_saveexec_b32 s8, s8
	v_dual_mov_b32 v16, v12 :: v_dual_mov_b32 v15, v11
	s_wait_alu 0xfffe
	s_xor_b32 exec_lo, exec_lo, s8
	s_cbranch_execz .LBB128_114
; %bb.113:                              ;   in Loop: Header=BB128_2 Depth=1
	s_wait_dscnt 0x0
	v_lshlrev_b32_e32 v13, 3, v17
	ds_load_b64 v[15:16], v13 offset:8
	v_dual_mov_b32 v14, v10 :: v_dual_mov_b32 v13, v9
.LBB128_114:                            ;   in Loop: Header=BB128_2 Depth=1
	s_or_b32 exec_lo, exec_lo, s8
	v_add_nc_u32_e32 v19, 1, v18
	v_add_nc_u32_e32 v20, 1, v17
	s_wait_dscnt 0x0
	v_cmp_lt_i64_e64 s8, v[15:16], v[13:14]
	s_delay_alu instid0(VALU_DEP_3) | instskip(NEXT) | instid1(VALU_DEP_3)
	v_cndmask_b32_e64 v22, v19, v18, s7
	v_cndmask_b32_e64 v21, v17, v20, s7
                                        ; implicit-def: $vgpr17_vgpr18
	s_delay_alu instid0(VALU_DEP_2) | instskip(NEXT) | instid1(VALU_DEP_2)
	v_cmp_ge_i32_e64 s9, v22, v56
	v_cmp_lt_i32_e64 s10, v21, v57
	s_or_b32 s8, s9, s8
	s_wait_alu 0xfffe
	s_and_b32 s8, s10, s8
	s_wait_alu 0xfffe
	s_xor_b32 s9, s8, -1
	s_wait_alu 0xfffe
	s_and_saveexec_b32 s10, s9
	s_wait_alu 0xfffe
	s_xor_b32 s9, exec_lo, s10
; %bb.115:                              ;   in Loop: Header=BB128_2 Depth=1
	v_lshlrev_b32_e32 v17, 3, v22
	ds_load_b64 v[17:18], v17 offset:8
; %bb.116:                              ;   in Loop: Header=BB128_2 Depth=1
	s_wait_alu 0xfffe
	s_or_saveexec_b32 s9, s9
	v_dual_mov_b32 v20, v16 :: v_dual_mov_b32 v19, v15
	s_wait_alu 0xfffe
	s_xor_b32 exec_lo, exec_lo, s9
	s_cbranch_execz .LBB128_118
; %bb.117:                              ;   in Loop: Header=BB128_2 Depth=1
	s_wait_dscnt 0x0
	v_lshlrev_b32_e32 v17, 3, v21
	ds_load_b64 v[19:20], v17 offset:8
	v_dual_mov_b32 v18, v14 :: v_dual_mov_b32 v17, v13
.LBB128_118:                            ;   in Loop: Header=BB128_2 Depth=1
	s_or_b32 exec_lo, exec_lo, s9
	v_add_nc_u32_e32 v23, 1, v22
	v_add_nc_u32_e32 v24, 1, v21
	s_wait_dscnt 0x0
	v_cmp_lt_i64_e64 s9, v[19:20], v[17:18]
	s_delay_alu instid0(VALU_DEP_3) | instskip(NEXT) | instid1(VALU_DEP_3)
	v_cndmask_b32_e64 v26, v23, v22, s8
	v_cndmask_b32_e64 v25, v21, v24, s8
                                        ; implicit-def: $vgpr21_vgpr22
	s_delay_alu instid0(VALU_DEP_2) | instskip(NEXT) | instid1(VALU_DEP_2)
	v_cmp_ge_i32_e64 s10, v26, v56
	v_cmp_lt_i32_e64 s11, v25, v57
	s_or_b32 s9, s10, s9
	s_wait_alu 0xfffe
	s_and_b32 s9, s11, s9
	s_wait_alu 0xfffe
	s_xor_b32 s10, s9, -1
	s_wait_alu 0xfffe
	s_and_saveexec_b32 s11, s10
	s_wait_alu 0xfffe
	s_xor_b32 s10, exec_lo, s11
; %bb.119:                              ;   in Loop: Header=BB128_2 Depth=1
	v_lshlrev_b32_e32 v21, 3, v26
	ds_load_b64 v[21:22], v21 offset:8
; %bb.120:                              ;   in Loop: Header=BB128_2 Depth=1
	s_wait_alu 0xfffe
	s_or_saveexec_b32 s10, s10
	v_dual_mov_b32 v24, v20 :: v_dual_mov_b32 v23, v19
	s_wait_alu 0xfffe
	s_xor_b32 exec_lo, exec_lo, s10
	s_cbranch_execz .LBB128_122
; %bb.121:                              ;   in Loop: Header=BB128_2 Depth=1
	s_wait_dscnt 0x0
	v_lshlrev_b32_e32 v21, 3, v25
	ds_load_b64 v[23:24], v21 offset:8
	v_dual_mov_b32 v22, v18 :: v_dual_mov_b32 v21, v17
.LBB128_122:                            ;   in Loop: Header=BB128_2 Depth=1
	s_or_b32 exec_lo, exec_lo, s10
	v_add_nc_u32_e32 v27, 1, v26
	v_add_nc_u32_e32 v28, 1, v25
	s_wait_dscnt 0x0
	v_cmp_lt_i64_e64 s10, v[23:24], v[21:22]
	s_delay_alu instid0(VALU_DEP_3) | instskip(NEXT) | instid1(VALU_DEP_3)
	v_cndmask_b32_e64 v30, v27, v26, s9
	v_cndmask_b32_e64 v29, v25, v28, s9
                                        ; implicit-def: $vgpr25_vgpr26
	s_delay_alu instid0(VALU_DEP_2) | instskip(NEXT) | instid1(VALU_DEP_2)
	v_cmp_ge_i32_e64 s11, v30, v56
	v_cmp_lt_i32_e64 s12, v29, v57
	s_or_b32 s10, s11, s10
	s_wait_alu 0xfffe
	s_and_b32 s10, s12, s10
	s_wait_alu 0xfffe
	s_xor_b32 s11, s10, -1
	s_wait_alu 0xfffe
	s_and_saveexec_b32 s12, s11
	s_delay_alu instid0(SALU_CYCLE_1)
	s_xor_b32 s11, exec_lo, s12
; %bb.123:                              ;   in Loop: Header=BB128_2 Depth=1
	v_lshlrev_b32_e32 v25, 3, v30
	ds_load_b64 v[25:26], v25 offset:8
; %bb.124:                              ;   in Loop: Header=BB128_2 Depth=1
	s_wait_alu 0xfffe
	s_or_saveexec_b32 s11, s11
	v_dual_mov_b32 v28, v24 :: v_dual_mov_b32 v27, v23
	s_wait_alu 0xfffe
	s_xor_b32 exec_lo, exec_lo, s11
	s_cbranch_execz .LBB128_126
; %bb.125:                              ;   in Loop: Header=BB128_2 Depth=1
	s_wait_dscnt 0x0
	v_lshlrev_b32_e32 v25, 3, v29
	ds_load_b64 v[27:28], v25 offset:8
	v_dual_mov_b32 v26, v22 :: v_dual_mov_b32 v25, v21
.LBB128_126:                            ;   in Loop: Header=BB128_2 Depth=1
	s_or_b32 exec_lo, exec_lo, s11
	v_add_nc_u32_e32 v31, 1, v30
	v_add_nc_u32_e32 v32, 1, v29
	s_wait_dscnt 0x0
	v_cmp_lt_i64_e64 s11, v[27:28], v[25:26]
	s_delay_alu instid0(VALU_DEP_3) | instskip(NEXT) | instid1(VALU_DEP_3)
	v_cndmask_b32_e64 v33, v31, v30, s10
	v_cndmask_b32_e64 v34, v29, v32, s10
                                        ; implicit-def: $vgpr29_vgpr30
	s_delay_alu instid0(VALU_DEP_2) | instskip(NEXT) | instid1(VALU_DEP_2)
	v_cmp_ge_i32_e64 s12, v33, v56
	v_cmp_lt_i32_e64 s13, v34, v57
	s_or_b32 s11, s12, s11
	s_wait_alu 0xfffe
	s_and_b32 s11, s13, s11
	s_wait_alu 0xfffe
	s_xor_b32 s12, s11, -1
	s_delay_alu instid0(SALU_CYCLE_1) | instskip(NEXT) | instid1(SALU_CYCLE_1)
	s_and_saveexec_b32 s13, s12
	s_xor_b32 s12, exec_lo, s13
; %bb.127:                              ;   in Loop: Header=BB128_2 Depth=1
	v_lshlrev_b32_e32 v29, 3, v33
	ds_load_b64 v[29:30], v29 offset:8
; %bb.128:                              ;   in Loop: Header=BB128_2 Depth=1
	s_or_saveexec_b32 s12, s12
	v_dual_mov_b32 v32, v28 :: v_dual_mov_b32 v31, v27
	s_xor_b32 exec_lo, exec_lo, s12
	s_cbranch_execz .LBB128_130
; %bb.129:                              ;   in Loop: Header=BB128_2 Depth=1
	s_wait_dscnt 0x0
	v_lshlrev_b32_e32 v29, 3, v34
	ds_load_b64 v[31:32], v29 offset:8
	v_dual_mov_b32 v30, v26 :: v_dual_mov_b32 v29, v25
.LBB128_130:                            ;   in Loop: Header=BB128_2 Depth=1
	s_or_b32 exec_lo, exec_lo, s12
	v_add_nc_u32_e32 v36, 1, v33
	v_add_nc_u32_e32 v35, 1, v34
	v_cndmask_b32_e64 v26, v26, v28, s11
	v_cndmask_b32_e64 v25, v25, v27, s11
	;; [unrolled: 1-line block ×6, first 2 shown]
	s_wait_dscnt 0x0
	v_cmp_lt_i64_e64 s7, v[31:32], v[29:30]
	v_cndmask_b32_e64 v14, v14, v16, s8
	v_cndmask_b32_e64 v13, v13, v15, s8
	v_cmp_ge_i32_e64 s8, v28, v56
	v_cndmask_b32_e64 v18, v18, v20, s9
	v_cndmask_b32_e64 v17, v17, v19, s9
	v_cmp_lt_i32_e64 s9, v27, v57
	v_cndmask_b32_e64 v6, v6, v8, s6
	v_cndmask_b32_e64 v5, v5, v7, s6
	s_or_b32 s6, s8, s7
	v_cndmask_b32_e64 v2, v2, v4, s5
	v_cndmask_b32_e64 v1, v1, v3, s5
	s_wait_alu 0xfffe
	s_and_b32 s5, s9, s6
	v_cndmask_b32_e64 v22, v22, v24, s10
	v_cndmask_b32_e64 v21, v21, v23, s10
	s_wait_alu 0xfffe
	v_cndmask_b32_e64 v4, v30, v32, s5
	v_cndmask_b32_e64 v3, v29, v31, s5
	s_wait_loadcnt 0x0
	s_barrier_signal -1
	s_barrier_wait -1
	global_inv scope:SCOPE_SE
	ds_store_2addr_b64 v41, v[1:2], v[5:6] offset1:1
	ds_store_2addr_b64 v41, v[9:10], v[13:14] offset0:2 offset1:3
	ds_store_2addr_b64 v41, v[17:18], v[21:22] offset0:4 offset1:5
	ds_store_2addr_b64 v41, v[25:26], v[3:4] offset0:6 offset1:7
	v_mov_b32_e32 v5, v68
	s_wait_loadcnt_dscnt 0x0
	s_barrier_signal -1
	s_barrier_wait -1
	global_inv scope:SCOPE_SE
	s_and_saveexec_b32 s6, s3
	s_cbranch_execz .LBB128_134
; %bb.131:                              ;   in Loop: Header=BB128_2 Depth=1
	v_mov_b32_e32 v5, v68
	v_mov_b32_e32 v1, v69
	s_mov_b32 s7, 0
.LBB128_132:                            ;   Parent Loop BB128_2 Depth=1
                                        ; =>  This Inner Loop Header: Depth=2
	s_delay_alu instid0(VALU_DEP_1) | instskip(NEXT) | instid1(VALU_DEP_1)
	v_sub_nc_u32_e32 v2, v1, v5
	v_lshrrev_b32_e32 v2, 1, v2
	s_delay_alu instid0(VALU_DEP_1) | instskip(NEXT) | instid1(VALU_DEP_1)
	v_add_nc_u32_e32 v4, v2, v5
	v_not_b32_e32 v2, v4
	v_lshl_add_u32 v3, v4, 3, v73
	s_delay_alu instid0(VALU_DEP_2)
	v_lshl_add_u32 v6, v2, 3, v80
	ds_load_b64 v[2:3], v3
	ds_load_b64 v[6:7], v6
	s_wait_dscnt 0x0
	v_cmp_lt_i64_e64 s5, v[6:7], v[2:3]
	v_add_nc_u32_e32 v2, 1, v4
	s_wait_alu 0xf1ff
	s_delay_alu instid0(VALU_DEP_2) | instskip(NEXT) | instid1(VALU_DEP_2)
	v_cndmask_b32_e64 v1, v1, v4, s5
	v_cndmask_b32_e64 v5, v2, v5, s5
	s_delay_alu instid0(VALU_DEP_1)
	v_cmp_ge_i32_e64 s5, v5, v1
	s_wait_alu 0xfffe
	s_or_b32 s7, s5, s7
	s_wait_alu 0xfffe
	s_and_not1_b32 exec_lo, exec_lo, s7
	s_cbranch_execnz .LBB128_132
; %bb.133:                              ;   in Loop: Header=BB128_2 Depth=1
	s_or_b32 exec_lo, exec_lo, s7
.LBB128_134:                            ;   in Loop: Header=BB128_2 Depth=1
	s_wait_alu 0xfffe
	s_or_b32 exec_lo, exec_lo, s6
	v_sub_nc_u32_e32 v9, v74, v5
	v_lshl_add_u32 v7, v5, 3, v73
	v_add_nc_u32_e32 v10, v5, v59
                                        ; implicit-def: $vgpr5_vgpr6
	s_delay_alu instid0(VALU_DEP_3) | instskip(SKIP_1) | instid1(VALU_DEP_3)
	v_lshlrev_b32_e32 v11, 3, v9
	v_cmp_gt_i32_e64 s7, v63, v9
	v_cmp_le_i32_e64 s6, v62, v10
	ds_load_b64 v[1:2], v7
	ds_load_b64 v[3:4], v11
	s_wait_dscnt 0x0
	v_cmp_lt_i64_e64 s5, v[3:4], v[1:2]
	s_or_b32 s5, s6, s5
	s_wait_alu 0xfffe
	s_and_b32 s5, s7, s5
	s_wait_alu 0xfffe
	s_xor_b32 s6, s5, -1
	s_wait_alu 0xfffe
	s_and_saveexec_b32 s7, s6
	s_wait_alu 0xfffe
	s_xor_b32 s6, exec_lo, s7
; %bb.135:                              ;   in Loop: Header=BB128_2 Depth=1
	ds_load_b64 v[5:6], v7 offset:8
                                        ; implicit-def: $vgpr11
; %bb.136:                              ;   in Loop: Header=BB128_2 Depth=1
	s_wait_alu 0xfffe
	s_or_saveexec_b32 s6, s6
	v_dual_mov_b32 v8, v4 :: v_dual_mov_b32 v7, v3
	s_wait_alu 0xfffe
	s_xor_b32 exec_lo, exec_lo, s6
	s_cbranch_execz .LBB128_138
; %bb.137:                              ;   in Loop: Header=BB128_2 Depth=1
	ds_load_b64 v[7:8], v11 offset:8
	s_wait_dscnt 0x1
	v_dual_mov_b32 v6, v2 :: v_dual_mov_b32 v5, v1
.LBB128_138:                            ;   in Loop: Header=BB128_2 Depth=1
	s_or_b32 exec_lo, exec_lo, s6
	v_add_nc_u32_e32 v11, 1, v10
	v_add_nc_u32_e32 v12, 1, v9
	s_wait_dscnt 0x0
	v_cmp_lt_i64_e64 s6, v[7:8], v[5:6]
	s_delay_alu instid0(VALU_DEP_3) | instskip(NEXT) | instid1(VALU_DEP_3)
	v_cndmask_b32_e64 v14, v11, v10, s5
	v_cndmask_b32_e64 v13, v9, v12, s5
                                        ; implicit-def: $vgpr9_vgpr10
	s_delay_alu instid0(VALU_DEP_2) | instskip(NEXT) | instid1(VALU_DEP_2)
	v_cmp_ge_i32_e64 s7, v14, v62
	v_cmp_lt_i32_e64 s8, v13, v63
	s_or_b32 s6, s7, s6
	s_wait_alu 0xfffe
	s_and_b32 s6, s8, s6
	s_wait_alu 0xfffe
	s_xor_b32 s7, s6, -1
	s_wait_alu 0xfffe
	s_and_saveexec_b32 s8, s7
	s_wait_alu 0xfffe
	s_xor_b32 s7, exec_lo, s8
; %bb.139:                              ;   in Loop: Header=BB128_2 Depth=1
	v_lshlrev_b32_e32 v9, 3, v14
	ds_load_b64 v[9:10], v9 offset:8
; %bb.140:                              ;   in Loop: Header=BB128_2 Depth=1
	s_wait_alu 0xfffe
	s_or_saveexec_b32 s7, s7
	v_dual_mov_b32 v12, v8 :: v_dual_mov_b32 v11, v7
	s_wait_alu 0xfffe
	s_xor_b32 exec_lo, exec_lo, s7
	s_cbranch_execz .LBB128_142
; %bb.141:                              ;   in Loop: Header=BB128_2 Depth=1
	s_wait_dscnt 0x0
	v_lshlrev_b32_e32 v9, 3, v13
	ds_load_b64 v[11:12], v9 offset:8
	v_dual_mov_b32 v10, v6 :: v_dual_mov_b32 v9, v5
.LBB128_142:                            ;   in Loop: Header=BB128_2 Depth=1
	s_or_b32 exec_lo, exec_lo, s7
	v_add_nc_u32_e32 v15, 1, v14
	v_add_nc_u32_e32 v16, 1, v13
	s_wait_dscnt 0x0
	v_cmp_lt_i64_e64 s7, v[11:12], v[9:10]
	s_delay_alu instid0(VALU_DEP_3) | instskip(NEXT) | instid1(VALU_DEP_3)
	v_cndmask_b32_e64 v18, v15, v14, s6
	v_cndmask_b32_e64 v17, v13, v16, s6
                                        ; implicit-def: $vgpr13_vgpr14
	s_delay_alu instid0(VALU_DEP_2) | instskip(NEXT) | instid1(VALU_DEP_2)
	v_cmp_ge_i32_e64 s8, v18, v62
	v_cmp_lt_i32_e64 s9, v17, v63
	s_or_b32 s7, s8, s7
	s_wait_alu 0xfffe
	s_and_b32 s7, s9, s7
	s_wait_alu 0xfffe
	s_xor_b32 s8, s7, -1
	s_wait_alu 0xfffe
	s_and_saveexec_b32 s9, s8
	s_wait_alu 0xfffe
	s_xor_b32 s8, exec_lo, s9
; %bb.143:                              ;   in Loop: Header=BB128_2 Depth=1
	v_lshlrev_b32_e32 v13, 3, v18
	ds_load_b64 v[13:14], v13 offset:8
; %bb.144:                              ;   in Loop: Header=BB128_2 Depth=1
	s_wait_alu 0xfffe
	s_or_saveexec_b32 s8, s8
	v_dual_mov_b32 v16, v12 :: v_dual_mov_b32 v15, v11
	s_wait_alu 0xfffe
	s_xor_b32 exec_lo, exec_lo, s8
	s_cbranch_execz .LBB128_146
; %bb.145:                              ;   in Loop: Header=BB128_2 Depth=1
	s_wait_dscnt 0x0
	v_lshlrev_b32_e32 v13, 3, v17
	ds_load_b64 v[15:16], v13 offset:8
	v_dual_mov_b32 v14, v10 :: v_dual_mov_b32 v13, v9
.LBB128_146:                            ;   in Loop: Header=BB128_2 Depth=1
	s_or_b32 exec_lo, exec_lo, s8
	v_add_nc_u32_e32 v19, 1, v18
	v_add_nc_u32_e32 v20, 1, v17
	s_wait_dscnt 0x0
	v_cmp_lt_i64_e64 s8, v[15:16], v[13:14]
	s_delay_alu instid0(VALU_DEP_3) | instskip(NEXT) | instid1(VALU_DEP_3)
	v_cndmask_b32_e64 v22, v19, v18, s7
	v_cndmask_b32_e64 v21, v17, v20, s7
                                        ; implicit-def: $vgpr17_vgpr18
	s_delay_alu instid0(VALU_DEP_2) | instskip(NEXT) | instid1(VALU_DEP_2)
	v_cmp_ge_i32_e64 s9, v22, v62
	v_cmp_lt_i32_e64 s10, v21, v63
	s_or_b32 s8, s9, s8
	s_wait_alu 0xfffe
	s_and_b32 s8, s10, s8
	s_wait_alu 0xfffe
	s_xor_b32 s9, s8, -1
	s_wait_alu 0xfffe
	s_and_saveexec_b32 s10, s9
	s_wait_alu 0xfffe
	s_xor_b32 s9, exec_lo, s10
; %bb.147:                              ;   in Loop: Header=BB128_2 Depth=1
	v_lshlrev_b32_e32 v17, 3, v22
	ds_load_b64 v[17:18], v17 offset:8
; %bb.148:                              ;   in Loop: Header=BB128_2 Depth=1
	s_wait_alu 0xfffe
	s_or_saveexec_b32 s9, s9
	v_dual_mov_b32 v20, v16 :: v_dual_mov_b32 v19, v15
	s_wait_alu 0xfffe
	s_xor_b32 exec_lo, exec_lo, s9
	s_cbranch_execz .LBB128_150
; %bb.149:                              ;   in Loop: Header=BB128_2 Depth=1
	s_wait_dscnt 0x0
	v_lshlrev_b32_e32 v17, 3, v21
	ds_load_b64 v[19:20], v17 offset:8
	v_dual_mov_b32 v18, v14 :: v_dual_mov_b32 v17, v13
.LBB128_150:                            ;   in Loop: Header=BB128_2 Depth=1
	s_or_b32 exec_lo, exec_lo, s9
	v_add_nc_u32_e32 v23, 1, v22
	v_add_nc_u32_e32 v24, 1, v21
	s_wait_dscnt 0x0
	v_cmp_lt_i64_e64 s9, v[19:20], v[17:18]
	s_delay_alu instid0(VALU_DEP_3) | instskip(NEXT) | instid1(VALU_DEP_3)
	v_cndmask_b32_e64 v26, v23, v22, s8
	v_cndmask_b32_e64 v25, v21, v24, s8
                                        ; implicit-def: $vgpr21_vgpr22
	s_delay_alu instid0(VALU_DEP_2) | instskip(NEXT) | instid1(VALU_DEP_2)
	v_cmp_ge_i32_e64 s10, v26, v62
	v_cmp_lt_i32_e64 s11, v25, v63
	s_or_b32 s9, s10, s9
	s_wait_alu 0xfffe
	s_and_b32 s9, s11, s9
	s_wait_alu 0xfffe
	s_xor_b32 s10, s9, -1
	s_wait_alu 0xfffe
	s_and_saveexec_b32 s11, s10
	s_wait_alu 0xfffe
	s_xor_b32 s10, exec_lo, s11
; %bb.151:                              ;   in Loop: Header=BB128_2 Depth=1
	v_lshlrev_b32_e32 v21, 3, v26
	ds_load_b64 v[21:22], v21 offset:8
; %bb.152:                              ;   in Loop: Header=BB128_2 Depth=1
	s_wait_alu 0xfffe
	s_or_saveexec_b32 s10, s10
	v_dual_mov_b32 v24, v20 :: v_dual_mov_b32 v23, v19
	s_wait_alu 0xfffe
	s_xor_b32 exec_lo, exec_lo, s10
	s_cbranch_execz .LBB128_154
; %bb.153:                              ;   in Loop: Header=BB128_2 Depth=1
	s_wait_dscnt 0x0
	v_lshlrev_b32_e32 v21, 3, v25
	ds_load_b64 v[23:24], v21 offset:8
	v_dual_mov_b32 v22, v18 :: v_dual_mov_b32 v21, v17
.LBB128_154:                            ;   in Loop: Header=BB128_2 Depth=1
	s_or_b32 exec_lo, exec_lo, s10
	v_add_nc_u32_e32 v27, 1, v26
	v_add_nc_u32_e32 v28, 1, v25
	s_wait_dscnt 0x0
	v_cmp_lt_i64_e64 s10, v[23:24], v[21:22]
	s_delay_alu instid0(VALU_DEP_3) | instskip(NEXT) | instid1(VALU_DEP_3)
	v_cndmask_b32_e64 v30, v27, v26, s9
	v_cndmask_b32_e64 v29, v25, v28, s9
                                        ; implicit-def: $vgpr25_vgpr26
	s_delay_alu instid0(VALU_DEP_2) | instskip(NEXT) | instid1(VALU_DEP_2)
	v_cmp_ge_i32_e64 s11, v30, v62
	v_cmp_lt_i32_e64 s12, v29, v63
	s_or_b32 s10, s11, s10
	s_wait_alu 0xfffe
	s_and_b32 s10, s12, s10
	s_wait_alu 0xfffe
	s_xor_b32 s11, s10, -1
	s_wait_alu 0xfffe
	s_and_saveexec_b32 s12, s11
	s_delay_alu instid0(SALU_CYCLE_1)
	s_xor_b32 s11, exec_lo, s12
; %bb.155:                              ;   in Loop: Header=BB128_2 Depth=1
	v_lshlrev_b32_e32 v25, 3, v30
	ds_load_b64 v[25:26], v25 offset:8
; %bb.156:                              ;   in Loop: Header=BB128_2 Depth=1
	s_wait_alu 0xfffe
	s_or_saveexec_b32 s11, s11
	v_dual_mov_b32 v28, v24 :: v_dual_mov_b32 v27, v23
	s_wait_alu 0xfffe
	s_xor_b32 exec_lo, exec_lo, s11
	s_cbranch_execz .LBB128_158
; %bb.157:                              ;   in Loop: Header=BB128_2 Depth=1
	s_wait_dscnt 0x0
	v_lshlrev_b32_e32 v25, 3, v29
	ds_load_b64 v[27:28], v25 offset:8
	v_dual_mov_b32 v26, v22 :: v_dual_mov_b32 v25, v21
.LBB128_158:                            ;   in Loop: Header=BB128_2 Depth=1
	s_or_b32 exec_lo, exec_lo, s11
	v_add_nc_u32_e32 v31, 1, v30
	v_add_nc_u32_e32 v32, 1, v29
	s_wait_dscnt 0x0
	v_cmp_lt_i64_e64 s11, v[27:28], v[25:26]
	s_delay_alu instid0(VALU_DEP_3) | instskip(NEXT) | instid1(VALU_DEP_3)
	v_cndmask_b32_e64 v33, v31, v30, s10
	v_cndmask_b32_e64 v34, v29, v32, s10
                                        ; implicit-def: $vgpr29_vgpr30
	s_delay_alu instid0(VALU_DEP_2) | instskip(NEXT) | instid1(VALU_DEP_2)
	v_cmp_ge_i32_e64 s12, v33, v62
	v_cmp_lt_i32_e64 s13, v34, v63
	s_or_b32 s11, s12, s11
	s_wait_alu 0xfffe
	s_and_b32 s11, s13, s11
	s_wait_alu 0xfffe
	s_xor_b32 s12, s11, -1
	s_delay_alu instid0(SALU_CYCLE_1) | instskip(NEXT) | instid1(SALU_CYCLE_1)
	s_and_saveexec_b32 s13, s12
	s_xor_b32 s12, exec_lo, s13
; %bb.159:                              ;   in Loop: Header=BB128_2 Depth=1
	v_lshlrev_b32_e32 v29, 3, v33
	ds_load_b64 v[29:30], v29 offset:8
; %bb.160:                              ;   in Loop: Header=BB128_2 Depth=1
	s_or_saveexec_b32 s12, s12
	v_dual_mov_b32 v32, v28 :: v_dual_mov_b32 v31, v27
	s_xor_b32 exec_lo, exec_lo, s12
	s_cbranch_execz .LBB128_162
; %bb.161:                              ;   in Loop: Header=BB128_2 Depth=1
	s_wait_dscnt 0x0
	v_lshlrev_b32_e32 v29, 3, v34
	ds_load_b64 v[31:32], v29 offset:8
	v_dual_mov_b32 v30, v26 :: v_dual_mov_b32 v29, v25
.LBB128_162:                            ;   in Loop: Header=BB128_2 Depth=1
	s_or_b32 exec_lo, exec_lo, s12
	v_add_nc_u32_e32 v36, 1, v33
	v_add_nc_u32_e32 v35, 1, v34
	v_cndmask_b32_e64 v26, v26, v28, s11
	v_cndmask_b32_e64 v25, v25, v27, s11
	;; [unrolled: 1-line block ×6, first 2 shown]
	s_wait_dscnt 0x0
	v_cmp_lt_i64_e64 s7, v[31:32], v[29:30]
	v_cndmask_b32_e64 v14, v14, v16, s8
	v_cndmask_b32_e64 v13, v13, v15, s8
	v_cmp_ge_i32_e64 s8, v28, v62
	v_cndmask_b32_e64 v18, v18, v20, s9
	v_cndmask_b32_e64 v17, v17, v19, s9
	v_cmp_lt_i32_e64 s9, v27, v63
	v_cndmask_b32_e64 v6, v6, v8, s6
	v_cndmask_b32_e64 v5, v5, v7, s6
	s_or_b32 s6, s8, s7
	v_cndmask_b32_e64 v2, v2, v4, s5
	v_cndmask_b32_e64 v1, v1, v3, s5
	s_wait_alu 0xfffe
	s_and_b32 s5, s9, s6
	v_cndmask_b32_e64 v22, v22, v24, s10
	v_cndmask_b32_e64 v21, v21, v23, s10
	s_wait_alu 0xfffe
	v_cndmask_b32_e64 v4, v30, v32, s5
	v_cndmask_b32_e64 v3, v29, v31, s5
	s_wait_loadcnt 0x0
	s_barrier_signal -1
	s_barrier_wait -1
	global_inv scope:SCOPE_SE
	ds_store_2addr_b64 v41, v[1:2], v[5:6] offset1:1
	ds_store_2addr_b64 v41, v[9:10], v[13:14] offset0:2 offset1:3
	ds_store_2addr_b64 v41, v[17:18], v[21:22] offset0:4 offset1:5
	;; [unrolled: 1-line block ×3, first 2 shown]
	v_mov_b32_e32 v9, v70
	s_wait_loadcnt_dscnt 0x0
	s_barrier_signal -1
	s_barrier_wait -1
	global_inv scope:SCOPE_SE
	s_and_saveexec_b32 s6, s4
	s_cbranch_execz .LBB128_166
; %bb.163:                              ;   in Loop: Header=BB128_2 Depth=1
	v_mov_b32_e32 v9, v70
	v_mov_b32_e32 v1, v71
	s_mov_b32 s7, 0
.LBB128_164:                            ;   Parent Loop BB128_2 Depth=1
                                        ; =>  This Inner Loop Header: Depth=2
	s_delay_alu instid0(VALU_DEP_1) | instskip(NEXT) | instid1(VALU_DEP_1)
	v_sub_nc_u32_e32 v2, v1, v9
	v_lshrrev_b32_e32 v2, 1, v2
	s_delay_alu instid0(VALU_DEP_1) | instskip(NEXT) | instid1(VALU_DEP_1)
	v_add_nc_u32_e32 v6, v2, v9
	v_not_b32_e32 v2, v6
	v_lshlrev_b32_e32 v3, 3, v6
	s_delay_alu instid0(VALU_DEP_2)
	v_lshl_add_u32 v4, v2, 3, v81
	ds_load_b64 v[2:3], v3
	ds_load_b64 v[4:5], v4
	s_wait_dscnt 0x0
	v_cmp_lt_i64_e64 s5, v[4:5], v[2:3]
	v_add_nc_u32_e32 v2, 1, v6
	s_wait_alu 0xf1ff
	s_delay_alu instid0(VALU_DEP_2) | instskip(NEXT) | instid1(VALU_DEP_2)
	v_cndmask_b32_e64 v1, v1, v6, s5
	v_cndmask_b32_e64 v9, v2, v9, s5
	s_delay_alu instid0(VALU_DEP_1)
	v_cmp_ge_i32_e64 s5, v9, v1
	s_wait_alu 0xfffe
	s_or_b32 s7, s5, s7
	s_wait_alu 0xfffe
	s_and_not1_b32 exec_lo, exec_lo, s7
	s_cbranch_execnz .LBB128_164
; %bb.165:                              ;   in Loop: Header=BB128_2 Depth=1
	s_or_b32 exec_lo, exec_lo, s7
.LBB128_166:                            ;   in Loop: Header=BB128_2 Depth=1
	s_wait_alu 0xfffe
	s_or_b32 exec_lo, exec_lo, s6
	v_sub_nc_u32_e32 v10, v75, v9
	v_lshlrev_b32_e32 v7, 3, v9
	v_cmp_le_i32_e64 s6, 0x100, v9
                                        ; implicit-def: $vgpr5_vgpr6
	s_delay_alu instid0(VALU_DEP_3)
	v_lshlrev_b32_e32 v11, 3, v10
	v_cmp_gt_i32_e64 s7, 0x200, v10
	ds_load_b64 v[1:2], v7
	ds_load_b64 v[3:4], v11
	s_wait_dscnt 0x0
	v_cmp_lt_i64_e64 s5, v[3:4], v[1:2]
	s_or_b32 s5, s6, s5
	s_wait_alu 0xfffe
	s_and_b32 s5, s7, s5
	s_wait_alu 0xfffe
	s_xor_b32 s6, s5, -1
	s_wait_alu 0xfffe
	s_and_saveexec_b32 s7, s6
	s_wait_alu 0xfffe
	s_xor_b32 s6, exec_lo, s7
; %bb.167:                              ;   in Loop: Header=BB128_2 Depth=1
	ds_load_b64 v[5:6], v7 offset:8
                                        ; implicit-def: $vgpr11
; %bb.168:                              ;   in Loop: Header=BB128_2 Depth=1
	s_wait_alu 0xfffe
	s_or_saveexec_b32 s6, s6
	v_dual_mov_b32 v8, v4 :: v_dual_mov_b32 v7, v3
	s_wait_alu 0xfffe
	s_xor_b32 exec_lo, exec_lo, s6
	s_cbranch_execz .LBB128_170
; %bb.169:                              ;   in Loop: Header=BB128_2 Depth=1
	ds_load_b64 v[7:8], v11 offset:8
	s_wait_dscnt 0x1
	v_dual_mov_b32 v6, v2 :: v_dual_mov_b32 v5, v1
.LBB128_170:                            ;   in Loop: Header=BB128_2 Depth=1
	s_or_b32 exec_lo, exec_lo, s6
	v_add_nc_u32_e32 v11, 1, v9
	v_add_nc_u32_e32 v12, 1, v10
	s_wait_dscnt 0x0
	v_cmp_lt_i64_e64 s6, v[7:8], v[5:6]
	s_delay_alu instid0(VALU_DEP_3) | instskip(NEXT) | instid1(VALU_DEP_3)
	v_cndmask_b32_e64 v14, v11, v9, s5
	v_cndmask_b32_e64 v13, v10, v12, s5
                                        ; implicit-def: $vgpr9_vgpr10
	s_delay_alu instid0(VALU_DEP_2) | instskip(NEXT) | instid1(VALU_DEP_2)
	v_cmp_le_i32_e64 s7, 0x100, v14
	v_cmp_gt_i32_e64 s8, 0x200, v13
	s_or_b32 s6, s7, s6
	s_wait_alu 0xfffe
	s_and_b32 s6, s8, s6
	s_wait_alu 0xfffe
	s_xor_b32 s7, s6, -1
	s_wait_alu 0xfffe
	s_and_saveexec_b32 s8, s7
	s_wait_alu 0xfffe
	s_xor_b32 s7, exec_lo, s8
; %bb.171:                              ;   in Loop: Header=BB128_2 Depth=1
	v_lshlrev_b32_e32 v9, 3, v14
	ds_load_b64 v[9:10], v9 offset:8
; %bb.172:                              ;   in Loop: Header=BB128_2 Depth=1
	s_wait_alu 0xfffe
	s_or_saveexec_b32 s7, s7
	v_dual_mov_b32 v12, v8 :: v_dual_mov_b32 v11, v7
	s_wait_alu 0xfffe
	s_xor_b32 exec_lo, exec_lo, s7
	s_cbranch_execz .LBB128_174
; %bb.173:                              ;   in Loop: Header=BB128_2 Depth=1
	s_wait_dscnt 0x0
	v_lshlrev_b32_e32 v9, 3, v13
	ds_load_b64 v[11:12], v9 offset:8
	v_dual_mov_b32 v10, v6 :: v_dual_mov_b32 v9, v5
.LBB128_174:                            ;   in Loop: Header=BB128_2 Depth=1
	s_or_b32 exec_lo, exec_lo, s7
	v_add_nc_u32_e32 v15, 1, v14
	v_add_nc_u32_e32 v16, 1, v13
	s_wait_dscnt 0x0
	v_cmp_lt_i64_e64 s7, v[11:12], v[9:10]
                                        ; implicit-def: $vgpr17_vgpr18
	s_delay_alu instid0(VALU_DEP_3) | instskip(NEXT) | instid1(VALU_DEP_3)
	v_cndmask_b32_e64 v14, v15, v14, s6
	v_cndmask_b32_e64 v13, v13, v16, s6
	s_delay_alu instid0(VALU_DEP_2) | instskip(NEXT) | instid1(VALU_DEP_2)
	v_cmp_le_i32_e64 s8, 0x100, v14
	v_cmp_gt_i32_e64 s9, 0x200, v13
	s_or_b32 s7, s8, s7
	s_wait_alu 0xfffe
	s_and_b32 s7, s9, s7
	s_wait_alu 0xfffe
	s_xor_b32 s8, s7, -1
	s_wait_alu 0xfffe
	s_and_saveexec_b32 s9, s8
	s_wait_alu 0xfffe
	s_xor_b32 s8, exec_lo, s9
; %bb.175:                              ;   in Loop: Header=BB128_2 Depth=1
	v_lshlrev_b32_e32 v15, 3, v14
	ds_load_b64 v[17:18], v15 offset:8
; %bb.176:                              ;   in Loop: Header=BB128_2 Depth=1
	s_wait_alu 0xfffe
	s_or_saveexec_b32 s8, s8
	v_dual_mov_b32 v20, v12 :: v_dual_mov_b32 v19, v11
	s_wait_alu 0xfffe
	s_xor_b32 exec_lo, exec_lo, s8
	s_cbranch_execz .LBB128_178
; %bb.177:                              ;   in Loop: Header=BB128_2 Depth=1
	s_wait_dscnt 0x0
	v_dual_mov_b32 v18, v10 :: v_dual_lshlrev_b32 v15, 3, v13
	v_mov_b32_e32 v17, v9
	ds_load_b64 v[19:20], v15 offset:8
.LBB128_178:                            ;   in Loop: Header=BB128_2 Depth=1
	s_or_b32 exec_lo, exec_lo, s8
	v_add_nc_u32_e32 v15, 1, v14
	v_add_nc_u32_e32 v16, 1, v13
	s_wait_dscnt 0x0
	v_cmp_lt_i64_e64 s8, v[19:20], v[17:18]
                                        ; implicit-def: $vgpr21_vgpr22
	s_delay_alu instid0(VALU_DEP_3) | instskip(NEXT) | instid1(VALU_DEP_3)
	v_cndmask_b32_e64 v14, v15, v14, s7
	v_cndmask_b32_e64 v13, v13, v16, s7
	s_delay_alu instid0(VALU_DEP_2) | instskip(NEXT) | instid1(VALU_DEP_2)
	v_cmp_le_i32_e64 s9, 0x100, v14
	v_cmp_gt_i32_e64 s10, 0x200, v13
	s_or_b32 s8, s9, s8
	s_wait_alu 0xfffe
	s_and_b32 s8, s10, s8
	s_wait_alu 0xfffe
	s_xor_b32 s9, s8, -1
	s_wait_alu 0xfffe
	s_and_saveexec_b32 s10, s9
	s_wait_alu 0xfffe
	s_xor_b32 s9, exec_lo, s10
; %bb.179:                              ;   in Loop: Header=BB128_2 Depth=1
	v_lshlrev_b32_e32 v15, 3, v14
	ds_load_b64 v[21:22], v15 offset:8
; %bb.180:                              ;   in Loop: Header=BB128_2 Depth=1
	s_wait_alu 0xfffe
	s_or_saveexec_b32 s9, s9
	v_dual_mov_b32 v24, v20 :: v_dual_mov_b32 v23, v19
	s_wait_alu 0xfffe
	s_xor_b32 exec_lo, exec_lo, s9
	s_cbranch_execz .LBB128_182
; %bb.181:                              ;   in Loop: Header=BB128_2 Depth=1
	s_wait_dscnt 0x0
	v_dual_mov_b32 v22, v18 :: v_dual_lshlrev_b32 v15, 3, v13
	v_mov_b32_e32 v21, v17
	ds_load_b64 v[23:24], v15 offset:8
.LBB128_182:                            ;   in Loop: Header=BB128_2 Depth=1
	s_or_b32 exec_lo, exec_lo, s9
	v_add_nc_u32_e32 v15, 1, v14
	v_add_nc_u32_e32 v16, 1, v13
	s_wait_dscnt 0x0
	v_cmp_lt_i64_e64 s9, v[23:24], v[21:22]
                                        ; implicit-def: $vgpr25_vgpr26
	s_delay_alu instid0(VALU_DEP_3) | instskip(NEXT) | instid1(VALU_DEP_3)
	v_cndmask_b32_e64 v14, v15, v14, s8
	v_cndmask_b32_e64 v13, v13, v16, s8
	s_delay_alu instid0(VALU_DEP_2) | instskip(NEXT) | instid1(VALU_DEP_2)
	v_cmp_le_i32_e64 s10, 0x100, v14
	v_cmp_gt_i32_e64 s11, 0x200, v13
	s_or_b32 s9, s10, s9
	s_wait_alu 0xfffe
	s_and_b32 s9, s11, s9
	s_wait_alu 0xfffe
	s_xor_b32 s10, s9, -1
	s_wait_alu 0xfffe
	s_and_saveexec_b32 s11, s10
	s_wait_alu 0xfffe
	s_xor_b32 s10, exec_lo, s11
; %bb.183:                              ;   in Loop: Header=BB128_2 Depth=1
	v_lshlrev_b32_e32 v15, 3, v14
	ds_load_b64 v[25:26], v15 offset:8
; %bb.184:                              ;   in Loop: Header=BB128_2 Depth=1
	s_wait_alu 0xfffe
	s_or_saveexec_b32 s10, s10
	v_dual_mov_b32 v28, v24 :: v_dual_mov_b32 v27, v23
	s_wait_alu 0xfffe
	s_xor_b32 exec_lo, exec_lo, s10
	s_cbranch_execz .LBB128_186
; %bb.185:                              ;   in Loop: Header=BB128_2 Depth=1
	s_wait_dscnt 0x0
	v_dual_mov_b32 v26, v22 :: v_dual_lshlrev_b32 v15, 3, v13
	v_mov_b32_e32 v25, v21
	ds_load_b64 v[27:28], v15 offset:8
.LBB128_186:                            ;   in Loop: Header=BB128_2 Depth=1
	s_or_b32 exec_lo, exec_lo, s10
	v_add_nc_u32_e32 v15, 1, v14
	v_add_nc_u32_e32 v16, 1, v13
	s_wait_dscnt 0x0
	v_cmp_lt_i64_e64 s10, v[27:28], v[25:26]
                                        ; implicit-def: $vgpr29_vgpr30
	s_delay_alu instid0(VALU_DEP_3) | instskip(NEXT) | instid1(VALU_DEP_3)
	v_cndmask_b32_e64 v14, v15, v14, s9
	v_cndmask_b32_e64 v13, v13, v16, s9
	s_delay_alu instid0(VALU_DEP_2) | instskip(NEXT) | instid1(VALU_DEP_2)
	v_cmp_le_i32_e64 s11, 0x100, v14
	v_cmp_gt_i32_e64 s12, 0x200, v13
	s_or_b32 s10, s11, s10
	s_wait_alu 0xfffe
	s_and_b32 s10, s12, s10
	s_wait_alu 0xfffe
	s_xor_b32 s11, s10, -1
	s_wait_alu 0xfffe
	s_and_saveexec_b32 s12, s11
	s_delay_alu instid0(SALU_CYCLE_1)
	s_xor_b32 s11, exec_lo, s12
; %bb.187:                              ;   in Loop: Header=BB128_2 Depth=1
	v_lshlrev_b32_e32 v15, 3, v14
	ds_load_b64 v[29:30], v15 offset:8
; %bb.188:                              ;   in Loop: Header=BB128_2 Depth=1
	s_wait_alu 0xfffe
	s_or_saveexec_b32 s11, s11
	v_dual_mov_b32 v32, v28 :: v_dual_mov_b32 v31, v27
	s_wait_alu 0xfffe
	s_xor_b32 exec_lo, exec_lo, s11
	s_cbranch_execz .LBB128_190
; %bb.189:                              ;   in Loop: Header=BB128_2 Depth=1
	s_wait_dscnt 0x0
	v_dual_mov_b32 v30, v26 :: v_dual_lshlrev_b32 v15, 3, v13
	v_mov_b32_e32 v29, v25
	ds_load_b64 v[31:32], v15 offset:8
.LBB128_190:                            ;   in Loop: Header=BB128_2 Depth=1
	s_or_b32 exec_lo, exec_lo, s11
	v_add_nc_u32_e32 v15, 1, v14
	v_add_nc_u32_e32 v16, 1, v13
	s_wait_dscnt 0x0
	v_cmp_lt_i64_e64 s11, v[31:32], v[29:30]
                                        ; implicit-def: $vgpr33_vgpr34
                                        ; implicit-def: $vgpr83
	s_delay_alu instid0(VALU_DEP_3) | instskip(NEXT) | instid1(VALU_DEP_3)
	v_cndmask_b32_e64 v14, v15, v14, s10
	v_cndmask_b32_e64 v82, v13, v16, s10
	s_delay_alu instid0(VALU_DEP_2) | instskip(NEXT) | instid1(VALU_DEP_2)
	v_cmp_le_i32_e64 s12, 0x100, v14
	v_cmp_gt_i32_e64 s13, 0x200, v82
	s_or_b32 s11, s12, s11
	s_wait_alu 0xfffe
	s_and_b32 s11, s13, s11
	s_wait_alu 0xfffe
	s_xor_b32 s12, s11, -1
	s_delay_alu instid0(SALU_CYCLE_1) | instskip(NEXT) | instid1(SALU_CYCLE_1)
	s_and_saveexec_b32 s13, s12
	s_xor_b32 s12, exec_lo, s13
; %bb.191:                              ;   in Loop: Header=BB128_2 Depth=1
	v_lshlrev_b32_e32 v13, 3, v14
	v_add_nc_u32_e32 v83, 1, v14
                                        ; implicit-def: $vgpr14
	ds_load_b64 v[33:34], v13 offset:8
; %bb.192:                              ;   in Loop: Header=BB128_2 Depth=1
	s_or_saveexec_b32 s12, s12
	v_dual_mov_b32 v36, v32 :: v_dual_mov_b32 v35, v31
	s_xor_b32 exec_lo, exec_lo, s12
	s_cbranch_execz .LBB128_1
; %bb.193:                              ;   in Loop: Header=BB128_2 Depth=1
	s_wait_dscnt 0x0
	v_dual_mov_b32 v34, v30 :: v_dual_lshlrev_b32 v13, 3, v82
	v_dual_mov_b32 v83, v14 :: v_dual_add_nc_u32 v82, 1, v82
	v_mov_b32_e32 v33, v29
	ds_load_b64 v[35:36], v13 offset:8
	s_branch .LBB128_1
.LBB128_194:
	v_lshlrev_b32_e32 v0, 3, v0
	s_add_nc_u64 s[0:1], s[14:15], s[18:19]
	s_clause 0x7
	global_store_b64 v0, v[13:14], s[0:1]
	global_store_b64 v0, v[15:16], s[0:1] offset:512
	global_store_b64 v0, v[5:6], s[0:1] offset:1024
	;; [unrolled: 1-line block ×7, first 2 shown]
	s_endpgm
	.section	.rodata,"a",@progbits
	.p2align	6, 0x0
	.amdhsa_kernel _Z16sort_keys_kernelIxLj64ELj8EN10test_utils4lessELj10EEvPKT_PS2_T2_
		.amdhsa_group_segment_fixed_size 4104
		.amdhsa_private_segment_fixed_size 0
		.amdhsa_kernarg_size 20
		.amdhsa_user_sgpr_count 2
		.amdhsa_user_sgpr_dispatch_ptr 0
		.amdhsa_user_sgpr_queue_ptr 0
		.amdhsa_user_sgpr_kernarg_segment_ptr 1
		.amdhsa_user_sgpr_dispatch_id 0
		.amdhsa_user_sgpr_private_segment_size 0
		.amdhsa_wavefront_size32 1
		.amdhsa_uses_dynamic_stack 0
		.amdhsa_enable_private_segment 0
		.amdhsa_system_sgpr_workgroup_id_x 1
		.amdhsa_system_sgpr_workgroup_id_y 0
		.amdhsa_system_sgpr_workgroup_id_z 0
		.amdhsa_system_sgpr_workgroup_info 0
		.amdhsa_system_vgpr_workitem_id 0
		.amdhsa_next_free_vgpr 84
		.amdhsa_next_free_sgpr 20
		.amdhsa_reserve_vcc 1
		.amdhsa_float_round_mode_32 0
		.amdhsa_float_round_mode_16_64 0
		.amdhsa_float_denorm_mode_32 3
		.amdhsa_float_denorm_mode_16_64 3
		.amdhsa_fp16_overflow 0
		.amdhsa_workgroup_processor_mode 1
		.amdhsa_memory_ordered 1
		.amdhsa_forward_progress 1
		.amdhsa_inst_pref_size 97
		.amdhsa_round_robin_scheduling 0
		.amdhsa_exception_fp_ieee_invalid_op 0
		.amdhsa_exception_fp_denorm_src 0
		.amdhsa_exception_fp_ieee_div_zero 0
		.amdhsa_exception_fp_ieee_overflow 0
		.amdhsa_exception_fp_ieee_underflow 0
		.amdhsa_exception_fp_ieee_inexact 0
		.amdhsa_exception_int_div_zero 0
	.end_amdhsa_kernel
	.section	.text._Z16sort_keys_kernelIxLj64ELj8EN10test_utils4lessELj10EEvPKT_PS2_T2_,"axG",@progbits,_Z16sort_keys_kernelIxLj64ELj8EN10test_utils4lessELj10EEvPKT_PS2_T2_,comdat
.Lfunc_end128:
	.size	_Z16sort_keys_kernelIxLj64ELj8EN10test_utils4lessELj10EEvPKT_PS2_T2_, .Lfunc_end128-_Z16sort_keys_kernelIxLj64ELj8EN10test_utils4lessELj10EEvPKT_PS2_T2_
                                        ; -- End function
	.set _Z16sort_keys_kernelIxLj64ELj8EN10test_utils4lessELj10EEvPKT_PS2_T2_.num_vgpr, 84
	.set _Z16sort_keys_kernelIxLj64ELj8EN10test_utils4lessELj10EEvPKT_PS2_T2_.num_agpr, 0
	.set _Z16sort_keys_kernelIxLj64ELj8EN10test_utils4lessELj10EEvPKT_PS2_T2_.numbered_sgpr, 20
	.set _Z16sort_keys_kernelIxLj64ELj8EN10test_utils4lessELj10EEvPKT_PS2_T2_.num_named_barrier, 0
	.set _Z16sort_keys_kernelIxLj64ELj8EN10test_utils4lessELj10EEvPKT_PS2_T2_.private_seg_size, 0
	.set _Z16sort_keys_kernelIxLj64ELj8EN10test_utils4lessELj10EEvPKT_PS2_T2_.uses_vcc, 1
	.set _Z16sort_keys_kernelIxLj64ELj8EN10test_utils4lessELj10EEvPKT_PS2_T2_.uses_flat_scratch, 0
	.set _Z16sort_keys_kernelIxLj64ELj8EN10test_utils4lessELj10EEvPKT_PS2_T2_.has_dyn_sized_stack, 0
	.set _Z16sort_keys_kernelIxLj64ELj8EN10test_utils4lessELj10EEvPKT_PS2_T2_.has_recursion, 0
	.set _Z16sort_keys_kernelIxLj64ELj8EN10test_utils4lessELj10EEvPKT_PS2_T2_.has_indirect_call, 0
	.section	.AMDGPU.csdata,"",@progbits
; Kernel info:
; codeLenInByte = 12316
; TotalNumSgprs: 22
; NumVgprs: 84
; ScratchSize: 0
; MemoryBound: 0
; FloatMode: 240
; IeeeMode: 1
; LDSByteSize: 4104 bytes/workgroup (compile time only)
; SGPRBlocks: 0
; VGPRBlocks: 10
; NumSGPRsForWavesPerEU: 22
; NumVGPRsForWavesPerEU: 84
; Occupancy: 16
; WaveLimiterHint : 1
; COMPUTE_PGM_RSRC2:SCRATCH_EN: 0
; COMPUTE_PGM_RSRC2:USER_SGPR: 2
; COMPUTE_PGM_RSRC2:TRAP_HANDLER: 0
; COMPUTE_PGM_RSRC2:TGID_X_EN: 1
; COMPUTE_PGM_RSRC2:TGID_Y_EN: 0
; COMPUTE_PGM_RSRC2:TGID_Z_EN: 0
; COMPUTE_PGM_RSRC2:TIDIG_COMP_CNT: 0
	.section	.text._Z17sort_pairs_kernelIxLj64ELj8EN10test_utils4lessELj10EEvPKT_PS2_T2_,"axG",@progbits,_Z17sort_pairs_kernelIxLj64ELj8EN10test_utils4lessELj10EEvPKT_PS2_T2_,comdat
	.protected	_Z17sort_pairs_kernelIxLj64ELj8EN10test_utils4lessELj10EEvPKT_PS2_T2_ ; -- Begin function _Z17sort_pairs_kernelIxLj64ELj8EN10test_utils4lessELj10EEvPKT_PS2_T2_
	.globl	_Z17sort_pairs_kernelIxLj64ELj8EN10test_utils4lessELj10EEvPKT_PS2_T2_
	.p2align	8
	.type	_Z17sort_pairs_kernelIxLj64ELj8EN10test_utils4lessELj10EEvPKT_PS2_T2_,@function
_Z17sort_pairs_kernelIxLj64ELj8EN10test_utils4lessELj10EEvPKT_PS2_T2_: ; @_Z17sort_pairs_kernelIxLj64ELj8EN10test_utils4lessELj10EEvPKT_PS2_T2_
; %bb.0:
	s_load_b128 s[44:47], s[0:1], 0x0
	s_lshl_b32 s42, ttmp9, 9
	s_mov_b32 s43, 0
	v_lshlrev_b32_e32 v1, 3, v0
	s_lshl_b64 s[48:49], s[42:43], 3
	v_lshlrev_b32_e32 v53, 6, v0
	s_delay_alu instid0(VALU_DEP_2)
	v_and_b32_e32 v54, 0x1f0, v1
	v_and_b32_e32 v2, 8, v1
	v_and_b32_e32 v55, 0x1e0, v1
	v_and_b32_e32 v3, 24, v1
	v_and_b32_e32 v56, 0x1c0, v1
	v_or_b32_e32 v62, 8, v54
	v_add_nc_u32_e32 v63, 16, v54
	v_and_b32_e32 v4, 56, v1
	v_and_b32_e32 v57, 0x180, v1
	;; [unrolled: 1-line block ×5, first 2 shown]
	s_wait_kmcnt 0x0
	s_add_nc_u64 s[0:1], s[44:45], s[48:49]
	v_subrev_nc_u32_e64 v59, 0x100, v1 clamp
	s_clause 0x7
	global_load_b64 v[19:20], v1, s[0:1]
	global_load_b64 v[35:36], v1, s[0:1] offset:512
	global_load_b64 v[33:34], v1, s[0:1] offset:1024
	;; [unrolled: 1-line block ×7, first 2 shown]
	v_min_i32_e32 v60, 0x100, v1
	v_add_nc_u32_e32 v61, 0x100, v1
	v_or_b32_e32 v65, 16, v55
	v_add_nc_u32_e32 v66, 32, v55
	v_lshlrev_b32_e32 v1, 3, v2
	v_sub_nc_u32_e32 v12, v63, v62
	v_or_b32_e32 v68, 32, v56
	v_add_nc_u32_e32 v69, 64, v56
	v_lshlrev_b32_e32 v7, 3, v3
	v_sub_nc_u32_e32 v14, v66, v65
	v_lshl_add_u32 v82, v62, 3, v1
	v_sub_nc_u32_e32 v1, v2, v12
	v_cmp_ge_i32_e64 s0, v2, v12
	v_or_b32_e32 v71, 64, v57
	v_add_nc_u32_e32 v72, 0x80, v57
	v_lshlrev_b32_e32 v8, 3, v4
	v_sub_nc_u32_e32 v16, v69, v68
	v_lshl_add_u32 v83, v65, 3, v7
	v_sub_nc_u32_e32 v7, v3, v14
	v_cndmask_b32_e64 v92, 0, v1, s0
	v_cmp_ge_i32_e64 s0, v3, v14
	v_or_b32_e32 v74, 0x80, v58
	v_add_nc_u32_e32 v75, 0x100, v58
	v_lshlrev_b32_e32 v9, 3, v5
	v_sub_nc_u32_e32 v30, v72, v71
	v_lshl_add_u32 v84, v68, 3, v8
	v_sub_nc_u32_e32 v8, v4, v16
	s_wait_alu 0xf1ff
	v_cndmask_b32_e64 v93, 0, v7, s0
	v_cmp_ge_i32_e64 s0, v4, v16
	v_sub_nc_u32_e32 v15, v68, v56
	v_sub_nc_u32_e32 v13, v65, v55
	v_lshlrev_b32_e32 v10, 3, v6
	v_sub_nc_u32_e32 v32, v75, v74
	v_lshl_add_u32 v85, v71, 3, v9
	v_sub_nc_u32_e32 v9, v5, v30
	s_wait_alu 0xf1ff
	v_cndmask_b32_e64 v94, 0, v8, s0
	v_cmp_ge_i32_e64 s0, v5, v30
	v_sub_nc_u32_e32 v11, v62, v54
	v_min_i32_e32 v89, v4, v15
	v_min_i32_e32 v88, v3, v13
	v_lshl_add_u32 v86, v74, 3, v10
	v_sub_nc_u32_e32 v10, v6, v32
	s_wait_alu 0xf1ff
	v_cndmask_b32_e64 v95, 0, v9, s0
	v_cmp_ge_i32_e64 s0, v6, v32
	v_min_i32_e32 v87, v2, v11
	v_sub_nc_u32_e32 v29, v71, v57
	v_sub_nc_u32_e32 v31, v74, v58
	v_add_nc_u32_e32 v80, v71, v5
	s_wait_alu 0xf1ff
	v_cndmask_b32_e64 v96, 0, v10, s0
	v_add_nc_u32_e32 v78, v65, v3
	v_min_i32_e32 v90, v5, v29
	v_min_i32_e32 v91, v6, v31
	v_add_nc_u32_e32 v81, v74, v6
	v_add_nc_u32_e32 v79, v68, v4
	v_lshlrev_b32_e32 v64, 3, v54
	v_lshlrev_b32_e32 v67, 3, v55
	v_lshlrev_b32_e32 v70, 3, v56
	v_lshlrev_b32_e32 v73, 3, v57
	v_lshlrev_b32_e32 v76, 3, v58
	v_add_nc_u32_e32 v77, v62, v2
	v_cmp_lt_i32_e64 s0, v92, v87
	v_cmp_lt_i32_e64 s1, v93, v88
	;; [unrolled: 1-line block ×5, first 2 shown]
	v_add_nc_u32_e32 v97, 0x800, v53
	v_cmp_lt_i32_e32 vcc_lo, v59, v60
	s_wait_loadcnt 0x7
	v_add_co_u32 v15, s5, v19, 1
	s_delay_alu instid0(VALU_DEP_1)
	v_add_co_ci_u32_e64 v16, null, 0, v20, s5
	s_wait_loadcnt 0x6
	v_add_co_u32 v13, s5, v35, 1
	s_wait_alu 0xf1ff
	v_add_co_ci_u32_e64 v14, null, 0, v36, s5
	s_wait_loadcnt 0x5
	v_add_co_u32 v11, s5, v33, 1
	s_wait_alu 0xf1ff
	;; [unrolled: 4-line block ×7, first 2 shown]
	v_add_co_ci_u32_e64 v2, null, 0, v18, s5
	s_branch .LBB129_2
.LBB129_1:                              ;   in Loop: Header=BB129_2 Depth=1
	s_or_b32 exec_lo, exec_lo, s12
	s_wait_dscnt 0x0
	s_delay_alu instid0(VALU_DEP_1)
	v_cmp_lt_i64_e64 s12, v[51:52], v[49:50]
	v_cmp_le_i32_e64 s13, 0x100, v108
	v_cmp_gt_i32_e64 s14, 0x200, v107
	v_cndmask_b32_e64 v33, v33, v34, s5
	v_cndmask_b32_e64 v35, v35, v36, s6
	;; [unrolled: 1-line block ×3, first 2 shown]
	s_or_b32 s12, s13, s12
	v_cndmask_b32_e64 v100, v100, v101, s8
	s_wait_alu 0xfffe
	s_and_b32 s12, s14, s12
	v_cndmask_b32_e64 v104, v104, v105, s10
	v_cndmask_b32_e64 v102, v102, v103, s9
	s_wait_alu 0xfffe
	v_cndmask_b32_e64 v34, v108, v107, s12
	s_wait_loadcnt 0x0
	s_barrier_signal -1
	s_barrier_wait -1
	global_inv scope:SCOPE_SE
	ds_store_2addr_b64 v53, v[13:14], v[15:16] offset1:1
	ds_store_2addr_b64 v53, v[9:10], v[11:12] offset0:2 offset1:3
	ds_store_2addr_b64 v53, v[5:6], v[7:8] offset0:4 offset1:5
	;; [unrolled: 1-line block ×3, first 2 shown]
	v_lshlrev_b32_e32 v1, 3, v33
	v_lshlrev_b32_e32 v2, 3, v35
	;; [unrolled: 1-line block ×6, first 2 shown]
	s_wait_loadcnt_dscnt 0x0
	s_barrier_signal -1
	s_barrier_wait -1
	global_inv scope:SCOPE_SE
	v_lshlrev_b32_e32 v33, 3, v106
	v_lshlrev_b32_e32 v34, 3, v34
	ds_load_b64 v[15:16], v1
	ds_load_b64 v[13:14], v2
	;; [unrolled: 1-line block ×8, first 2 shown]
	v_cndmask_b32_e64 v20, v18, v20, s5
	v_cndmask_b32_e64 v18, v50, v52, s12
	;; [unrolled: 1-line block ×16, first 2 shown]
	s_add_co_i32 s43, s43, 1
	s_delay_alu instid0(SALU_CYCLE_1)
	s_cmp_eq_u32 s43, 10
	s_cbranch_scc1 .LBB129_194
.LBB129_2:                              ; =>This Loop Header: Depth=1
                                        ;     Child Loop BB129_4 Depth 2
                                        ;     Child Loop BB129_36 Depth 2
	;; [unrolled: 1-line block ×6, first 2 shown]
	v_cmp_lt_i64_e64 s5, v[35:36], v[19:20]
	v_cmp_lt_i64_e64 s6, v[27:28], v[33:34]
	;; [unrolled: 1-line block ×4, first 2 shown]
	s_barrier_signal -1
	s_wait_alu 0xf1ff
	v_cndmask_b32_e64 v30, v20, v36, s5
	v_cndmask_b32_e64 v32, v28, v34, s6
	;; [unrolled: 1-line block ×16, first 2 shown]
	v_cmp_lt_i64_e64 s9, v[27:28], v[19:20]
	v_cmp_lt_i64_e64 s10, v[23:24], v[31:32]
	s_barrier_wait -1
	global_inv scope:SCOPE_SE
	v_cmp_lt_i64_e64 s11, v[17:18], v[33:34]
	s_wait_alu 0xf1ff
	v_cndmask_b32_e64 v22, v28, v20, s9
	v_cndmask_b32_e64 v21, v27, v19, s9
	v_cndmask_b32_e64 v20, v20, v28, s9
	v_cndmask_b32_e64 v19, v19, v27, s9
	v_cndmask_b32_e64 v28, v24, v32, s10
	v_cndmask_b32_e64 v27, v23, v31, s10
	v_cndmask_b32_e64 v24, v32, v24, s10
	v_cndmask_b32_e64 v23, v31, v23, s10
	v_cndmask_b32_e64 v32, v18, v34, s11
	v_cndmask_b32_e64 v31, v17, v33, s11
	v_cndmask_b32_e64 v18, v34, v18, s11
	v_cndmask_b32_e64 v17, v33, v17, s11
	v_cmp_lt_i64_e64 s12, v[19:20], v[29:30]
	v_cmp_lt_i64_e64 s13, v[23:24], v[21:22]
	;; [unrolled: 1-line block ×3, first 2 shown]
	s_delay_alu instid0(VALU_DEP_4) | instskip(SKIP_1) | instid1(VALU_DEP_4)
	v_cmp_lt_i64_e64 s14, v[17:18], v[27:28]
	s_wait_alu 0xf1ff
	v_cndmask_b32_e64 v34, v30, v20, s12
	v_cndmask_b32_e64 v33, v29, v19, s12
	;; [unrolled: 1-line block ×16, first 2 shown]
	v_cmp_lt_i64_e64 s16, v[21:22], v[19:20]
	v_cmp_lt_i64_e64 s17, v[17:18], v[29:30]
	s_delay_alu instid0(VALU_DEP_3) | instskip(SKIP_1) | instid1(VALU_DEP_3)
	v_cmp_lt_i64_e64 s18, v[25:26], v[23:24]
	s_wait_alu 0xf1ff
	v_cndmask_b32_e64 v32, v22, v20, s16
	v_cndmask_b32_e64 v31, v21, v19, s16
	;; [unrolled: 1-line block ×12, first 2 shown]
	v_cmp_lt_i64_e64 s19, v[19:20], v[33:34]
	v_cmp_lt_i64_e64 s20, v[17:18], v[31:32]
	;; [unrolled: 1-line block ×3, first 2 shown]
	s_delay_alu instid0(VALU_DEP_4) | instskip(SKIP_1) | instid1(VALU_DEP_4)
	v_cmp_lt_i64_e64 s21, v[23:24], v[21:22]
	s_wait_alu 0xf1ff
	v_cndmask_b32_e64 v26, v34, v20, s19
	v_cndmask_b32_e64 v25, v33, v19, s19
	;; [unrolled: 1-line block ×16, first 2 shown]
	v_cmp_lt_i64_e64 s23, v[17:18], v[19:20]
	v_cmp_lt_i64_e64 s24, v[21:22], v[33:34]
	s_delay_alu instid0(VALU_DEP_3) | instskip(SKIP_1) | instid1(VALU_DEP_3)
	v_cmp_lt_i64_e64 s25, v[27:28], v[31:32]
	s_wait_alu 0xf1ff
	v_cndmask_b32_e64 v30, v18, v20, s23
	v_cndmask_b32_e64 v29, v17, v19, s23
	;; [unrolled: 1-line block ×12, first 2 shown]
	v_cmp_lt_i64_e64 s26, v[17:18], v[25:26]
	v_cmp_lt_i64_e64 s27, v[21:22], v[29:30]
	;; [unrolled: 1-line block ×3, first 2 shown]
	s_delay_alu instid0(VALU_DEP_4) | instskip(SKIP_1) | instid1(VALU_DEP_4)
	v_cmp_lt_i64_e64 s28, v[27:28], v[19:20]
	s_wait_alu 0xf1ff
	v_cndmask_b32_e64 v32, v18, v26, s26
	v_cndmask_b32_e64 v31, v17, v25, s26
	;; [unrolled: 1-line block ×14, first 2 shown]
	v_cmp_lt_i64_e64 s31, v[21:22], v[31:32]
	v_cndmask_b32_e64 v24, v24, v34, s29
	v_cmp_lt_i64_e64 s33, v[19:20], v[25:26]
	v_cndmask_b32_e64 v23, v23, v33, s29
	v_cmp_lt_i64_e64 s30, v[27:28], v[29:30]
	s_wait_alu 0xf1ff
	v_cndmask_b32_e64 v34, v22, v32, s31
	v_cndmask_b32_e64 v33, v21, v31, s31
	;; [unrolled: 1-line block ×12, first 2 shown]
	ds_store_2addr_b64 v53, v[17:18], v[21:22] offset1:1
	ds_store_2addr_b64 v53, v[33:34], v[19:20] offset0:2 offset1:3
	ds_store_2addr_b64 v53, v[31:32], v[27:28] offset0:4 offset1:5
	;; [unrolled: 1-line block ×3, first 2 shown]
	v_mov_b32_e32 v21, v92
	s_wait_loadcnt_dscnt 0x0
	s_barrier_signal -1
	s_barrier_wait -1
	global_inv scope:SCOPE_SE
	s_and_saveexec_b32 s35, s0
	s_cbranch_execz .LBB129_6
; %bb.3:                                ;   in Loop: Header=BB129_2 Depth=1
	v_mov_b32_e32 v21, v92
	v_mov_b32_e32 v17, v87
	s_mov_b32 s36, 0
.LBB129_4:                              ;   Parent Loop BB129_2 Depth=1
                                        ; =>  This Inner Loop Header: Depth=2
	s_delay_alu instid0(VALU_DEP_1) | instskip(NEXT) | instid1(VALU_DEP_1)
	v_sub_nc_u32_e32 v18, v17, v21
	v_lshrrev_b32_e32 v18, 1, v18
	s_delay_alu instid0(VALU_DEP_1) | instskip(NEXT) | instid1(VALU_DEP_1)
	v_add_nc_u32_e32 v20, v18, v21
	v_not_b32_e32 v18, v20
	v_lshl_add_u32 v19, v20, 3, v64
	s_delay_alu instid0(VALU_DEP_2)
	v_lshl_add_u32 v22, v18, 3, v82
	ds_load_b64 v[18:19], v19
	ds_load_b64 v[22:23], v22
	s_wait_dscnt 0x0
	v_cmp_lt_i64_e64 s34, v[22:23], v[18:19]
	v_add_nc_u32_e32 v18, 1, v20
	s_wait_alu 0xf1ff
	s_delay_alu instid0(VALU_DEP_2) | instskip(NEXT) | instid1(VALU_DEP_2)
	v_cndmask_b32_e64 v17, v17, v20, s34
	v_cndmask_b32_e64 v21, v18, v21, s34
	s_delay_alu instid0(VALU_DEP_1)
	v_cmp_ge_i32_e64 s34, v21, v17
	s_wait_alu 0xfffe
	s_or_b32 s36, s34, s36
	s_wait_alu 0xfffe
	s_and_not1_b32 exec_lo, exec_lo, s36
	s_cbranch_execnz .LBB129_4
; %bb.5:                                ;   in Loop: Header=BB129_2 Depth=1
	s_or_b32 exec_lo, exec_lo, s36
.LBB129_6:                              ;   in Loop: Header=BB129_2 Depth=1
	s_wait_alu 0xfffe
	s_or_b32 exec_lo, exec_lo, s35
	v_sub_nc_u32_e32 v49, v77, v21
	v_lshl_add_u32 v23, v21, 3, v64
	v_add_nc_u32_e32 v50, v21, v54
                                        ; implicit-def: $vgpr21_vgpr22
	s_delay_alu instid0(VALU_DEP_3) | instskip(SKIP_1) | instid1(VALU_DEP_3)
	v_lshlrev_b32_e32 v25, 3, v49
	v_cmp_gt_i32_e64 s36, v63, v49
	v_cmp_le_i32_e64 s35, v62, v50
	ds_load_b64 v[17:18], v23
	ds_load_b64 v[19:20], v25
	s_wait_dscnt 0x0
	v_cmp_lt_i64_e64 s34, v[19:20], v[17:18]
	s_or_b32 s34, s35, s34
	s_wait_alu 0xfffe
	s_and_b32 s34, s36, s34
	s_wait_alu 0xfffe
	s_xor_b32 s35, s34, -1
	s_wait_alu 0xfffe
	s_and_saveexec_b32 s36, s35
	s_wait_alu 0xfffe
	s_xor_b32 s35, exec_lo, s36
; %bb.7:                                ;   in Loop: Header=BB129_2 Depth=1
	ds_load_b64 v[21:22], v23 offset:8
                                        ; implicit-def: $vgpr25
; %bb.8:                                ;   in Loop: Header=BB129_2 Depth=1
	s_wait_alu 0xfffe
	s_or_saveexec_b32 s35, s35
	v_dual_mov_b32 v24, v20 :: v_dual_mov_b32 v23, v19
	s_wait_alu 0xfffe
	s_xor_b32 exec_lo, exec_lo, s35
	s_cbranch_execz .LBB129_10
; %bb.9:                                ;   in Loop: Header=BB129_2 Depth=1
	ds_load_b64 v[23:24], v25 offset:8
	s_wait_dscnt 0x1
	v_dual_mov_b32 v22, v18 :: v_dual_mov_b32 v21, v17
.LBB129_10:                             ;   in Loop: Header=BB129_2 Depth=1
	s_or_b32 exec_lo, exec_lo, s35
	v_add_nc_u32_e32 v25, 1, v50
	v_add_nc_u32_e32 v26, 1, v49
	s_wait_dscnt 0x0
	v_cmp_lt_i64_e64 s35, v[23:24], v[21:22]
	s_delay_alu instid0(VALU_DEP_3) | instskip(NEXT) | instid1(VALU_DEP_3)
	v_cndmask_b32_e64 v51, v25, v50, s34
	v_cndmask_b32_e64 v52, v49, v26, s34
                                        ; implicit-def: $vgpr25_vgpr26
	s_delay_alu instid0(VALU_DEP_2) | instskip(NEXT) | instid1(VALU_DEP_2)
	v_cmp_ge_i32_e64 s36, v51, v62
	v_cmp_lt_i32_e64 s37, v52, v63
	s_or_b32 s35, s36, s35
	s_wait_alu 0xfffe
	s_and_b32 s35, s37, s35
	s_wait_alu 0xfffe
	s_xor_b32 s36, s35, -1
	s_wait_alu 0xfffe
	s_and_saveexec_b32 s37, s36
	s_wait_alu 0xfffe
	s_xor_b32 s36, exec_lo, s37
; %bb.11:                               ;   in Loop: Header=BB129_2 Depth=1
	v_lshlrev_b32_e32 v25, 3, v51
	ds_load_b64 v[25:26], v25 offset:8
; %bb.12:                               ;   in Loop: Header=BB129_2 Depth=1
	s_wait_alu 0xfffe
	s_or_saveexec_b32 s36, s36
	v_dual_mov_b32 v28, v24 :: v_dual_mov_b32 v27, v23
	s_wait_alu 0xfffe
	s_xor_b32 exec_lo, exec_lo, s36
	s_cbranch_execz .LBB129_14
; %bb.13:                               ;   in Loop: Header=BB129_2 Depth=1
	s_wait_dscnt 0x0
	v_lshlrev_b32_e32 v25, 3, v52
	ds_load_b64 v[27:28], v25 offset:8
	v_dual_mov_b32 v26, v22 :: v_dual_mov_b32 v25, v21
.LBB129_14:                             ;   in Loop: Header=BB129_2 Depth=1
	s_or_b32 exec_lo, exec_lo, s36
	v_add_nc_u32_e32 v29, 1, v51
	v_add_nc_u32_e32 v30, 1, v52
	s_wait_dscnt 0x0
	v_cmp_lt_i64_e64 s36, v[27:28], v[25:26]
                                        ; implicit-def: $vgpr33_vgpr34
	s_delay_alu instid0(VALU_DEP_3) | instskip(NEXT) | instid1(VALU_DEP_3)
	v_cndmask_b32_e64 v98, v29, v51, s35
	v_cndmask_b32_e64 v99, v52, v30, s35
	s_delay_alu instid0(VALU_DEP_2) | instskip(NEXT) | instid1(VALU_DEP_2)
	v_cmp_ge_i32_e64 s37, v98, v62
	v_cmp_lt_i32_e64 s38, v99, v63
	s_or_b32 s36, s37, s36
	s_wait_alu 0xfffe
	s_and_b32 s36, s38, s36
	s_wait_alu 0xfffe
	s_xor_b32 s37, s36, -1
	s_wait_alu 0xfffe
	s_and_saveexec_b32 s38, s37
	s_wait_alu 0xfffe
	s_xor_b32 s37, exec_lo, s38
; %bb.15:                               ;   in Loop: Header=BB129_2 Depth=1
	v_lshlrev_b32_e32 v29, 3, v98
	ds_load_b64 v[33:34], v29 offset:8
; %bb.16:                               ;   in Loop: Header=BB129_2 Depth=1
	s_wait_alu 0xfffe
	s_or_saveexec_b32 s37, s37
	v_dual_mov_b32 v36, v28 :: v_dual_mov_b32 v35, v27
	s_wait_alu 0xfffe
	s_xor_b32 exec_lo, exec_lo, s37
	s_cbranch_execz .LBB129_18
; %bb.17:                               ;   in Loop: Header=BB129_2 Depth=1
	s_wait_dscnt 0x0
	v_dual_mov_b32 v34, v26 :: v_dual_lshlrev_b32 v29, 3, v99
	v_mov_b32_e32 v33, v25
	ds_load_b64 v[35:36], v29 offset:8
.LBB129_18:                             ;   in Loop: Header=BB129_2 Depth=1
	s_or_b32 exec_lo, exec_lo, s37
	v_add_nc_u32_e32 v29, 1, v98
	v_add_nc_u32_e32 v30, 1, v99
	s_wait_dscnt 0x0
	v_cmp_lt_i64_e64 s37, v[35:36], v[33:34]
                                        ; implicit-def: $vgpr37_vgpr38
	s_delay_alu instid0(VALU_DEP_3) | instskip(NEXT) | instid1(VALU_DEP_3)
	v_cndmask_b32_e64 v100, v29, v98, s36
	v_cndmask_b32_e64 v101, v99, v30, s36
	s_delay_alu instid0(VALU_DEP_2) | instskip(NEXT) | instid1(VALU_DEP_2)
	v_cmp_ge_i32_e64 s38, v100, v62
	v_cmp_lt_i32_e64 s39, v101, v63
	s_or_b32 s37, s38, s37
	s_wait_alu 0xfffe
	s_and_b32 s37, s39, s37
	s_wait_alu 0xfffe
	s_xor_b32 s38, s37, -1
	s_wait_alu 0xfffe
	s_and_saveexec_b32 s39, s38
	s_wait_alu 0xfffe
	s_xor_b32 s38, exec_lo, s39
; %bb.19:                               ;   in Loop: Header=BB129_2 Depth=1
	v_lshlrev_b32_e32 v29, 3, v100
	ds_load_b64 v[37:38], v29 offset:8
; %bb.20:                               ;   in Loop: Header=BB129_2 Depth=1
	s_wait_alu 0xfffe
	s_or_saveexec_b32 s38, s38
	v_dual_mov_b32 v40, v36 :: v_dual_mov_b32 v39, v35
	s_wait_alu 0xfffe
	s_xor_b32 exec_lo, exec_lo, s38
	s_cbranch_execz .LBB129_22
; %bb.21:                               ;   in Loop: Header=BB129_2 Depth=1
	s_wait_dscnt 0x0
	v_dual_mov_b32 v38, v34 :: v_dual_lshlrev_b32 v29, 3, v101
	v_mov_b32_e32 v37, v33
	ds_load_b64 v[39:40], v29 offset:8
.LBB129_22:                             ;   in Loop: Header=BB129_2 Depth=1
	s_or_b32 exec_lo, exec_lo, s38
	v_add_nc_u32_e32 v29, 1, v100
	v_add_nc_u32_e32 v30, 1, v101
	s_wait_dscnt 0x0
	v_cmp_lt_i64_e64 s38, v[39:40], v[37:38]
                                        ; implicit-def: $vgpr41_vgpr42
	s_delay_alu instid0(VALU_DEP_3) | instskip(NEXT) | instid1(VALU_DEP_3)
	v_cndmask_b32_e64 v102, v29, v100, s37
	v_cndmask_b32_e64 v103, v101, v30, s37
	s_delay_alu instid0(VALU_DEP_2) | instskip(NEXT) | instid1(VALU_DEP_2)
	v_cmp_ge_i32_e64 s39, v102, v62
	v_cmp_lt_i32_e64 s40, v103, v63
	s_or_b32 s38, s39, s38
	s_wait_alu 0xfffe
	s_and_b32 s38, s40, s38
	s_wait_alu 0xfffe
	s_xor_b32 s39, s38, -1
	s_wait_alu 0xfffe
	s_and_saveexec_b32 s40, s39
	s_wait_alu 0xfffe
	s_xor_b32 s39, exec_lo, s40
; %bb.23:                               ;   in Loop: Header=BB129_2 Depth=1
	v_lshlrev_b32_e32 v29, 3, v102
	ds_load_b64 v[41:42], v29 offset:8
; %bb.24:                               ;   in Loop: Header=BB129_2 Depth=1
	s_wait_alu 0xfffe
	s_or_saveexec_b32 s39, s39
	v_dual_mov_b32 v44, v40 :: v_dual_mov_b32 v43, v39
	s_wait_alu 0xfffe
	s_xor_b32 exec_lo, exec_lo, s39
	s_cbranch_execz .LBB129_26
; %bb.25:                               ;   in Loop: Header=BB129_2 Depth=1
	s_wait_dscnt 0x0
	v_dual_mov_b32 v42, v38 :: v_dual_lshlrev_b32 v29, 3, v103
	v_mov_b32_e32 v41, v37
	ds_load_b64 v[43:44], v29 offset:8
.LBB129_26:                             ;   in Loop: Header=BB129_2 Depth=1
	s_or_b32 exec_lo, exec_lo, s39
	v_add_nc_u32_e32 v29, 1, v102
	v_add_nc_u32_e32 v30, 1, v103
	s_wait_dscnt 0x0
	v_cmp_lt_i64_e64 s39, v[43:44], v[41:42]
                                        ; implicit-def: $vgpr45_vgpr46
	s_delay_alu instid0(VALU_DEP_3) | instskip(NEXT) | instid1(VALU_DEP_3)
	v_cndmask_b32_e64 v104, v29, v102, s38
	v_cndmask_b32_e64 v105, v103, v30, s38
	s_delay_alu instid0(VALU_DEP_2) | instskip(NEXT) | instid1(VALU_DEP_2)
	v_cmp_ge_i32_e64 s40, v104, v62
	v_cmp_lt_i32_e64 s41, v105, v63
	s_or_b32 s39, s40, s39
	s_wait_alu 0xfffe
	s_and_b32 s39, s41, s39
	s_wait_alu 0xfffe
	s_xor_b32 s40, s39, -1
	s_wait_alu 0xfffe
	s_and_saveexec_b32 s41, s40
	s_wait_alu 0xfffe
	s_xor_b32 s40, exec_lo, s41
; %bb.27:                               ;   in Loop: Header=BB129_2 Depth=1
	v_lshlrev_b32_e32 v29, 3, v104
	ds_load_b64 v[45:46], v29 offset:8
; %bb.28:                               ;   in Loop: Header=BB129_2 Depth=1
	s_wait_alu 0xfffe
	s_or_saveexec_b32 s40, s40
	v_dual_mov_b32 v48, v44 :: v_dual_mov_b32 v47, v43
	s_wait_alu 0xfffe
	s_xor_b32 exec_lo, exec_lo, s40
	s_cbranch_execz .LBB129_30
; %bb.29:                               ;   in Loop: Header=BB129_2 Depth=1
	s_wait_dscnt 0x0
	v_dual_mov_b32 v46, v42 :: v_dual_lshlrev_b32 v29, 3, v105
	v_mov_b32_e32 v45, v41
	ds_load_b64 v[47:48], v29 offset:8
.LBB129_30:                             ;   in Loop: Header=BB129_2 Depth=1
	s_or_b32 exec_lo, exec_lo, s40
	v_add_nc_u32_e32 v29, 1, v104
	v_add_nc_u32_e32 v30, 1, v105
	s_wait_dscnt 0x0
	v_cmp_lt_i64_e64 s40, v[47:48], v[45:46]
	s_delay_alu instid0(VALU_DEP_3) | instskip(NEXT) | instid1(VALU_DEP_3)
	v_cndmask_b32_e64 v106, v29, v104, s39
	v_cndmask_b32_e64 v107, v105, v30, s39
                                        ; implicit-def: $vgpr29_vgpr30
	s_delay_alu instid0(VALU_DEP_2) | instskip(NEXT) | instid1(VALU_DEP_2)
	v_cmp_ge_i32_e64 s41, v106, v62
	v_cmp_lt_i32_e64 s42, v107, v63
	s_or_b32 s40, s41, s40
	s_wait_alu 0xfffe
	s_and_b32 s40, s42, s40
	s_wait_alu 0xfffe
	s_xor_b32 s41, s40, -1
	s_wait_alu 0xfffe
	s_and_saveexec_b32 s42, s41
	s_delay_alu instid0(SALU_CYCLE_1)
	s_xor_b32 s41, exec_lo, s42
; %bb.31:                               ;   in Loop: Header=BB129_2 Depth=1
	v_lshlrev_b32_e32 v29, 3, v106
	ds_load_b64 v[29:30], v29 offset:8
; %bb.32:                               ;   in Loop: Header=BB129_2 Depth=1
	s_wait_alu 0xfffe
	s_or_saveexec_b32 s41, s41
	v_dual_mov_b32 v31, v47 :: v_dual_mov_b32 v32, v48
	s_wait_alu 0xfffe
	s_xor_b32 exec_lo, exec_lo, s41
	s_cbranch_execz .LBB129_34
; %bb.33:                               ;   in Loop: Header=BB129_2 Depth=1
	s_wait_dscnt 0x0
	v_lshlrev_b32_e32 v29, 3, v107
	ds_load_b64 v[31:32], v29 offset:8
	v_dual_mov_b32 v29, v45 :: v_dual_mov_b32 v30, v46
.LBB129_34:                             ;   in Loop: Header=BB129_2 Depth=1
	s_or_b32 exec_lo, exec_lo, s41
	v_cndmask_b32_e64 v42, v42, v44, s39
	v_cndmask_b32_e64 v26, v26, v28, s36
	;; [unrolled: 1-line block ×71, first 2 shown]
	v_add_nc_u32_e32 v109, 1, v106
	v_cndmask_b32_e64 v9, v14, v49, s22
	v_cndmask_b32_e64 v10, v13, v28, s22
	;; [unrolled: 1-line block ×4, first 2 shown]
	v_add_nc_u32_e32 v108, 1, v107
	v_cndmask_b32_e64 v38, v38, v40, s38
	v_cndmask_b32_e64 v40, v51, v52, s35
	;; [unrolled: 1-line block ×26, first 2 shown]
	s_wait_dscnt 0x0
	v_cmp_lt_i64_e64 s5, v[31:32], v[29:30]
	v_cndmask_b32_e64 v34, v34, v36, s37
	v_cndmask_b32_e64 v36, v98, v99, s36
	;; [unrolled: 1-line block ×6, first 2 shown]
	v_cmp_ge_i32_e64 s6, v48, v62
	v_cndmask_b32_e64 v50, v11, v9, s29
	v_cndmask_b32_e64 v51, v12, v10, s29
	v_cmp_lt_i32_e64 s7, v47, v63
	v_cndmask_b32_e64 v6, v28, v8, s31
	v_cndmask_b32_e64 v5, v49, v7, s31
	;; [unrolled: 1-line block ×8, first 2 shown]
	s_or_b32 s5, s6, s5
	v_cndmask_b32_e64 v10, v13, v16, s33
	v_cndmask_b32_e64 v9, v14, v15, s33
	;; [unrolled: 1-line block ×8, first 2 shown]
	s_wait_alu 0xfffe
	s_and_b32 s5, s7, s5
	v_cndmask_b32_e64 v41, v41, v43, s39
	v_cndmask_b32_e64 v43, v104, v105, s39
	;; [unrolled: 1-line block ×5, first 2 shown]
	s_wait_alu 0xfffe
	v_cndmask_b32_e64 v28, v30, v32, s5
	v_cndmask_b32_e64 v30, v48, v47, s5
	s_wait_loadcnt 0x0
	s_barrier_signal -1
	s_barrier_wait -1
	global_inv scope:SCOPE_SE
	ds_store_2addr_b64 v53, v[1:2], v[7:8] offset1:1
	ds_store_2addr_b64 v53, v[5:6], v[11:12] offset0:2 offset1:3
	ds_store_2addr_b64 v53, v[9:10], v[15:16] offset0:4 offset1:5
	;; [unrolled: 1-line block ×3, first 2 shown]
	v_lshlrev_b32_e32 v1, 3, v44
	v_lshlrev_b32_e32 v2, 3, v40
	;; [unrolled: 1-line block ×6, first 2 shown]
	s_wait_loadcnt_dscnt 0x0
	s_barrier_signal -1
	s_barrier_wait -1
	global_inv scope:SCOPE_SE
	v_lshlrev_b32_e32 v32, 3, v106
	v_lshlrev_b32_e32 v30, 3, v30
	ds_load_b64 v[13:14], v1
	ds_load_b64 v[15:16], v2
	;; [unrolled: 1-line block ×8, first 2 shown]
	v_cndmask_b32_e64 v22, v22, v24, s35
	v_cndmask_b32_e64 v21, v21, v23, s35
	;; [unrolled: 1-line block ×6, first 2 shown]
	s_wait_loadcnt_dscnt 0x0
	s_barrier_signal -1
	s_barrier_wait -1
	global_inv scope:SCOPE_SE
	ds_store_2addr_b64 v53, v[17:18], v[21:22] offset1:1
	ds_store_2addr_b64 v53, v[25:26], v[33:34] offset0:2 offset1:3
	ds_store_2addr_b64 v53, v[37:38], v[41:42] offset0:4 offset1:5
	;; [unrolled: 1-line block ×3, first 2 shown]
	v_mov_b32_e32 v21, v93
	s_wait_loadcnt_dscnt 0x0
	s_barrier_signal -1
	s_barrier_wait -1
	global_inv scope:SCOPE_SE
	s_and_saveexec_b32 s6, s1
	s_cbranch_execz .LBB129_38
; %bb.35:                               ;   in Loop: Header=BB129_2 Depth=1
	v_mov_b32_e32 v21, v93
	v_mov_b32_e32 v17, v88
	s_mov_b32 s7, 0
.LBB129_36:                             ;   Parent Loop BB129_2 Depth=1
                                        ; =>  This Inner Loop Header: Depth=2
	s_delay_alu instid0(VALU_DEP_1) | instskip(NEXT) | instid1(VALU_DEP_1)
	v_sub_nc_u32_e32 v18, v17, v21
	v_lshrrev_b32_e32 v18, 1, v18
	s_delay_alu instid0(VALU_DEP_1) | instskip(NEXT) | instid1(VALU_DEP_1)
	v_add_nc_u32_e32 v20, v18, v21
	v_not_b32_e32 v18, v20
	v_lshl_add_u32 v19, v20, 3, v67
	s_delay_alu instid0(VALU_DEP_2)
	v_lshl_add_u32 v22, v18, 3, v83
	ds_load_b64 v[18:19], v19
	ds_load_b64 v[22:23], v22
	s_wait_dscnt 0x0
	v_cmp_lt_i64_e64 s5, v[22:23], v[18:19]
	v_add_nc_u32_e32 v18, 1, v20
	s_wait_alu 0xf1ff
	s_delay_alu instid0(VALU_DEP_2) | instskip(NEXT) | instid1(VALU_DEP_2)
	v_cndmask_b32_e64 v17, v17, v20, s5
	v_cndmask_b32_e64 v21, v18, v21, s5
	s_delay_alu instid0(VALU_DEP_1)
	v_cmp_ge_i32_e64 s5, v21, v17
	s_wait_alu 0xfffe
	s_or_b32 s7, s5, s7
	s_wait_alu 0xfffe
	s_and_not1_b32 exec_lo, exec_lo, s7
	s_cbranch_execnz .LBB129_36
; %bb.37:                               ;   in Loop: Header=BB129_2 Depth=1
	s_or_b32 exec_lo, exec_lo, s7
.LBB129_38:                             ;   in Loop: Header=BB129_2 Depth=1
	s_wait_alu 0xfffe
	s_or_b32 exec_lo, exec_lo, s6
	v_sub_nc_u32_e32 v49, v78, v21
	v_lshl_add_u32 v23, v21, 3, v67
	v_add_nc_u32_e32 v50, v21, v55
                                        ; implicit-def: $vgpr21_vgpr22
	s_delay_alu instid0(VALU_DEP_3) | instskip(SKIP_1) | instid1(VALU_DEP_3)
	v_lshlrev_b32_e32 v25, 3, v49
	v_cmp_gt_i32_e64 s7, v66, v49
	v_cmp_le_i32_e64 s6, v65, v50
	ds_load_b64 v[17:18], v23
	ds_load_b64 v[19:20], v25
	s_wait_dscnt 0x0
	v_cmp_lt_i64_e64 s5, v[19:20], v[17:18]
	s_or_b32 s5, s6, s5
	s_wait_alu 0xfffe
	s_and_b32 s5, s7, s5
	s_wait_alu 0xfffe
	s_xor_b32 s6, s5, -1
	s_wait_alu 0xfffe
	s_and_saveexec_b32 s7, s6
	s_wait_alu 0xfffe
	s_xor_b32 s6, exec_lo, s7
; %bb.39:                               ;   in Loop: Header=BB129_2 Depth=1
	ds_load_b64 v[21:22], v23 offset:8
                                        ; implicit-def: $vgpr25
; %bb.40:                               ;   in Loop: Header=BB129_2 Depth=1
	s_wait_alu 0xfffe
	s_or_saveexec_b32 s6, s6
	v_dual_mov_b32 v24, v20 :: v_dual_mov_b32 v23, v19
	s_wait_alu 0xfffe
	s_xor_b32 exec_lo, exec_lo, s6
	s_cbranch_execz .LBB129_42
; %bb.41:                               ;   in Loop: Header=BB129_2 Depth=1
	ds_load_b64 v[23:24], v25 offset:8
	s_wait_dscnt 0x1
	v_dual_mov_b32 v22, v18 :: v_dual_mov_b32 v21, v17
.LBB129_42:                             ;   in Loop: Header=BB129_2 Depth=1
	s_or_b32 exec_lo, exec_lo, s6
	v_add_nc_u32_e32 v25, 1, v50
	v_add_nc_u32_e32 v26, 1, v49
	s_wait_dscnt 0x0
	v_cmp_lt_i64_e64 s6, v[23:24], v[21:22]
	s_delay_alu instid0(VALU_DEP_3) | instskip(NEXT) | instid1(VALU_DEP_3)
	v_cndmask_b32_e64 v51, v25, v50, s5
	v_cndmask_b32_e64 v52, v49, v26, s5
                                        ; implicit-def: $vgpr25_vgpr26
	s_delay_alu instid0(VALU_DEP_2) | instskip(NEXT) | instid1(VALU_DEP_2)
	v_cmp_ge_i32_e64 s7, v51, v65
	v_cmp_lt_i32_e64 s8, v52, v66
	s_or_b32 s6, s7, s6
	s_wait_alu 0xfffe
	s_and_b32 s6, s8, s6
	s_wait_alu 0xfffe
	s_xor_b32 s7, s6, -1
	s_wait_alu 0xfffe
	s_and_saveexec_b32 s8, s7
	s_wait_alu 0xfffe
	s_xor_b32 s7, exec_lo, s8
; %bb.43:                               ;   in Loop: Header=BB129_2 Depth=1
	v_lshlrev_b32_e32 v25, 3, v51
	ds_load_b64 v[25:26], v25 offset:8
; %bb.44:                               ;   in Loop: Header=BB129_2 Depth=1
	s_wait_alu 0xfffe
	s_or_saveexec_b32 s7, s7
	v_dual_mov_b32 v28, v24 :: v_dual_mov_b32 v27, v23
	s_wait_alu 0xfffe
	s_xor_b32 exec_lo, exec_lo, s7
	s_cbranch_execz .LBB129_46
; %bb.45:                               ;   in Loop: Header=BB129_2 Depth=1
	s_wait_dscnt 0x0
	v_lshlrev_b32_e32 v25, 3, v52
	ds_load_b64 v[27:28], v25 offset:8
	v_dual_mov_b32 v26, v22 :: v_dual_mov_b32 v25, v21
.LBB129_46:                             ;   in Loop: Header=BB129_2 Depth=1
	s_or_b32 exec_lo, exec_lo, s7
	v_add_nc_u32_e32 v29, 1, v51
	v_add_nc_u32_e32 v30, 1, v52
	s_wait_dscnt 0x0
	v_cmp_lt_i64_e64 s7, v[27:28], v[25:26]
	s_delay_alu instid0(VALU_DEP_3) | instskip(NEXT) | instid1(VALU_DEP_3)
	v_cndmask_b32_e64 v98, v29, v51, s6
	v_cndmask_b32_e64 v99, v52, v30, s6
                                        ; implicit-def: $vgpr29_vgpr30
	s_delay_alu instid0(VALU_DEP_2) | instskip(NEXT) | instid1(VALU_DEP_2)
	v_cmp_ge_i32_e64 s8, v98, v65
	v_cmp_lt_i32_e64 s9, v99, v66
	s_or_b32 s7, s8, s7
	s_wait_alu 0xfffe
	s_and_b32 s7, s9, s7
	s_wait_alu 0xfffe
	s_xor_b32 s8, s7, -1
	s_wait_alu 0xfffe
	s_and_saveexec_b32 s9, s8
	s_wait_alu 0xfffe
	s_xor_b32 s8, exec_lo, s9
; %bb.47:                               ;   in Loop: Header=BB129_2 Depth=1
	v_lshlrev_b32_e32 v29, 3, v98
	ds_load_b64 v[29:30], v29 offset:8
; %bb.48:                               ;   in Loop: Header=BB129_2 Depth=1
	s_wait_alu 0xfffe
	s_or_saveexec_b32 s8, s8
	v_dual_mov_b32 v32, v28 :: v_dual_mov_b32 v31, v27
	s_wait_alu 0xfffe
	s_xor_b32 exec_lo, exec_lo, s8
	s_cbranch_execz .LBB129_50
; %bb.49:                               ;   in Loop: Header=BB129_2 Depth=1
	s_wait_dscnt 0x0
	v_lshlrev_b32_e32 v29, 3, v99
	ds_load_b64 v[31:32], v29 offset:8
	v_dual_mov_b32 v30, v26 :: v_dual_mov_b32 v29, v25
.LBB129_50:                             ;   in Loop: Header=BB129_2 Depth=1
	s_or_b32 exec_lo, exec_lo, s8
	v_add_nc_u32_e32 v33, 1, v98
	v_add_nc_u32_e32 v34, 1, v99
	s_wait_dscnt 0x0
	v_cmp_lt_i64_e64 s8, v[31:32], v[29:30]
	s_delay_alu instid0(VALU_DEP_3) | instskip(NEXT) | instid1(VALU_DEP_3)
	v_cndmask_b32_e64 v100, v33, v98, s7
	v_cndmask_b32_e64 v101, v99, v34, s7
                                        ; implicit-def: $vgpr33_vgpr34
	s_delay_alu instid0(VALU_DEP_2) | instskip(NEXT) | instid1(VALU_DEP_2)
	v_cmp_ge_i32_e64 s9, v100, v65
	v_cmp_lt_i32_e64 s10, v101, v66
	s_or_b32 s8, s9, s8
	s_wait_alu 0xfffe
	s_and_b32 s8, s10, s8
	s_wait_alu 0xfffe
	s_xor_b32 s9, s8, -1
	s_wait_alu 0xfffe
	s_and_saveexec_b32 s10, s9
	s_wait_alu 0xfffe
	s_xor_b32 s9, exec_lo, s10
; %bb.51:                               ;   in Loop: Header=BB129_2 Depth=1
	v_lshlrev_b32_e32 v33, 3, v100
	ds_load_b64 v[33:34], v33 offset:8
; %bb.52:                               ;   in Loop: Header=BB129_2 Depth=1
	s_wait_alu 0xfffe
	s_or_saveexec_b32 s9, s9
	v_dual_mov_b32 v36, v32 :: v_dual_mov_b32 v35, v31
	s_wait_alu 0xfffe
	s_xor_b32 exec_lo, exec_lo, s9
	s_cbranch_execz .LBB129_54
; %bb.53:                               ;   in Loop: Header=BB129_2 Depth=1
	s_wait_dscnt 0x0
	v_lshlrev_b32_e32 v33, 3, v101
	ds_load_b64 v[35:36], v33 offset:8
	v_dual_mov_b32 v34, v30 :: v_dual_mov_b32 v33, v29
.LBB129_54:                             ;   in Loop: Header=BB129_2 Depth=1
	s_or_b32 exec_lo, exec_lo, s9
	v_add_nc_u32_e32 v37, 1, v100
	v_add_nc_u32_e32 v38, 1, v101
	s_wait_dscnt 0x0
	v_cmp_lt_i64_e64 s9, v[35:36], v[33:34]
                                        ; implicit-def: $vgpr39_vgpr40
	s_delay_alu instid0(VALU_DEP_3) | instskip(NEXT) | instid1(VALU_DEP_3)
	v_cndmask_b32_e64 v102, v37, v100, s8
	v_cndmask_b32_e64 v103, v101, v38, s8
	s_delay_alu instid0(VALU_DEP_2) | instskip(NEXT) | instid1(VALU_DEP_2)
	v_cmp_ge_i32_e64 s10, v102, v65
	v_cmp_lt_i32_e64 s11, v103, v66
	s_or_b32 s9, s10, s9
	s_wait_alu 0xfffe
	s_and_b32 s9, s11, s9
	s_wait_alu 0xfffe
	s_xor_b32 s10, s9, -1
	s_wait_alu 0xfffe
	s_and_saveexec_b32 s11, s10
	s_wait_alu 0xfffe
	s_xor_b32 s10, exec_lo, s11
; %bb.55:                               ;   in Loop: Header=BB129_2 Depth=1
	v_lshlrev_b32_e32 v37, 3, v102
	ds_load_b64 v[39:40], v37 offset:8
; %bb.56:                               ;   in Loop: Header=BB129_2 Depth=1
	s_wait_alu 0xfffe
	s_or_saveexec_b32 s10, s10
	v_dual_mov_b32 v44, v36 :: v_dual_mov_b32 v43, v35
	s_wait_alu 0xfffe
	s_xor_b32 exec_lo, exec_lo, s10
	s_cbranch_execz .LBB129_58
; %bb.57:                               ;   in Loop: Header=BB129_2 Depth=1
	s_wait_dscnt 0x0
	v_dual_mov_b32 v40, v34 :: v_dual_lshlrev_b32 v37, 3, v103
	v_mov_b32_e32 v39, v33
	ds_load_b64 v[43:44], v37 offset:8
.LBB129_58:                             ;   in Loop: Header=BB129_2 Depth=1
	s_or_b32 exec_lo, exec_lo, s10
	v_add_nc_u32_e32 v37, 1, v102
	v_add_nc_u32_e32 v38, 1, v103
	s_wait_dscnt 0x0
	v_cmp_lt_i64_e64 s10, v[43:44], v[39:40]
                                        ; implicit-def: $vgpr45_vgpr46
	s_delay_alu instid0(VALU_DEP_3) | instskip(NEXT) | instid1(VALU_DEP_3)
	v_cndmask_b32_e64 v104, v37, v102, s9
	v_cndmask_b32_e64 v105, v103, v38, s9
	s_delay_alu instid0(VALU_DEP_2) | instskip(NEXT) | instid1(VALU_DEP_2)
	v_cmp_ge_i32_e64 s11, v104, v65
	v_cmp_lt_i32_e64 s12, v105, v66
	s_or_b32 s10, s11, s10
	s_wait_alu 0xfffe
	s_and_b32 s10, s12, s10
	s_wait_alu 0xfffe
	s_xor_b32 s11, s10, -1
	s_wait_alu 0xfffe
	s_and_saveexec_b32 s12, s11
	s_wait_alu 0xfffe
	s_xor_b32 s11, exec_lo, s12
; %bb.59:                               ;   in Loop: Header=BB129_2 Depth=1
	v_lshlrev_b32_e32 v37, 3, v104
	ds_load_b64 v[45:46], v37 offset:8
; %bb.60:                               ;   in Loop: Header=BB129_2 Depth=1
	s_wait_alu 0xfffe
	s_or_saveexec_b32 s11, s11
	v_dual_mov_b32 v48, v44 :: v_dual_mov_b32 v47, v43
	s_wait_alu 0xfffe
	s_xor_b32 exec_lo, exec_lo, s11
	s_cbranch_execz .LBB129_62
; %bb.61:                               ;   in Loop: Header=BB129_2 Depth=1
	s_wait_dscnt 0x0
	v_dual_mov_b32 v46, v40 :: v_dual_lshlrev_b32 v37, 3, v105
	v_mov_b32_e32 v45, v39
	ds_load_b64 v[47:48], v37 offset:8
.LBB129_62:                             ;   in Loop: Header=BB129_2 Depth=1
	s_or_b32 exec_lo, exec_lo, s11
	v_add_nc_u32_e32 v37, 1, v104
	v_add_nc_u32_e32 v38, 1, v105
	s_wait_dscnt 0x0
	v_cmp_lt_i64_e64 s11, v[47:48], v[45:46]
	s_delay_alu instid0(VALU_DEP_3) | instskip(NEXT) | instid1(VALU_DEP_3)
	v_cndmask_b32_e64 v106, v37, v104, s10
	v_cndmask_b32_e64 v107, v105, v38, s10
                                        ; implicit-def: $vgpr37_vgpr38
	s_delay_alu instid0(VALU_DEP_2) | instskip(NEXT) | instid1(VALU_DEP_2)
	v_cmp_ge_i32_e64 s12, v106, v65
	v_cmp_lt_i32_e64 s13, v107, v66
	s_or_b32 s11, s12, s11
	s_wait_alu 0xfffe
	s_and_b32 s11, s13, s11
	s_wait_alu 0xfffe
	s_xor_b32 s12, s11, -1
	s_wait_alu 0xfffe
	s_and_saveexec_b32 s13, s12
	s_wait_alu 0xfffe
	s_xor_b32 s12, exec_lo, s13
; %bb.63:                               ;   in Loop: Header=BB129_2 Depth=1
	v_lshlrev_b32_e32 v37, 3, v106
	ds_load_b64 v[37:38], v37 offset:8
; %bb.64:                               ;   in Loop: Header=BB129_2 Depth=1
	s_wait_alu 0xfffe
	s_or_saveexec_b32 s12, s12
	v_dual_mov_b32 v41, v47 :: v_dual_mov_b32 v42, v48
	s_wait_alu 0xfffe
	s_xor_b32 exec_lo, exec_lo, s12
	s_cbranch_execz .LBB129_66
; %bb.65:                               ;   in Loop: Header=BB129_2 Depth=1
	s_wait_dscnt 0x0
	v_lshlrev_b32_e32 v37, 3, v107
	ds_load_b64 v[41:42], v37 offset:8
	v_dual_mov_b32 v37, v45 :: v_dual_mov_b32 v38, v46
.LBB129_66:                             ;   in Loop: Header=BB129_2 Depth=1
	s_or_b32 exec_lo, exec_lo, s12
	v_add_nc_u32_e32 v109, 1, v106
	v_add_nc_u32_e32 v108, 1, v107
	v_cndmask_b32_e64 v46, v46, v48, s11
	v_cndmask_b32_e64 v45, v45, v47, s11
	;; [unrolled: 1-line block ×7, first 2 shown]
	s_wait_dscnt 0x0
	v_cmp_lt_i64_e64 s8, v[41:42], v[37:38]
	v_cndmask_b32_e64 v34, v34, v36, s9
	v_cndmask_b32_e64 v33, v33, v35, s9
	;; [unrolled: 1-line block ×3, first 2 shown]
	v_cmp_ge_i32_e64 s9, v48, v65
	v_cndmask_b32_e64 v40, v40, v44, s10
	v_cndmask_b32_e64 v39, v39, v43, s10
	;; [unrolled: 1-line block ×3, first 2 shown]
	v_cmp_lt_i32_e64 s10, v47, v66
	v_cndmask_b32_e64 v44, v50, v49, s5
	v_cndmask_b32_e64 v36, v51, v52, s6
	s_or_b32 s8, s9, s8
	v_cndmask_b32_e64 v32, v98, v99, s7
	s_wait_alu 0xfffe
	s_and_b32 s8, s10, s8
	v_cndmask_b32_e64 v106, v106, v107, s11
	v_cndmask_b32_e64 v26, v26, v28, s7
	s_wait_alu 0xfffe
	v_cndmask_b32_e64 v28, v38, v42, s8
	v_cndmask_b32_e64 v38, v48, v47, s8
	s_wait_loadcnt 0x0
	s_barrier_signal -1
	s_barrier_wait -1
	global_inv scope:SCOPE_SE
	ds_store_2addr_b64 v53, v[13:14], v[15:16] offset1:1
	ds_store_2addr_b64 v53, v[9:10], v[11:12] offset0:2 offset1:3
	ds_store_2addr_b64 v53, v[5:6], v[7:8] offset0:4 offset1:5
	;; [unrolled: 1-line block ×3, first 2 shown]
	v_lshlrev_b32_e32 v1, 3, v44
	v_lshlrev_b32_e32 v2, 3, v36
	v_lshlrev_b32_e32 v3, 3, v32
	v_lshlrev_b32_e32 v4, 3, v31
	v_lshlrev_b32_e32 v5, 3, v35
	v_lshlrev_b32_e32 v7, 3, v43
	s_wait_loadcnt_dscnt 0x0
	s_barrier_signal -1
	s_barrier_wait -1
	global_inv scope:SCOPE_SE
	v_lshlrev_b32_e32 v31, 3, v106
	v_lshlrev_b32_e32 v32, 3, v38
	ds_load_b64 v[13:14], v1
	ds_load_b64 v[15:16], v2
	;; [unrolled: 1-line block ×8, first 2 shown]
	v_cndmask_b32_e64 v22, v22, v24, s6
	v_cndmask_b32_e64 v21, v21, v23, s6
	;; [unrolled: 1-line block ×6, first 2 shown]
	s_wait_loadcnt_dscnt 0x0
	s_barrier_signal -1
	s_barrier_wait -1
	global_inv scope:SCOPE_SE
	ds_store_2addr_b64 v53, v[17:18], v[21:22] offset1:1
	ds_store_2addr_b64 v53, v[25:26], v[29:30] offset0:2 offset1:3
	ds_store_2addr_b64 v53, v[33:34], v[39:40] offset0:4 offset1:5
	;; [unrolled: 1-line block ×3, first 2 shown]
	v_mov_b32_e32 v21, v94
	s_wait_loadcnt_dscnt 0x0
	s_barrier_signal -1
	s_barrier_wait -1
	global_inv scope:SCOPE_SE
	s_and_saveexec_b32 s6, s2
	s_cbranch_execz .LBB129_70
; %bb.67:                               ;   in Loop: Header=BB129_2 Depth=1
	v_mov_b32_e32 v21, v94
	v_mov_b32_e32 v17, v89
	s_mov_b32 s7, 0
.LBB129_68:                             ;   Parent Loop BB129_2 Depth=1
                                        ; =>  This Inner Loop Header: Depth=2
	s_delay_alu instid0(VALU_DEP_1) | instskip(NEXT) | instid1(VALU_DEP_1)
	v_sub_nc_u32_e32 v18, v17, v21
	v_lshrrev_b32_e32 v18, 1, v18
	s_delay_alu instid0(VALU_DEP_1) | instskip(NEXT) | instid1(VALU_DEP_1)
	v_add_nc_u32_e32 v20, v18, v21
	v_not_b32_e32 v18, v20
	v_lshl_add_u32 v19, v20, 3, v70
	s_delay_alu instid0(VALU_DEP_2)
	v_lshl_add_u32 v22, v18, 3, v84
	ds_load_b64 v[18:19], v19
	ds_load_b64 v[22:23], v22
	s_wait_dscnt 0x0
	v_cmp_lt_i64_e64 s5, v[22:23], v[18:19]
	v_add_nc_u32_e32 v18, 1, v20
	s_wait_alu 0xf1ff
	s_delay_alu instid0(VALU_DEP_2) | instskip(NEXT) | instid1(VALU_DEP_2)
	v_cndmask_b32_e64 v17, v17, v20, s5
	v_cndmask_b32_e64 v21, v18, v21, s5
	s_delay_alu instid0(VALU_DEP_1)
	v_cmp_ge_i32_e64 s5, v21, v17
	s_wait_alu 0xfffe
	s_or_b32 s7, s5, s7
	s_wait_alu 0xfffe
	s_and_not1_b32 exec_lo, exec_lo, s7
	s_cbranch_execnz .LBB129_68
; %bb.69:                               ;   in Loop: Header=BB129_2 Depth=1
	s_or_b32 exec_lo, exec_lo, s7
.LBB129_70:                             ;   in Loop: Header=BB129_2 Depth=1
	s_wait_alu 0xfffe
	s_or_b32 exec_lo, exec_lo, s6
	v_sub_nc_u32_e32 v49, v79, v21
	v_lshl_add_u32 v23, v21, 3, v70
	v_add_nc_u32_e32 v50, v21, v56
                                        ; implicit-def: $vgpr21_vgpr22
	s_delay_alu instid0(VALU_DEP_3) | instskip(SKIP_1) | instid1(VALU_DEP_3)
	v_lshlrev_b32_e32 v25, 3, v49
	v_cmp_gt_i32_e64 s7, v69, v49
	v_cmp_le_i32_e64 s6, v68, v50
	ds_load_b64 v[17:18], v23
	ds_load_b64 v[19:20], v25
	s_wait_dscnt 0x0
	v_cmp_lt_i64_e64 s5, v[19:20], v[17:18]
	s_or_b32 s5, s6, s5
	s_wait_alu 0xfffe
	s_and_b32 s5, s7, s5
	s_wait_alu 0xfffe
	s_xor_b32 s6, s5, -1
	s_wait_alu 0xfffe
	s_and_saveexec_b32 s7, s6
	s_wait_alu 0xfffe
	s_xor_b32 s6, exec_lo, s7
; %bb.71:                               ;   in Loop: Header=BB129_2 Depth=1
	ds_load_b64 v[21:22], v23 offset:8
                                        ; implicit-def: $vgpr25
; %bb.72:                               ;   in Loop: Header=BB129_2 Depth=1
	s_wait_alu 0xfffe
	s_or_saveexec_b32 s6, s6
	v_dual_mov_b32 v24, v20 :: v_dual_mov_b32 v23, v19
	s_wait_alu 0xfffe
	s_xor_b32 exec_lo, exec_lo, s6
	s_cbranch_execz .LBB129_74
; %bb.73:                               ;   in Loop: Header=BB129_2 Depth=1
	ds_load_b64 v[23:24], v25 offset:8
	s_wait_dscnt 0x1
	v_dual_mov_b32 v22, v18 :: v_dual_mov_b32 v21, v17
.LBB129_74:                             ;   in Loop: Header=BB129_2 Depth=1
	s_or_b32 exec_lo, exec_lo, s6
	v_add_nc_u32_e32 v25, 1, v50
	v_add_nc_u32_e32 v26, 1, v49
	s_wait_dscnt 0x0
	v_cmp_lt_i64_e64 s6, v[23:24], v[21:22]
	s_delay_alu instid0(VALU_DEP_3) | instskip(NEXT) | instid1(VALU_DEP_3)
	v_cndmask_b32_e64 v51, v25, v50, s5
	v_cndmask_b32_e64 v52, v49, v26, s5
                                        ; implicit-def: $vgpr25_vgpr26
	s_delay_alu instid0(VALU_DEP_2) | instskip(NEXT) | instid1(VALU_DEP_2)
	v_cmp_ge_i32_e64 s7, v51, v68
	v_cmp_lt_i32_e64 s8, v52, v69
	s_or_b32 s6, s7, s6
	s_wait_alu 0xfffe
	s_and_b32 s6, s8, s6
	s_wait_alu 0xfffe
	s_xor_b32 s7, s6, -1
	s_wait_alu 0xfffe
	s_and_saveexec_b32 s8, s7
	s_wait_alu 0xfffe
	s_xor_b32 s7, exec_lo, s8
; %bb.75:                               ;   in Loop: Header=BB129_2 Depth=1
	v_lshlrev_b32_e32 v25, 3, v51
	ds_load_b64 v[25:26], v25 offset:8
; %bb.76:                               ;   in Loop: Header=BB129_2 Depth=1
	s_wait_alu 0xfffe
	s_or_saveexec_b32 s7, s7
	v_dual_mov_b32 v28, v24 :: v_dual_mov_b32 v27, v23
	s_wait_alu 0xfffe
	s_xor_b32 exec_lo, exec_lo, s7
	s_cbranch_execz .LBB129_78
; %bb.77:                               ;   in Loop: Header=BB129_2 Depth=1
	s_wait_dscnt 0x0
	v_lshlrev_b32_e32 v25, 3, v52
	ds_load_b64 v[27:28], v25 offset:8
	v_dual_mov_b32 v26, v22 :: v_dual_mov_b32 v25, v21
.LBB129_78:                             ;   in Loop: Header=BB129_2 Depth=1
	s_or_b32 exec_lo, exec_lo, s7
	v_add_nc_u32_e32 v29, 1, v51
	v_add_nc_u32_e32 v30, 1, v52
	s_wait_dscnt 0x0
	v_cmp_lt_i64_e64 s7, v[27:28], v[25:26]
	s_delay_alu instid0(VALU_DEP_3) | instskip(NEXT) | instid1(VALU_DEP_3)
	v_cndmask_b32_e64 v98, v29, v51, s6
	v_cndmask_b32_e64 v99, v52, v30, s6
                                        ; implicit-def: $vgpr29_vgpr30
	s_delay_alu instid0(VALU_DEP_2) | instskip(NEXT) | instid1(VALU_DEP_2)
	v_cmp_ge_i32_e64 s8, v98, v68
	v_cmp_lt_i32_e64 s9, v99, v69
	s_or_b32 s7, s8, s7
	s_wait_alu 0xfffe
	s_and_b32 s7, s9, s7
	s_wait_alu 0xfffe
	s_xor_b32 s8, s7, -1
	s_wait_alu 0xfffe
	s_and_saveexec_b32 s9, s8
	s_wait_alu 0xfffe
	s_xor_b32 s8, exec_lo, s9
; %bb.79:                               ;   in Loop: Header=BB129_2 Depth=1
	v_lshlrev_b32_e32 v29, 3, v98
	ds_load_b64 v[29:30], v29 offset:8
; %bb.80:                               ;   in Loop: Header=BB129_2 Depth=1
	s_wait_alu 0xfffe
	s_or_saveexec_b32 s8, s8
	v_dual_mov_b32 v32, v28 :: v_dual_mov_b32 v31, v27
	s_wait_alu 0xfffe
	s_xor_b32 exec_lo, exec_lo, s8
	s_cbranch_execz .LBB129_82
; %bb.81:                               ;   in Loop: Header=BB129_2 Depth=1
	s_wait_dscnt 0x0
	v_lshlrev_b32_e32 v29, 3, v99
	ds_load_b64 v[31:32], v29 offset:8
	v_dual_mov_b32 v30, v26 :: v_dual_mov_b32 v29, v25
.LBB129_82:                             ;   in Loop: Header=BB129_2 Depth=1
	s_or_b32 exec_lo, exec_lo, s8
	v_add_nc_u32_e32 v33, 1, v98
	v_add_nc_u32_e32 v34, 1, v99
	s_wait_dscnt 0x0
	v_cmp_lt_i64_e64 s8, v[31:32], v[29:30]
	s_delay_alu instid0(VALU_DEP_3) | instskip(NEXT) | instid1(VALU_DEP_3)
	v_cndmask_b32_e64 v100, v33, v98, s7
	v_cndmask_b32_e64 v101, v99, v34, s7
                                        ; implicit-def: $vgpr33_vgpr34
	s_delay_alu instid0(VALU_DEP_2) | instskip(NEXT) | instid1(VALU_DEP_2)
	v_cmp_ge_i32_e64 s9, v100, v68
	v_cmp_lt_i32_e64 s10, v101, v69
	s_or_b32 s8, s9, s8
	s_wait_alu 0xfffe
	s_and_b32 s8, s10, s8
	s_wait_alu 0xfffe
	s_xor_b32 s9, s8, -1
	s_wait_alu 0xfffe
	s_and_saveexec_b32 s10, s9
	s_wait_alu 0xfffe
	s_xor_b32 s9, exec_lo, s10
; %bb.83:                               ;   in Loop: Header=BB129_2 Depth=1
	v_lshlrev_b32_e32 v33, 3, v100
	ds_load_b64 v[33:34], v33 offset:8
; %bb.84:                               ;   in Loop: Header=BB129_2 Depth=1
	s_wait_alu 0xfffe
	s_or_saveexec_b32 s9, s9
	v_dual_mov_b32 v36, v32 :: v_dual_mov_b32 v35, v31
	s_wait_alu 0xfffe
	s_xor_b32 exec_lo, exec_lo, s9
	s_cbranch_execz .LBB129_86
; %bb.85:                               ;   in Loop: Header=BB129_2 Depth=1
	s_wait_dscnt 0x0
	v_lshlrev_b32_e32 v33, 3, v101
	ds_load_b64 v[35:36], v33 offset:8
	v_dual_mov_b32 v34, v30 :: v_dual_mov_b32 v33, v29
.LBB129_86:                             ;   in Loop: Header=BB129_2 Depth=1
	s_or_b32 exec_lo, exec_lo, s9
	v_add_nc_u32_e32 v37, 1, v100
	v_add_nc_u32_e32 v38, 1, v101
	s_wait_dscnt 0x0
	v_cmp_lt_i64_e64 s9, v[35:36], v[33:34]
                                        ; implicit-def: $vgpr39_vgpr40
	s_delay_alu instid0(VALU_DEP_3) | instskip(NEXT) | instid1(VALU_DEP_3)
	v_cndmask_b32_e64 v102, v37, v100, s8
	v_cndmask_b32_e64 v103, v101, v38, s8
	s_delay_alu instid0(VALU_DEP_2) | instskip(NEXT) | instid1(VALU_DEP_2)
	v_cmp_ge_i32_e64 s10, v102, v68
	v_cmp_lt_i32_e64 s11, v103, v69
	s_or_b32 s9, s10, s9
	s_wait_alu 0xfffe
	s_and_b32 s9, s11, s9
	s_wait_alu 0xfffe
	s_xor_b32 s10, s9, -1
	s_wait_alu 0xfffe
	s_and_saveexec_b32 s11, s10
	s_wait_alu 0xfffe
	s_xor_b32 s10, exec_lo, s11
; %bb.87:                               ;   in Loop: Header=BB129_2 Depth=1
	v_lshlrev_b32_e32 v37, 3, v102
	ds_load_b64 v[39:40], v37 offset:8
; %bb.88:                               ;   in Loop: Header=BB129_2 Depth=1
	s_wait_alu 0xfffe
	s_or_saveexec_b32 s10, s10
	v_dual_mov_b32 v44, v36 :: v_dual_mov_b32 v43, v35
	s_wait_alu 0xfffe
	s_xor_b32 exec_lo, exec_lo, s10
	s_cbranch_execz .LBB129_90
; %bb.89:                               ;   in Loop: Header=BB129_2 Depth=1
	s_wait_dscnt 0x0
	v_dual_mov_b32 v40, v34 :: v_dual_lshlrev_b32 v37, 3, v103
	v_mov_b32_e32 v39, v33
	ds_load_b64 v[43:44], v37 offset:8
.LBB129_90:                             ;   in Loop: Header=BB129_2 Depth=1
	s_or_b32 exec_lo, exec_lo, s10
	v_add_nc_u32_e32 v37, 1, v102
	v_add_nc_u32_e32 v38, 1, v103
	s_wait_dscnt 0x0
	v_cmp_lt_i64_e64 s10, v[43:44], v[39:40]
                                        ; implicit-def: $vgpr45_vgpr46
	s_delay_alu instid0(VALU_DEP_3) | instskip(NEXT) | instid1(VALU_DEP_3)
	v_cndmask_b32_e64 v104, v37, v102, s9
	v_cndmask_b32_e64 v105, v103, v38, s9
	s_delay_alu instid0(VALU_DEP_2) | instskip(NEXT) | instid1(VALU_DEP_2)
	v_cmp_ge_i32_e64 s11, v104, v68
	v_cmp_lt_i32_e64 s12, v105, v69
	s_or_b32 s10, s11, s10
	s_wait_alu 0xfffe
	s_and_b32 s10, s12, s10
	s_wait_alu 0xfffe
	s_xor_b32 s11, s10, -1
	s_wait_alu 0xfffe
	s_and_saveexec_b32 s12, s11
	s_wait_alu 0xfffe
	s_xor_b32 s11, exec_lo, s12
; %bb.91:                               ;   in Loop: Header=BB129_2 Depth=1
	v_lshlrev_b32_e32 v37, 3, v104
	ds_load_b64 v[45:46], v37 offset:8
; %bb.92:                               ;   in Loop: Header=BB129_2 Depth=1
	s_wait_alu 0xfffe
	s_or_saveexec_b32 s11, s11
	v_dual_mov_b32 v48, v44 :: v_dual_mov_b32 v47, v43
	s_wait_alu 0xfffe
	s_xor_b32 exec_lo, exec_lo, s11
	s_cbranch_execz .LBB129_94
; %bb.93:                               ;   in Loop: Header=BB129_2 Depth=1
	s_wait_dscnt 0x0
	v_dual_mov_b32 v46, v40 :: v_dual_lshlrev_b32 v37, 3, v105
	v_mov_b32_e32 v45, v39
	ds_load_b64 v[47:48], v37 offset:8
.LBB129_94:                             ;   in Loop: Header=BB129_2 Depth=1
	s_or_b32 exec_lo, exec_lo, s11
	v_add_nc_u32_e32 v37, 1, v104
	v_add_nc_u32_e32 v38, 1, v105
	s_wait_dscnt 0x0
	v_cmp_lt_i64_e64 s11, v[47:48], v[45:46]
	s_delay_alu instid0(VALU_DEP_3) | instskip(NEXT) | instid1(VALU_DEP_3)
	v_cndmask_b32_e64 v106, v37, v104, s10
	v_cndmask_b32_e64 v107, v105, v38, s10
                                        ; implicit-def: $vgpr37_vgpr38
	s_delay_alu instid0(VALU_DEP_2) | instskip(NEXT) | instid1(VALU_DEP_2)
	v_cmp_ge_i32_e64 s12, v106, v68
	v_cmp_lt_i32_e64 s13, v107, v69
	s_or_b32 s11, s12, s11
	s_wait_alu 0xfffe
	s_and_b32 s11, s13, s11
	s_wait_alu 0xfffe
	s_xor_b32 s12, s11, -1
	s_wait_alu 0xfffe
	s_and_saveexec_b32 s13, s12
	s_wait_alu 0xfffe
	s_xor_b32 s12, exec_lo, s13
; %bb.95:                               ;   in Loop: Header=BB129_2 Depth=1
	v_lshlrev_b32_e32 v37, 3, v106
	ds_load_b64 v[37:38], v37 offset:8
; %bb.96:                               ;   in Loop: Header=BB129_2 Depth=1
	s_wait_alu 0xfffe
	s_or_saveexec_b32 s12, s12
	v_dual_mov_b32 v41, v47 :: v_dual_mov_b32 v42, v48
	s_wait_alu 0xfffe
	s_xor_b32 exec_lo, exec_lo, s12
	s_cbranch_execz .LBB129_98
; %bb.97:                               ;   in Loop: Header=BB129_2 Depth=1
	s_wait_dscnt 0x0
	v_lshlrev_b32_e32 v37, 3, v107
	ds_load_b64 v[41:42], v37 offset:8
	v_dual_mov_b32 v37, v45 :: v_dual_mov_b32 v38, v46
.LBB129_98:                             ;   in Loop: Header=BB129_2 Depth=1
	s_or_b32 exec_lo, exec_lo, s12
	v_add_nc_u32_e32 v109, 1, v106
	v_add_nc_u32_e32 v108, 1, v107
	v_cndmask_b32_e64 v46, v46, v48, s11
	v_cndmask_b32_e64 v45, v45, v47, s11
	;; [unrolled: 1-line block ×7, first 2 shown]
	s_wait_dscnt 0x0
	v_cmp_lt_i64_e64 s8, v[41:42], v[37:38]
	v_cndmask_b32_e64 v34, v34, v36, s9
	v_cndmask_b32_e64 v33, v33, v35, s9
	;; [unrolled: 1-line block ×3, first 2 shown]
	v_cmp_ge_i32_e64 s9, v48, v68
	v_cndmask_b32_e64 v40, v40, v44, s10
	v_cndmask_b32_e64 v39, v39, v43, s10
	;; [unrolled: 1-line block ×3, first 2 shown]
	v_cmp_lt_i32_e64 s10, v47, v69
	v_cndmask_b32_e64 v44, v50, v49, s5
	v_cndmask_b32_e64 v36, v51, v52, s6
	s_or_b32 s8, s9, s8
	v_cndmask_b32_e64 v32, v98, v99, s7
	s_wait_alu 0xfffe
	s_and_b32 s8, s10, s8
	v_cndmask_b32_e64 v106, v106, v107, s11
	v_cndmask_b32_e64 v26, v26, v28, s7
	s_wait_alu 0xfffe
	v_cndmask_b32_e64 v28, v38, v42, s8
	v_cndmask_b32_e64 v38, v48, v47, s8
	s_wait_loadcnt 0x0
	s_barrier_signal -1
	s_barrier_wait -1
	global_inv scope:SCOPE_SE
	ds_store_2addr_b64 v53, v[13:14], v[15:16] offset1:1
	ds_store_2addr_b64 v53, v[9:10], v[11:12] offset0:2 offset1:3
	ds_store_2addr_b64 v53, v[5:6], v[7:8] offset0:4 offset1:5
	;; [unrolled: 1-line block ×3, first 2 shown]
	v_lshlrev_b32_e32 v1, 3, v44
	v_lshlrev_b32_e32 v2, 3, v36
	;; [unrolled: 1-line block ×6, first 2 shown]
	s_wait_loadcnt_dscnt 0x0
	s_barrier_signal -1
	s_barrier_wait -1
	global_inv scope:SCOPE_SE
	v_lshlrev_b32_e32 v31, 3, v106
	v_lshlrev_b32_e32 v32, 3, v38
	ds_load_b64 v[13:14], v1
	ds_load_b64 v[15:16], v2
	;; [unrolled: 1-line block ×8, first 2 shown]
	v_cndmask_b32_e64 v22, v22, v24, s6
	v_cndmask_b32_e64 v21, v21, v23, s6
	;; [unrolled: 1-line block ×6, first 2 shown]
	s_wait_loadcnt_dscnt 0x0
	s_barrier_signal -1
	s_barrier_wait -1
	global_inv scope:SCOPE_SE
	ds_store_2addr_b64 v53, v[17:18], v[21:22] offset1:1
	ds_store_2addr_b64 v53, v[25:26], v[29:30] offset0:2 offset1:3
	ds_store_2addr_b64 v53, v[33:34], v[39:40] offset0:4 offset1:5
	;; [unrolled: 1-line block ×3, first 2 shown]
	v_mov_b32_e32 v21, v95
	s_wait_loadcnt_dscnt 0x0
	s_barrier_signal -1
	s_barrier_wait -1
	global_inv scope:SCOPE_SE
	s_and_saveexec_b32 s6, s3
	s_cbranch_execz .LBB129_102
; %bb.99:                               ;   in Loop: Header=BB129_2 Depth=1
	v_mov_b32_e32 v21, v95
	v_mov_b32_e32 v17, v90
	s_mov_b32 s7, 0
.LBB129_100:                            ;   Parent Loop BB129_2 Depth=1
                                        ; =>  This Inner Loop Header: Depth=2
	s_delay_alu instid0(VALU_DEP_1) | instskip(NEXT) | instid1(VALU_DEP_1)
	v_sub_nc_u32_e32 v18, v17, v21
	v_lshrrev_b32_e32 v18, 1, v18
	s_delay_alu instid0(VALU_DEP_1) | instskip(NEXT) | instid1(VALU_DEP_1)
	v_add_nc_u32_e32 v20, v18, v21
	v_not_b32_e32 v18, v20
	v_lshl_add_u32 v19, v20, 3, v73
	s_delay_alu instid0(VALU_DEP_2)
	v_lshl_add_u32 v22, v18, 3, v85
	ds_load_b64 v[18:19], v19
	ds_load_b64 v[22:23], v22
	s_wait_dscnt 0x0
	v_cmp_lt_i64_e64 s5, v[22:23], v[18:19]
	v_add_nc_u32_e32 v18, 1, v20
	s_wait_alu 0xf1ff
	s_delay_alu instid0(VALU_DEP_2) | instskip(NEXT) | instid1(VALU_DEP_2)
	v_cndmask_b32_e64 v17, v17, v20, s5
	v_cndmask_b32_e64 v21, v18, v21, s5
	s_delay_alu instid0(VALU_DEP_1)
	v_cmp_ge_i32_e64 s5, v21, v17
	s_wait_alu 0xfffe
	s_or_b32 s7, s5, s7
	s_wait_alu 0xfffe
	s_and_not1_b32 exec_lo, exec_lo, s7
	s_cbranch_execnz .LBB129_100
; %bb.101:                              ;   in Loop: Header=BB129_2 Depth=1
	s_or_b32 exec_lo, exec_lo, s7
.LBB129_102:                            ;   in Loop: Header=BB129_2 Depth=1
	s_wait_alu 0xfffe
	s_or_b32 exec_lo, exec_lo, s6
	v_sub_nc_u32_e32 v49, v80, v21
	v_lshl_add_u32 v23, v21, 3, v73
	v_add_nc_u32_e32 v50, v21, v57
                                        ; implicit-def: $vgpr21_vgpr22
	s_delay_alu instid0(VALU_DEP_3) | instskip(SKIP_1) | instid1(VALU_DEP_3)
	v_lshlrev_b32_e32 v25, 3, v49
	v_cmp_gt_i32_e64 s7, v72, v49
	v_cmp_le_i32_e64 s6, v71, v50
	ds_load_b64 v[17:18], v23
	ds_load_b64 v[19:20], v25
	s_wait_dscnt 0x0
	v_cmp_lt_i64_e64 s5, v[19:20], v[17:18]
	s_or_b32 s5, s6, s5
	s_wait_alu 0xfffe
	s_and_b32 s5, s7, s5
	s_wait_alu 0xfffe
	s_xor_b32 s6, s5, -1
	s_wait_alu 0xfffe
	s_and_saveexec_b32 s7, s6
	s_wait_alu 0xfffe
	s_xor_b32 s6, exec_lo, s7
; %bb.103:                              ;   in Loop: Header=BB129_2 Depth=1
	ds_load_b64 v[21:22], v23 offset:8
                                        ; implicit-def: $vgpr25
; %bb.104:                              ;   in Loop: Header=BB129_2 Depth=1
	s_wait_alu 0xfffe
	s_or_saveexec_b32 s6, s6
	v_dual_mov_b32 v24, v20 :: v_dual_mov_b32 v23, v19
	s_wait_alu 0xfffe
	s_xor_b32 exec_lo, exec_lo, s6
	s_cbranch_execz .LBB129_106
; %bb.105:                              ;   in Loop: Header=BB129_2 Depth=1
	ds_load_b64 v[23:24], v25 offset:8
	s_wait_dscnt 0x1
	v_dual_mov_b32 v22, v18 :: v_dual_mov_b32 v21, v17
.LBB129_106:                            ;   in Loop: Header=BB129_2 Depth=1
	s_or_b32 exec_lo, exec_lo, s6
	v_add_nc_u32_e32 v25, 1, v50
	v_add_nc_u32_e32 v26, 1, v49
	s_wait_dscnt 0x0
	v_cmp_lt_i64_e64 s6, v[23:24], v[21:22]
	s_delay_alu instid0(VALU_DEP_3) | instskip(NEXT) | instid1(VALU_DEP_3)
	v_cndmask_b32_e64 v51, v25, v50, s5
	v_cndmask_b32_e64 v52, v49, v26, s5
                                        ; implicit-def: $vgpr25_vgpr26
	s_delay_alu instid0(VALU_DEP_2) | instskip(NEXT) | instid1(VALU_DEP_2)
	v_cmp_ge_i32_e64 s7, v51, v71
	v_cmp_lt_i32_e64 s8, v52, v72
	s_or_b32 s6, s7, s6
	s_wait_alu 0xfffe
	s_and_b32 s6, s8, s6
	s_wait_alu 0xfffe
	s_xor_b32 s7, s6, -1
	s_wait_alu 0xfffe
	s_and_saveexec_b32 s8, s7
	s_wait_alu 0xfffe
	s_xor_b32 s7, exec_lo, s8
; %bb.107:                              ;   in Loop: Header=BB129_2 Depth=1
	v_lshlrev_b32_e32 v25, 3, v51
	ds_load_b64 v[25:26], v25 offset:8
; %bb.108:                              ;   in Loop: Header=BB129_2 Depth=1
	s_wait_alu 0xfffe
	s_or_saveexec_b32 s7, s7
	v_dual_mov_b32 v28, v24 :: v_dual_mov_b32 v27, v23
	s_wait_alu 0xfffe
	s_xor_b32 exec_lo, exec_lo, s7
	s_cbranch_execz .LBB129_110
; %bb.109:                              ;   in Loop: Header=BB129_2 Depth=1
	s_wait_dscnt 0x0
	v_lshlrev_b32_e32 v25, 3, v52
	ds_load_b64 v[27:28], v25 offset:8
	v_dual_mov_b32 v26, v22 :: v_dual_mov_b32 v25, v21
.LBB129_110:                            ;   in Loop: Header=BB129_2 Depth=1
	s_or_b32 exec_lo, exec_lo, s7
	v_add_nc_u32_e32 v29, 1, v51
	v_add_nc_u32_e32 v30, 1, v52
	s_wait_dscnt 0x0
	v_cmp_lt_i64_e64 s7, v[27:28], v[25:26]
	s_delay_alu instid0(VALU_DEP_3) | instskip(NEXT) | instid1(VALU_DEP_3)
	v_cndmask_b32_e64 v98, v29, v51, s6
	v_cndmask_b32_e64 v99, v52, v30, s6
                                        ; implicit-def: $vgpr29_vgpr30
	s_delay_alu instid0(VALU_DEP_2) | instskip(NEXT) | instid1(VALU_DEP_2)
	v_cmp_ge_i32_e64 s8, v98, v71
	v_cmp_lt_i32_e64 s9, v99, v72
	s_or_b32 s7, s8, s7
	s_wait_alu 0xfffe
	s_and_b32 s7, s9, s7
	s_wait_alu 0xfffe
	s_xor_b32 s8, s7, -1
	s_wait_alu 0xfffe
	s_and_saveexec_b32 s9, s8
	s_wait_alu 0xfffe
	s_xor_b32 s8, exec_lo, s9
; %bb.111:                              ;   in Loop: Header=BB129_2 Depth=1
	v_lshlrev_b32_e32 v29, 3, v98
	ds_load_b64 v[29:30], v29 offset:8
; %bb.112:                              ;   in Loop: Header=BB129_2 Depth=1
	s_wait_alu 0xfffe
	s_or_saveexec_b32 s8, s8
	v_dual_mov_b32 v32, v28 :: v_dual_mov_b32 v31, v27
	s_wait_alu 0xfffe
	s_xor_b32 exec_lo, exec_lo, s8
	s_cbranch_execz .LBB129_114
; %bb.113:                              ;   in Loop: Header=BB129_2 Depth=1
	s_wait_dscnt 0x0
	v_lshlrev_b32_e32 v29, 3, v99
	ds_load_b64 v[31:32], v29 offset:8
	v_dual_mov_b32 v30, v26 :: v_dual_mov_b32 v29, v25
.LBB129_114:                            ;   in Loop: Header=BB129_2 Depth=1
	s_or_b32 exec_lo, exec_lo, s8
	v_add_nc_u32_e32 v33, 1, v98
	v_add_nc_u32_e32 v34, 1, v99
	s_wait_dscnt 0x0
	v_cmp_lt_i64_e64 s8, v[31:32], v[29:30]
	s_delay_alu instid0(VALU_DEP_3) | instskip(NEXT) | instid1(VALU_DEP_3)
	v_cndmask_b32_e64 v100, v33, v98, s7
	v_cndmask_b32_e64 v101, v99, v34, s7
                                        ; implicit-def: $vgpr33_vgpr34
	s_delay_alu instid0(VALU_DEP_2) | instskip(NEXT) | instid1(VALU_DEP_2)
	v_cmp_ge_i32_e64 s9, v100, v71
	v_cmp_lt_i32_e64 s10, v101, v72
	s_or_b32 s8, s9, s8
	s_wait_alu 0xfffe
	s_and_b32 s8, s10, s8
	s_wait_alu 0xfffe
	s_xor_b32 s9, s8, -1
	s_wait_alu 0xfffe
	s_and_saveexec_b32 s10, s9
	s_wait_alu 0xfffe
	s_xor_b32 s9, exec_lo, s10
; %bb.115:                              ;   in Loop: Header=BB129_2 Depth=1
	v_lshlrev_b32_e32 v33, 3, v100
	ds_load_b64 v[33:34], v33 offset:8
; %bb.116:                              ;   in Loop: Header=BB129_2 Depth=1
	s_wait_alu 0xfffe
	s_or_saveexec_b32 s9, s9
	v_dual_mov_b32 v36, v32 :: v_dual_mov_b32 v35, v31
	s_wait_alu 0xfffe
	s_xor_b32 exec_lo, exec_lo, s9
	s_cbranch_execz .LBB129_118
; %bb.117:                              ;   in Loop: Header=BB129_2 Depth=1
	s_wait_dscnt 0x0
	v_lshlrev_b32_e32 v33, 3, v101
	ds_load_b64 v[35:36], v33 offset:8
	v_dual_mov_b32 v34, v30 :: v_dual_mov_b32 v33, v29
.LBB129_118:                            ;   in Loop: Header=BB129_2 Depth=1
	s_or_b32 exec_lo, exec_lo, s9
	v_add_nc_u32_e32 v37, 1, v100
	v_add_nc_u32_e32 v38, 1, v101
	s_wait_dscnt 0x0
	v_cmp_lt_i64_e64 s9, v[35:36], v[33:34]
                                        ; implicit-def: $vgpr39_vgpr40
	s_delay_alu instid0(VALU_DEP_3) | instskip(NEXT) | instid1(VALU_DEP_3)
	v_cndmask_b32_e64 v102, v37, v100, s8
	v_cndmask_b32_e64 v103, v101, v38, s8
	s_delay_alu instid0(VALU_DEP_2) | instskip(NEXT) | instid1(VALU_DEP_2)
	v_cmp_ge_i32_e64 s10, v102, v71
	v_cmp_lt_i32_e64 s11, v103, v72
	s_or_b32 s9, s10, s9
	s_wait_alu 0xfffe
	s_and_b32 s9, s11, s9
	s_wait_alu 0xfffe
	s_xor_b32 s10, s9, -1
	s_wait_alu 0xfffe
	s_and_saveexec_b32 s11, s10
	s_wait_alu 0xfffe
	s_xor_b32 s10, exec_lo, s11
; %bb.119:                              ;   in Loop: Header=BB129_2 Depth=1
	v_lshlrev_b32_e32 v37, 3, v102
	ds_load_b64 v[39:40], v37 offset:8
; %bb.120:                              ;   in Loop: Header=BB129_2 Depth=1
	s_wait_alu 0xfffe
	s_or_saveexec_b32 s10, s10
	v_dual_mov_b32 v44, v36 :: v_dual_mov_b32 v43, v35
	s_wait_alu 0xfffe
	s_xor_b32 exec_lo, exec_lo, s10
	s_cbranch_execz .LBB129_122
; %bb.121:                              ;   in Loop: Header=BB129_2 Depth=1
	s_wait_dscnt 0x0
	v_dual_mov_b32 v40, v34 :: v_dual_lshlrev_b32 v37, 3, v103
	v_mov_b32_e32 v39, v33
	ds_load_b64 v[43:44], v37 offset:8
.LBB129_122:                            ;   in Loop: Header=BB129_2 Depth=1
	s_or_b32 exec_lo, exec_lo, s10
	v_add_nc_u32_e32 v37, 1, v102
	v_add_nc_u32_e32 v38, 1, v103
	s_wait_dscnt 0x0
	v_cmp_lt_i64_e64 s10, v[43:44], v[39:40]
                                        ; implicit-def: $vgpr45_vgpr46
	s_delay_alu instid0(VALU_DEP_3) | instskip(NEXT) | instid1(VALU_DEP_3)
	v_cndmask_b32_e64 v104, v37, v102, s9
	v_cndmask_b32_e64 v105, v103, v38, s9
	s_delay_alu instid0(VALU_DEP_2) | instskip(NEXT) | instid1(VALU_DEP_2)
	v_cmp_ge_i32_e64 s11, v104, v71
	v_cmp_lt_i32_e64 s12, v105, v72
	s_or_b32 s10, s11, s10
	s_wait_alu 0xfffe
	s_and_b32 s10, s12, s10
	s_wait_alu 0xfffe
	s_xor_b32 s11, s10, -1
	s_wait_alu 0xfffe
	s_and_saveexec_b32 s12, s11
	s_wait_alu 0xfffe
	s_xor_b32 s11, exec_lo, s12
; %bb.123:                              ;   in Loop: Header=BB129_2 Depth=1
	v_lshlrev_b32_e32 v37, 3, v104
	ds_load_b64 v[45:46], v37 offset:8
; %bb.124:                              ;   in Loop: Header=BB129_2 Depth=1
	s_wait_alu 0xfffe
	s_or_saveexec_b32 s11, s11
	v_dual_mov_b32 v48, v44 :: v_dual_mov_b32 v47, v43
	s_wait_alu 0xfffe
	s_xor_b32 exec_lo, exec_lo, s11
	s_cbranch_execz .LBB129_126
; %bb.125:                              ;   in Loop: Header=BB129_2 Depth=1
	s_wait_dscnt 0x0
	v_dual_mov_b32 v46, v40 :: v_dual_lshlrev_b32 v37, 3, v105
	v_mov_b32_e32 v45, v39
	ds_load_b64 v[47:48], v37 offset:8
.LBB129_126:                            ;   in Loop: Header=BB129_2 Depth=1
	s_or_b32 exec_lo, exec_lo, s11
	v_add_nc_u32_e32 v37, 1, v104
	v_add_nc_u32_e32 v38, 1, v105
	s_wait_dscnt 0x0
	v_cmp_lt_i64_e64 s11, v[47:48], v[45:46]
	s_delay_alu instid0(VALU_DEP_3) | instskip(NEXT) | instid1(VALU_DEP_3)
	v_cndmask_b32_e64 v106, v37, v104, s10
	v_cndmask_b32_e64 v107, v105, v38, s10
                                        ; implicit-def: $vgpr37_vgpr38
	s_delay_alu instid0(VALU_DEP_2) | instskip(NEXT) | instid1(VALU_DEP_2)
	v_cmp_ge_i32_e64 s12, v106, v71
	v_cmp_lt_i32_e64 s13, v107, v72
	s_or_b32 s11, s12, s11
	s_wait_alu 0xfffe
	s_and_b32 s11, s13, s11
	s_wait_alu 0xfffe
	s_xor_b32 s12, s11, -1
	s_wait_alu 0xfffe
	s_and_saveexec_b32 s13, s12
	s_wait_alu 0xfffe
	s_xor_b32 s12, exec_lo, s13
; %bb.127:                              ;   in Loop: Header=BB129_2 Depth=1
	v_lshlrev_b32_e32 v37, 3, v106
	ds_load_b64 v[37:38], v37 offset:8
; %bb.128:                              ;   in Loop: Header=BB129_2 Depth=1
	s_wait_alu 0xfffe
	s_or_saveexec_b32 s12, s12
	v_dual_mov_b32 v41, v47 :: v_dual_mov_b32 v42, v48
	s_wait_alu 0xfffe
	s_xor_b32 exec_lo, exec_lo, s12
	s_cbranch_execz .LBB129_130
; %bb.129:                              ;   in Loop: Header=BB129_2 Depth=1
	s_wait_dscnt 0x0
	v_lshlrev_b32_e32 v37, 3, v107
	ds_load_b64 v[41:42], v37 offset:8
	v_dual_mov_b32 v37, v45 :: v_dual_mov_b32 v38, v46
.LBB129_130:                            ;   in Loop: Header=BB129_2 Depth=1
	s_or_b32 exec_lo, exec_lo, s12
	v_add_nc_u32_e32 v109, 1, v106
	v_add_nc_u32_e32 v108, 1, v107
	v_cndmask_b32_e64 v46, v46, v48, s11
	v_cndmask_b32_e64 v45, v45, v47, s11
	;; [unrolled: 1-line block ×7, first 2 shown]
	s_wait_dscnt 0x0
	v_cmp_lt_i64_e64 s8, v[41:42], v[37:38]
	v_cndmask_b32_e64 v34, v34, v36, s9
	v_cndmask_b32_e64 v33, v33, v35, s9
	;; [unrolled: 1-line block ×3, first 2 shown]
	v_cmp_ge_i32_e64 s9, v48, v71
	v_cndmask_b32_e64 v40, v40, v44, s10
	v_cndmask_b32_e64 v39, v39, v43, s10
	;; [unrolled: 1-line block ×3, first 2 shown]
	v_cmp_lt_i32_e64 s10, v47, v72
	v_cndmask_b32_e64 v44, v50, v49, s5
	v_cndmask_b32_e64 v36, v51, v52, s6
	s_or_b32 s8, s9, s8
	v_cndmask_b32_e64 v32, v98, v99, s7
	s_wait_alu 0xfffe
	s_and_b32 s8, s10, s8
	v_cndmask_b32_e64 v106, v106, v107, s11
	v_cndmask_b32_e64 v26, v26, v28, s7
	s_wait_alu 0xfffe
	v_cndmask_b32_e64 v28, v38, v42, s8
	v_cndmask_b32_e64 v38, v48, v47, s8
	s_wait_loadcnt 0x0
	s_barrier_signal -1
	s_barrier_wait -1
	global_inv scope:SCOPE_SE
	ds_store_2addr_b64 v53, v[13:14], v[15:16] offset1:1
	ds_store_2addr_b64 v53, v[9:10], v[11:12] offset0:2 offset1:3
	ds_store_2addr_b64 v53, v[5:6], v[7:8] offset0:4 offset1:5
	;; [unrolled: 1-line block ×3, first 2 shown]
	v_lshlrev_b32_e32 v1, 3, v44
	v_lshlrev_b32_e32 v2, 3, v36
	;; [unrolled: 1-line block ×6, first 2 shown]
	s_wait_loadcnt_dscnt 0x0
	s_barrier_signal -1
	s_barrier_wait -1
	global_inv scope:SCOPE_SE
	v_lshlrev_b32_e32 v31, 3, v106
	v_lshlrev_b32_e32 v32, 3, v38
	ds_load_b64 v[13:14], v1
	ds_load_b64 v[15:16], v2
	;; [unrolled: 1-line block ×8, first 2 shown]
	v_cndmask_b32_e64 v22, v22, v24, s6
	v_cndmask_b32_e64 v21, v21, v23, s6
	;; [unrolled: 1-line block ×6, first 2 shown]
	s_wait_loadcnt_dscnt 0x0
	s_barrier_signal -1
	s_barrier_wait -1
	global_inv scope:SCOPE_SE
	ds_store_2addr_b64 v53, v[17:18], v[21:22] offset1:1
	ds_store_2addr_b64 v53, v[25:26], v[29:30] offset0:2 offset1:3
	ds_store_2addr_b64 v53, v[33:34], v[39:40] offset0:4 offset1:5
	;; [unrolled: 1-line block ×3, first 2 shown]
	v_mov_b32_e32 v21, v96
	s_wait_loadcnt_dscnt 0x0
	s_barrier_signal -1
	s_barrier_wait -1
	global_inv scope:SCOPE_SE
	s_and_saveexec_b32 s6, s4
	s_cbranch_execz .LBB129_134
; %bb.131:                              ;   in Loop: Header=BB129_2 Depth=1
	v_mov_b32_e32 v21, v96
	v_mov_b32_e32 v17, v91
	s_mov_b32 s7, 0
.LBB129_132:                            ;   Parent Loop BB129_2 Depth=1
                                        ; =>  This Inner Loop Header: Depth=2
	s_delay_alu instid0(VALU_DEP_1) | instskip(NEXT) | instid1(VALU_DEP_1)
	v_sub_nc_u32_e32 v18, v17, v21
	v_lshrrev_b32_e32 v18, 1, v18
	s_delay_alu instid0(VALU_DEP_1) | instskip(NEXT) | instid1(VALU_DEP_1)
	v_add_nc_u32_e32 v20, v18, v21
	v_not_b32_e32 v18, v20
	v_lshl_add_u32 v19, v20, 3, v76
	s_delay_alu instid0(VALU_DEP_2)
	v_lshl_add_u32 v22, v18, 3, v86
	ds_load_b64 v[18:19], v19
	ds_load_b64 v[22:23], v22
	s_wait_dscnt 0x0
	v_cmp_lt_i64_e64 s5, v[22:23], v[18:19]
	v_add_nc_u32_e32 v18, 1, v20
	s_wait_alu 0xf1ff
	s_delay_alu instid0(VALU_DEP_2) | instskip(NEXT) | instid1(VALU_DEP_2)
	v_cndmask_b32_e64 v17, v17, v20, s5
	v_cndmask_b32_e64 v21, v18, v21, s5
	s_delay_alu instid0(VALU_DEP_1)
	v_cmp_ge_i32_e64 s5, v21, v17
	s_wait_alu 0xfffe
	s_or_b32 s7, s5, s7
	s_wait_alu 0xfffe
	s_and_not1_b32 exec_lo, exec_lo, s7
	s_cbranch_execnz .LBB129_132
; %bb.133:                              ;   in Loop: Header=BB129_2 Depth=1
	s_or_b32 exec_lo, exec_lo, s7
.LBB129_134:                            ;   in Loop: Header=BB129_2 Depth=1
	s_wait_alu 0xfffe
	s_or_b32 exec_lo, exec_lo, s6
	v_sub_nc_u32_e32 v49, v81, v21
	v_lshl_add_u32 v23, v21, 3, v76
	v_add_nc_u32_e32 v50, v21, v58
                                        ; implicit-def: $vgpr21_vgpr22
	s_delay_alu instid0(VALU_DEP_3) | instskip(SKIP_1) | instid1(VALU_DEP_3)
	v_lshlrev_b32_e32 v25, 3, v49
	v_cmp_gt_i32_e64 s7, v75, v49
	v_cmp_le_i32_e64 s6, v74, v50
	ds_load_b64 v[17:18], v23
	ds_load_b64 v[19:20], v25
	s_wait_dscnt 0x0
	v_cmp_lt_i64_e64 s5, v[19:20], v[17:18]
	s_or_b32 s5, s6, s5
	s_wait_alu 0xfffe
	s_and_b32 s5, s7, s5
	s_wait_alu 0xfffe
	s_xor_b32 s6, s5, -1
	s_wait_alu 0xfffe
	s_and_saveexec_b32 s7, s6
	s_wait_alu 0xfffe
	s_xor_b32 s6, exec_lo, s7
; %bb.135:                              ;   in Loop: Header=BB129_2 Depth=1
	ds_load_b64 v[21:22], v23 offset:8
                                        ; implicit-def: $vgpr25
; %bb.136:                              ;   in Loop: Header=BB129_2 Depth=1
	s_wait_alu 0xfffe
	s_or_saveexec_b32 s6, s6
	v_dual_mov_b32 v24, v20 :: v_dual_mov_b32 v23, v19
	s_wait_alu 0xfffe
	s_xor_b32 exec_lo, exec_lo, s6
	s_cbranch_execz .LBB129_138
; %bb.137:                              ;   in Loop: Header=BB129_2 Depth=1
	ds_load_b64 v[23:24], v25 offset:8
	s_wait_dscnt 0x1
	v_dual_mov_b32 v22, v18 :: v_dual_mov_b32 v21, v17
.LBB129_138:                            ;   in Loop: Header=BB129_2 Depth=1
	s_or_b32 exec_lo, exec_lo, s6
	v_add_nc_u32_e32 v25, 1, v50
	v_add_nc_u32_e32 v26, 1, v49
	s_wait_dscnt 0x0
	v_cmp_lt_i64_e64 s6, v[23:24], v[21:22]
	s_delay_alu instid0(VALU_DEP_3) | instskip(NEXT) | instid1(VALU_DEP_3)
	v_cndmask_b32_e64 v51, v25, v50, s5
	v_cndmask_b32_e64 v52, v49, v26, s5
                                        ; implicit-def: $vgpr25_vgpr26
	s_delay_alu instid0(VALU_DEP_2) | instskip(NEXT) | instid1(VALU_DEP_2)
	v_cmp_ge_i32_e64 s7, v51, v74
	v_cmp_lt_i32_e64 s8, v52, v75
	s_or_b32 s6, s7, s6
	s_wait_alu 0xfffe
	s_and_b32 s6, s8, s6
	s_wait_alu 0xfffe
	s_xor_b32 s7, s6, -1
	s_wait_alu 0xfffe
	s_and_saveexec_b32 s8, s7
	s_wait_alu 0xfffe
	s_xor_b32 s7, exec_lo, s8
; %bb.139:                              ;   in Loop: Header=BB129_2 Depth=1
	v_lshlrev_b32_e32 v25, 3, v51
	ds_load_b64 v[25:26], v25 offset:8
; %bb.140:                              ;   in Loop: Header=BB129_2 Depth=1
	s_wait_alu 0xfffe
	s_or_saveexec_b32 s7, s7
	v_dual_mov_b32 v28, v24 :: v_dual_mov_b32 v27, v23
	s_wait_alu 0xfffe
	s_xor_b32 exec_lo, exec_lo, s7
	s_cbranch_execz .LBB129_142
; %bb.141:                              ;   in Loop: Header=BB129_2 Depth=1
	s_wait_dscnt 0x0
	v_lshlrev_b32_e32 v25, 3, v52
	ds_load_b64 v[27:28], v25 offset:8
	v_dual_mov_b32 v26, v22 :: v_dual_mov_b32 v25, v21
.LBB129_142:                            ;   in Loop: Header=BB129_2 Depth=1
	s_or_b32 exec_lo, exec_lo, s7
	v_add_nc_u32_e32 v29, 1, v51
	v_add_nc_u32_e32 v30, 1, v52
	s_wait_dscnt 0x0
	v_cmp_lt_i64_e64 s7, v[27:28], v[25:26]
	s_delay_alu instid0(VALU_DEP_3) | instskip(NEXT) | instid1(VALU_DEP_3)
	v_cndmask_b32_e64 v98, v29, v51, s6
	v_cndmask_b32_e64 v99, v52, v30, s6
                                        ; implicit-def: $vgpr29_vgpr30
	s_delay_alu instid0(VALU_DEP_2) | instskip(NEXT) | instid1(VALU_DEP_2)
	v_cmp_ge_i32_e64 s8, v98, v74
	v_cmp_lt_i32_e64 s9, v99, v75
	s_or_b32 s7, s8, s7
	s_wait_alu 0xfffe
	s_and_b32 s7, s9, s7
	s_wait_alu 0xfffe
	s_xor_b32 s8, s7, -1
	s_wait_alu 0xfffe
	s_and_saveexec_b32 s9, s8
	s_wait_alu 0xfffe
	s_xor_b32 s8, exec_lo, s9
; %bb.143:                              ;   in Loop: Header=BB129_2 Depth=1
	v_lshlrev_b32_e32 v29, 3, v98
	ds_load_b64 v[29:30], v29 offset:8
; %bb.144:                              ;   in Loop: Header=BB129_2 Depth=1
	s_wait_alu 0xfffe
	s_or_saveexec_b32 s8, s8
	v_dual_mov_b32 v32, v28 :: v_dual_mov_b32 v31, v27
	s_wait_alu 0xfffe
	s_xor_b32 exec_lo, exec_lo, s8
	s_cbranch_execz .LBB129_146
; %bb.145:                              ;   in Loop: Header=BB129_2 Depth=1
	s_wait_dscnt 0x0
	v_lshlrev_b32_e32 v29, 3, v99
	ds_load_b64 v[31:32], v29 offset:8
	v_dual_mov_b32 v30, v26 :: v_dual_mov_b32 v29, v25
.LBB129_146:                            ;   in Loop: Header=BB129_2 Depth=1
	s_or_b32 exec_lo, exec_lo, s8
	v_add_nc_u32_e32 v33, 1, v98
	v_add_nc_u32_e32 v34, 1, v99
	s_wait_dscnt 0x0
	v_cmp_lt_i64_e64 s8, v[31:32], v[29:30]
	s_delay_alu instid0(VALU_DEP_3) | instskip(NEXT) | instid1(VALU_DEP_3)
	v_cndmask_b32_e64 v100, v33, v98, s7
	v_cndmask_b32_e64 v101, v99, v34, s7
                                        ; implicit-def: $vgpr33_vgpr34
	s_delay_alu instid0(VALU_DEP_2) | instskip(NEXT) | instid1(VALU_DEP_2)
	v_cmp_ge_i32_e64 s9, v100, v74
	v_cmp_lt_i32_e64 s10, v101, v75
	s_or_b32 s8, s9, s8
	s_wait_alu 0xfffe
	s_and_b32 s8, s10, s8
	s_wait_alu 0xfffe
	s_xor_b32 s9, s8, -1
	s_wait_alu 0xfffe
	s_and_saveexec_b32 s10, s9
	s_wait_alu 0xfffe
	s_xor_b32 s9, exec_lo, s10
; %bb.147:                              ;   in Loop: Header=BB129_2 Depth=1
	v_lshlrev_b32_e32 v33, 3, v100
	ds_load_b64 v[33:34], v33 offset:8
; %bb.148:                              ;   in Loop: Header=BB129_2 Depth=1
	s_wait_alu 0xfffe
	s_or_saveexec_b32 s9, s9
	v_dual_mov_b32 v36, v32 :: v_dual_mov_b32 v35, v31
	s_wait_alu 0xfffe
	s_xor_b32 exec_lo, exec_lo, s9
	s_cbranch_execz .LBB129_150
; %bb.149:                              ;   in Loop: Header=BB129_2 Depth=1
	s_wait_dscnt 0x0
	v_lshlrev_b32_e32 v33, 3, v101
	ds_load_b64 v[35:36], v33 offset:8
	v_dual_mov_b32 v34, v30 :: v_dual_mov_b32 v33, v29
.LBB129_150:                            ;   in Loop: Header=BB129_2 Depth=1
	s_or_b32 exec_lo, exec_lo, s9
	v_add_nc_u32_e32 v37, 1, v100
	v_add_nc_u32_e32 v38, 1, v101
	s_wait_dscnt 0x0
	v_cmp_lt_i64_e64 s9, v[35:36], v[33:34]
                                        ; implicit-def: $vgpr39_vgpr40
	s_delay_alu instid0(VALU_DEP_3) | instskip(NEXT) | instid1(VALU_DEP_3)
	v_cndmask_b32_e64 v102, v37, v100, s8
	v_cndmask_b32_e64 v103, v101, v38, s8
	s_delay_alu instid0(VALU_DEP_2) | instskip(NEXT) | instid1(VALU_DEP_2)
	v_cmp_ge_i32_e64 s10, v102, v74
	v_cmp_lt_i32_e64 s11, v103, v75
	s_or_b32 s9, s10, s9
	s_wait_alu 0xfffe
	s_and_b32 s9, s11, s9
	s_wait_alu 0xfffe
	s_xor_b32 s10, s9, -1
	s_wait_alu 0xfffe
	s_and_saveexec_b32 s11, s10
	s_wait_alu 0xfffe
	s_xor_b32 s10, exec_lo, s11
; %bb.151:                              ;   in Loop: Header=BB129_2 Depth=1
	v_lshlrev_b32_e32 v37, 3, v102
	ds_load_b64 v[39:40], v37 offset:8
; %bb.152:                              ;   in Loop: Header=BB129_2 Depth=1
	s_wait_alu 0xfffe
	s_or_saveexec_b32 s10, s10
	v_dual_mov_b32 v44, v36 :: v_dual_mov_b32 v43, v35
	s_wait_alu 0xfffe
	s_xor_b32 exec_lo, exec_lo, s10
	s_cbranch_execz .LBB129_154
; %bb.153:                              ;   in Loop: Header=BB129_2 Depth=1
	s_wait_dscnt 0x0
	v_dual_mov_b32 v40, v34 :: v_dual_lshlrev_b32 v37, 3, v103
	v_mov_b32_e32 v39, v33
	ds_load_b64 v[43:44], v37 offset:8
.LBB129_154:                            ;   in Loop: Header=BB129_2 Depth=1
	s_or_b32 exec_lo, exec_lo, s10
	v_add_nc_u32_e32 v37, 1, v102
	v_add_nc_u32_e32 v38, 1, v103
	s_wait_dscnt 0x0
	v_cmp_lt_i64_e64 s10, v[43:44], v[39:40]
                                        ; implicit-def: $vgpr45_vgpr46
	s_delay_alu instid0(VALU_DEP_3) | instskip(NEXT) | instid1(VALU_DEP_3)
	v_cndmask_b32_e64 v104, v37, v102, s9
	v_cndmask_b32_e64 v105, v103, v38, s9
	s_delay_alu instid0(VALU_DEP_2) | instskip(NEXT) | instid1(VALU_DEP_2)
	v_cmp_ge_i32_e64 s11, v104, v74
	v_cmp_lt_i32_e64 s12, v105, v75
	s_or_b32 s10, s11, s10
	s_wait_alu 0xfffe
	s_and_b32 s10, s12, s10
	s_wait_alu 0xfffe
	s_xor_b32 s11, s10, -1
	s_wait_alu 0xfffe
	s_and_saveexec_b32 s12, s11
	s_wait_alu 0xfffe
	s_xor_b32 s11, exec_lo, s12
; %bb.155:                              ;   in Loop: Header=BB129_2 Depth=1
	v_lshlrev_b32_e32 v37, 3, v104
	ds_load_b64 v[45:46], v37 offset:8
; %bb.156:                              ;   in Loop: Header=BB129_2 Depth=1
	s_wait_alu 0xfffe
	s_or_saveexec_b32 s11, s11
	v_dual_mov_b32 v48, v44 :: v_dual_mov_b32 v47, v43
	s_wait_alu 0xfffe
	s_xor_b32 exec_lo, exec_lo, s11
	s_cbranch_execz .LBB129_158
; %bb.157:                              ;   in Loop: Header=BB129_2 Depth=1
	s_wait_dscnt 0x0
	v_dual_mov_b32 v46, v40 :: v_dual_lshlrev_b32 v37, 3, v105
	v_mov_b32_e32 v45, v39
	ds_load_b64 v[47:48], v37 offset:8
.LBB129_158:                            ;   in Loop: Header=BB129_2 Depth=1
	s_or_b32 exec_lo, exec_lo, s11
	v_add_nc_u32_e32 v37, 1, v104
	v_add_nc_u32_e32 v38, 1, v105
	s_wait_dscnt 0x0
	v_cmp_lt_i64_e64 s11, v[47:48], v[45:46]
	s_delay_alu instid0(VALU_DEP_3) | instskip(NEXT) | instid1(VALU_DEP_3)
	v_cndmask_b32_e64 v106, v37, v104, s10
	v_cndmask_b32_e64 v107, v105, v38, s10
                                        ; implicit-def: $vgpr37_vgpr38
	s_delay_alu instid0(VALU_DEP_2) | instskip(NEXT) | instid1(VALU_DEP_2)
	v_cmp_ge_i32_e64 s12, v106, v74
	v_cmp_lt_i32_e64 s13, v107, v75
	s_or_b32 s11, s12, s11
	s_wait_alu 0xfffe
	s_and_b32 s11, s13, s11
	s_wait_alu 0xfffe
	s_xor_b32 s12, s11, -1
	s_wait_alu 0xfffe
	s_and_saveexec_b32 s13, s12
	s_wait_alu 0xfffe
	s_xor_b32 s12, exec_lo, s13
; %bb.159:                              ;   in Loop: Header=BB129_2 Depth=1
	v_lshlrev_b32_e32 v37, 3, v106
	ds_load_b64 v[37:38], v37 offset:8
; %bb.160:                              ;   in Loop: Header=BB129_2 Depth=1
	s_wait_alu 0xfffe
	s_or_saveexec_b32 s12, s12
	v_dual_mov_b32 v41, v47 :: v_dual_mov_b32 v42, v48
	s_wait_alu 0xfffe
	s_xor_b32 exec_lo, exec_lo, s12
	s_cbranch_execz .LBB129_162
; %bb.161:                              ;   in Loop: Header=BB129_2 Depth=1
	s_wait_dscnt 0x0
	v_lshlrev_b32_e32 v37, 3, v107
	ds_load_b64 v[41:42], v37 offset:8
	v_dual_mov_b32 v37, v45 :: v_dual_mov_b32 v38, v46
.LBB129_162:                            ;   in Loop: Header=BB129_2 Depth=1
	s_or_b32 exec_lo, exec_lo, s12
	v_add_nc_u32_e32 v109, 1, v106
	v_add_nc_u32_e32 v108, 1, v107
	v_cndmask_b32_e64 v46, v46, v48, s11
	v_cndmask_b32_e64 v45, v45, v47, s11
	;; [unrolled: 1-line block ×7, first 2 shown]
	s_wait_dscnt 0x0
	v_cmp_lt_i64_e64 s8, v[41:42], v[37:38]
	v_cndmask_b32_e64 v34, v34, v36, s9
	v_cndmask_b32_e64 v33, v33, v35, s9
	;; [unrolled: 1-line block ×3, first 2 shown]
	v_cmp_ge_i32_e64 s9, v48, v74
	v_cndmask_b32_e64 v40, v40, v44, s10
	v_cndmask_b32_e64 v39, v39, v43, s10
	v_cndmask_b32_e64 v43, v104, v105, s10
	v_cmp_lt_i32_e64 s10, v47, v75
	v_cndmask_b32_e64 v44, v50, v49, s5
	v_cndmask_b32_e64 v36, v51, v52, s6
	s_or_b32 s8, s9, s8
	v_cndmask_b32_e64 v32, v98, v99, s7
	s_wait_alu 0xfffe
	s_and_b32 s8, s10, s8
	v_cndmask_b32_e64 v106, v106, v107, s11
	v_cndmask_b32_e64 v26, v26, v28, s7
	s_wait_alu 0xfffe
	v_cndmask_b32_e64 v28, v38, v42, s8
	v_cndmask_b32_e64 v38, v48, v47, s8
	s_wait_loadcnt 0x0
	s_barrier_signal -1
	s_barrier_wait -1
	global_inv scope:SCOPE_SE
	ds_store_2addr_b64 v53, v[13:14], v[15:16] offset1:1
	ds_store_2addr_b64 v53, v[9:10], v[11:12] offset0:2 offset1:3
	ds_store_2addr_b64 v53, v[5:6], v[7:8] offset0:4 offset1:5
	;; [unrolled: 1-line block ×3, first 2 shown]
	v_lshlrev_b32_e32 v1, 3, v44
	v_lshlrev_b32_e32 v2, 3, v36
	v_lshlrev_b32_e32 v3, 3, v32
	v_lshlrev_b32_e32 v4, 3, v31
	v_lshlrev_b32_e32 v5, 3, v35
	v_lshlrev_b32_e32 v7, 3, v43
	s_wait_loadcnt_dscnt 0x0
	s_barrier_signal -1
	s_barrier_wait -1
	global_inv scope:SCOPE_SE
	v_lshlrev_b32_e32 v31, 3, v106
	v_lshlrev_b32_e32 v32, 3, v38
	ds_load_b64 v[13:14], v1
	ds_load_b64 v[15:16], v2
	;; [unrolled: 1-line block ×8, first 2 shown]
	v_cndmask_b32_e64 v22, v22, v24, s6
	v_cndmask_b32_e64 v21, v21, v23, s6
	;; [unrolled: 1-line block ×6, first 2 shown]
	s_wait_loadcnt_dscnt 0x0
	s_barrier_signal -1
	s_barrier_wait -1
	global_inv scope:SCOPE_SE
	ds_store_2addr_b64 v53, v[17:18], v[21:22] offset1:1
	ds_store_2addr_b64 v53, v[25:26], v[29:30] offset0:2 offset1:3
	ds_store_2addr_b64 v53, v[33:34], v[39:40] offset0:4 offset1:5
	;; [unrolled: 1-line block ×3, first 2 shown]
	v_mov_b32_e32 v33, v59
	s_wait_loadcnt_dscnt 0x0
	s_barrier_signal -1
	s_barrier_wait -1
	global_inv scope:SCOPE_SE
	s_and_saveexec_b32 s6, vcc_lo
	s_cbranch_execz .LBB129_166
; %bb.163:                              ;   in Loop: Header=BB129_2 Depth=1
	v_mov_b32_e32 v33, v59
	v_mov_b32_e32 v17, v60
	s_mov_b32 s7, 0
.LBB129_164:                            ;   Parent Loop BB129_2 Depth=1
                                        ; =>  This Inner Loop Header: Depth=2
	s_delay_alu instid0(VALU_DEP_1) | instskip(NEXT) | instid1(VALU_DEP_1)
	v_sub_nc_u32_e32 v18, v17, v33
	v_lshrrev_b32_e32 v18, 1, v18
	s_delay_alu instid0(VALU_DEP_1) | instskip(NEXT) | instid1(VALU_DEP_1)
	v_add_nc_u32_e32 v22, v18, v33
	v_not_b32_e32 v18, v22
	v_lshlrev_b32_e32 v19, 3, v22
	s_delay_alu instid0(VALU_DEP_2)
	v_lshl_add_u32 v20, v18, 3, v97
	ds_load_b64 v[18:19], v19
	ds_load_b64 v[20:21], v20
	s_wait_dscnt 0x0
	v_cmp_lt_i64_e64 s5, v[20:21], v[18:19]
	v_add_nc_u32_e32 v18, 1, v22
	s_wait_alu 0xf1ff
	s_delay_alu instid0(VALU_DEP_2) | instskip(NEXT) | instid1(VALU_DEP_2)
	v_cndmask_b32_e64 v17, v17, v22, s5
	v_cndmask_b32_e64 v33, v18, v33, s5
	s_delay_alu instid0(VALU_DEP_1)
	v_cmp_ge_i32_e64 s5, v33, v17
	s_wait_alu 0xfffe
	s_or_b32 s7, s5, s7
	s_wait_alu 0xfffe
	s_and_not1_b32 exec_lo, exec_lo, s7
	s_cbranch_execnz .LBB129_164
; %bb.165:                              ;   in Loop: Header=BB129_2 Depth=1
	s_or_b32 exec_lo, exec_lo, s7
.LBB129_166:                            ;   in Loop: Header=BB129_2 Depth=1
	s_wait_alu 0xfffe
	s_or_b32 exec_lo, exec_lo, s6
	v_sub_nc_u32_e32 v34, v61, v33
	v_lshlrev_b32_e32 v23, 3, v33
	v_cmp_le_i32_e64 s6, 0x100, v33
                                        ; implicit-def: $vgpr21_vgpr22
	s_delay_alu instid0(VALU_DEP_3)
	v_lshlrev_b32_e32 v25, 3, v34
	v_cmp_gt_i32_e64 s7, 0x200, v34
	ds_load_b64 v[17:18], v23
	ds_load_b64 v[19:20], v25
	s_wait_dscnt 0x0
	v_cmp_lt_i64_e64 s5, v[19:20], v[17:18]
	s_or_b32 s5, s6, s5
	s_wait_alu 0xfffe
	s_and_b32 s5, s7, s5
	s_wait_alu 0xfffe
	s_xor_b32 s6, s5, -1
	s_wait_alu 0xfffe
	s_and_saveexec_b32 s7, s6
	s_wait_alu 0xfffe
	s_xor_b32 s6, exec_lo, s7
; %bb.167:                              ;   in Loop: Header=BB129_2 Depth=1
	ds_load_b64 v[21:22], v23 offset:8
                                        ; implicit-def: $vgpr25
; %bb.168:                              ;   in Loop: Header=BB129_2 Depth=1
	s_wait_alu 0xfffe
	s_or_saveexec_b32 s6, s6
	v_dual_mov_b32 v24, v20 :: v_dual_mov_b32 v23, v19
	s_wait_alu 0xfffe
	s_xor_b32 exec_lo, exec_lo, s6
	s_cbranch_execz .LBB129_170
; %bb.169:                              ;   in Loop: Header=BB129_2 Depth=1
	ds_load_b64 v[23:24], v25 offset:8
	s_wait_dscnt 0x1
	v_dual_mov_b32 v22, v18 :: v_dual_mov_b32 v21, v17
.LBB129_170:                            ;   in Loop: Header=BB129_2 Depth=1
	s_or_b32 exec_lo, exec_lo, s6
	v_add_nc_u32_e32 v25, 1, v33
	v_add_nc_u32_e32 v26, 1, v34
	s_wait_dscnt 0x0
	v_cmp_lt_i64_e64 s6, v[23:24], v[21:22]
	s_delay_alu instid0(VALU_DEP_3) | instskip(NEXT) | instid1(VALU_DEP_3)
	v_cndmask_b32_e64 v35, v25, v33, s5
	v_cndmask_b32_e64 v36, v34, v26, s5
                                        ; implicit-def: $vgpr25_vgpr26
	s_delay_alu instid0(VALU_DEP_2) | instskip(NEXT) | instid1(VALU_DEP_2)
	v_cmp_le_i32_e64 s7, 0x100, v35
	v_cmp_gt_i32_e64 s8, 0x200, v36
	s_or_b32 s6, s7, s6
	s_wait_alu 0xfffe
	s_and_b32 s6, s8, s6
	s_wait_alu 0xfffe
	s_xor_b32 s7, s6, -1
	s_wait_alu 0xfffe
	s_and_saveexec_b32 s8, s7
	s_wait_alu 0xfffe
	s_xor_b32 s7, exec_lo, s8
; %bb.171:                              ;   in Loop: Header=BB129_2 Depth=1
	v_lshlrev_b32_e32 v25, 3, v35
	ds_load_b64 v[25:26], v25 offset:8
; %bb.172:                              ;   in Loop: Header=BB129_2 Depth=1
	s_wait_alu 0xfffe
	s_or_saveexec_b32 s7, s7
	v_dual_mov_b32 v28, v24 :: v_dual_mov_b32 v27, v23
	s_wait_alu 0xfffe
	s_xor_b32 exec_lo, exec_lo, s7
	s_cbranch_execz .LBB129_174
; %bb.173:                              ;   in Loop: Header=BB129_2 Depth=1
	s_wait_dscnt 0x0
	v_lshlrev_b32_e32 v25, 3, v36
	ds_load_b64 v[27:28], v25 offset:8
	v_dual_mov_b32 v26, v22 :: v_dual_mov_b32 v25, v21
.LBB129_174:                            ;   in Loop: Header=BB129_2 Depth=1
	s_or_b32 exec_lo, exec_lo, s7
	v_add_nc_u32_e32 v29, 1, v35
	v_add_nc_u32_e32 v30, 1, v36
	s_wait_dscnt 0x0
	v_cmp_lt_i64_e64 s7, v[27:28], v[25:26]
	s_delay_alu instid0(VALU_DEP_3) | instskip(NEXT) | instid1(VALU_DEP_3)
	v_cndmask_b32_e64 v98, v29, v35, s6
	v_cndmask_b32_e64 v99, v36, v30, s6
                                        ; implicit-def: $vgpr29_vgpr30
	s_delay_alu instid0(VALU_DEP_2) | instskip(NEXT) | instid1(VALU_DEP_2)
	v_cmp_le_i32_e64 s8, 0x100, v98
	v_cmp_gt_i32_e64 s9, 0x200, v99
	s_or_b32 s7, s8, s7
	s_wait_alu 0xfffe
	s_and_b32 s7, s9, s7
	s_wait_alu 0xfffe
	s_xor_b32 s8, s7, -1
	s_wait_alu 0xfffe
	s_and_saveexec_b32 s9, s8
	s_wait_alu 0xfffe
	s_xor_b32 s8, exec_lo, s9
; %bb.175:                              ;   in Loop: Header=BB129_2 Depth=1
	v_lshlrev_b32_e32 v29, 3, v98
	ds_load_b64 v[29:30], v29 offset:8
; %bb.176:                              ;   in Loop: Header=BB129_2 Depth=1
	s_wait_alu 0xfffe
	s_or_saveexec_b32 s8, s8
	v_dual_mov_b32 v32, v28 :: v_dual_mov_b32 v31, v27
	s_wait_alu 0xfffe
	s_xor_b32 exec_lo, exec_lo, s8
	s_cbranch_execz .LBB129_178
; %bb.177:                              ;   in Loop: Header=BB129_2 Depth=1
	s_wait_dscnt 0x0
	v_lshlrev_b32_e32 v29, 3, v99
	ds_load_b64 v[31:32], v29 offset:8
	v_dual_mov_b32 v30, v26 :: v_dual_mov_b32 v29, v25
.LBB129_178:                            ;   in Loop: Header=BB129_2 Depth=1
	s_or_b32 exec_lo, exec_lo, s8
	v_add_nc_u32_e32 v37, 1, v98
	v_add_nc_u32_e32 v38, 1, v99
	s_wait_dscnt 0x0
	v_cmp_lt_i64_e64 s8, v[31:32], v[29:30]
	s_delay_alu instid0(VALU_DEP_3) | instskip(NEXT) | instid1(VALU_DEP_3)
	v_cndmask_b32_e64 v100, v37, v98, s7
	v_cndmask_b32_e64 v101, v99, v38, s7
                                        ; implicit-def: $vgpr37_vgpr38
	s_delay_alu instid0(VALU_DEP_2) | instskip(NEXT) | instid1(VALU_DEP_2)
	v_cmp_le_i32_e64 s9, 0x100, v100
	v_cmp_gt_i32_e64 s10, 0x200, v101
	s_or_b32 s8, s9, s8
	s_wait_alu 0xfffe
	s_and_b32 s8, s10, s8
	s_wait_alu 0xfffe
	s_xor_b32 s9, s8, -1
	s_wait_alu 0xfffe
	s_and_saveexec_b32 s10, s9
	s_wait_alu 0xfffe
	s_xor_b32 s9, exec_lo, s10
; %bb.179:                              ;   in Loop: Header=BB129_2 Depth=1
	v_lshlrev_b32_e32 v37, 3, v100
	ds_load_b64 v[37:38], v37 offset:8
; %bb.180:                              ;   in Loop: Header=BB129_2 Depth=1
	s_wait_alu 0xfffe
	s_or_saveexec_b32 s9, s9
	v_dual_mov_b32 v40, v32 :: v_dual_mov_b32 v39, v31
	s_wait_alu 0xfffe
	s_xor_b32 exec_lo, exec_lo, s9
	s_cbranch_execz .LBB129_182
; %bb.181:                              ;   in Loop: Header=BB129_2 Depth=1
	s_wait_dscnt 0x0
	v_lshlrev_b32_e32 v37, 3, v101
	ds_load_b64 v[39:40], v37 offset:8
	v_dual_mov_b32 v38, v30 :: v_dual_mov_b32 v37, v29
.LBB129_182:                            ;   in Loop: Header=BB129_2 Depth=1
	s_or_b32 exec_lo, exec_lo, s9
	v_add_nc_u32_e32 v41, 1, v100
	v_add_nc_u32_e32 v42, 1, v101
	s_wait_dscnt 0x0
	v_cmp_lt_i64_e64 s9, v[39:40], v[37:38]
	s_delay_alu instid0(VALU_DEP_3) | instskip(NEXT) | instid1(VALU_DEP_3)
	v_cndmask_b32_e64 v102, v41, v100, s8
	v_cndmask_b32_e64 v103, v101, v42, s8
                                        ; implicit-def: $vgpr41_vgpr42
	s_delay_alu instid0(VALU_DEP_2) | instskip(NEXT) | instid1(VALU_DEP_2)
	v_cmp_le_i32_e64 s10, 0x100, v102
	v_cmp_gt_i32_e64 s11, 0x200, v103
	s_or_b32 s9, s10, s9
	s_wait_alu 0xfffe
	s_and_b32 s9, s11, s9
	s_wait_alu 0xfffe
	s_xor_b32 s10, s9, -1
	s_wait_alu 0xfffe
	s_and_saveexec_b32 s11, s10
	s_wait_alu 0xfffe
	s_xor_b32 s10, exec_lo, s11
; %bb.183:                              ;   in Loop: Header=BB129_2 Depth=1
	v_lshlrev_b32_e32 v41, 3, v102
	ds_load_b64 v[41:42], v41 offset:8
; %bb.184:                              ;   in Loop: Header=BB129_2 Depth=1
	s_wait_alu 0xfffe
	s_or_saveexec_b32 s10, s10
	v_dual_mov_b32 v44, v40 :: v_dual_mov_b32 v43, v39
	s_wait_alu 0xfffe
	s_xor_b32 exec_lo, exec_lo, s10
	s_cbranch_execz .LBB129_186
; %bb.185:                              ;   in Loop: Header=BB129_2 Depth=1
	s_wait_dscnt 0x0
	v_lshlrev_b32_e32 v41, 3, v103
	ds_load_b64 v[43:44], v41 offset:8
	v_dual_mov_b32 v42, v38 :: v_dual_mov_b32 v41, v37
.LBB129_186:                            ;   in Loop: Header=BB129_2 Depth=1
	s_or_b32 exec_lo, exec_lo, s10
	v_add_nc_u32_e32 v45, 1, v102
	v_add_nc_u32_e32 v46, 1, v103
	s_wait_dscnt 0x0
	v_cmp_lt_i64_e64 s10, v[43:44], v[41:42]
	s_delay_alu instid0(VALU_DEP_3) | instskip(NEXT) | instid1(VALU_DEP_3)
	v_cndmask_b32_e64 v104, v45, v102, s9
	v_cndmask_b32_e64 v105, v103, v46, s9
                                        ; implicit-def: $vgpr45_vgpr46
	s_delay_alu instid0(VALU_DEP_2) | instskip(NEXT) | instid1(VALU_DEP_2)
	v_cmp_le_i32_e64 s11, 0x100, v104
	v_cmp_gt_i32_e64 s12, 0x200, v105
	s_or_b32 s10, s11, s10
	s_wait_alu 0xfffe
	s_and_b32 s10, s12, s10
	s_wait_alu 0xfffe
	s_xor_b32 s11, s10, -1
	s_wait_alu 0xfffe
	s_and_saveexec_b32 s12, s11
	s_wait_alu 0xfffe
	s_xor_b32 s11, exec_lo, s12
; %bb.187:                              ;   in Loop: Header=BB129_2 Depth=1
	v_lshlrev_b32_e32 v45, 3, v104
	ds_load_b64 v[45:46], v45 offset:8
; %bb.188:                              ;   in Loop: Header=BB129_2 Depth=1
	s_wait_alu 0xfffe
	s_or_saveexec_b32 s11, s11
	v_dual_mov_b32 v48, v44 :: v_dual_mov_b32 v47, v43
	s_wait_alu 0xfffe
	s_xor_b32 exec_lo, exec_lo, s11
	s_cbranch_execz .LBB129_190
; %bb.189:                              ;   in Loop: Header=BB129_2 Depth=1
	s_wait_dscnt 0x0
	v_lshlrev_b32_e32 v45, 3, v105
	ds_load_b64 v[47:48], v45 offset:8
	v_dual_mov_b32 v46, v42 :: v_dual_mov_b32 v45, v41
.LBB129_190:                            ;   in Loop: Header=BB129_2 Depth=1
	s_or_b32 exec_lo, exec_lo, s11
	v_add_nc_u32_e32 v49, 1, v104
	v_add_nc_u32_e32 v50, 1, v105
	s_wait_dscnt 0x0
	v_cmp_lt_i64_e64 s11, v[47:48], v[45:46]
                                        ; implicit-def: $vgpr108
	s_delay_alu instid0(VALU_DEP_3) | instskip(NEXT) | instid1(VALU_DEP_3)
	v_cndmask_b32_e64 v109, v49, v104, s10
	v_cndmask_b32_e64 v107, v105, v50, s10
                                        ; implicit-def: $vgpr49_vgpr50
	s_delay_alu instid0(VALU_DEP_2) | instskip(NEXT) | instid1(VALU_DEP_2)
	v_cmp_le_i32_e64 s12, 0x100, v109
	v_cmp_gt_i32_e64 s13, 0x200, v107
	s_or_b32 s11, s12, s11
	s_wait_alu 0xfffe
	s_and_b32 s11, s13, s11
	s_wait_alu 0xfffe
	s_xor_b32 s12, s11, -1
	s_wait_alu 0xfffe
	s_and_saveexec_b32 s13, s12
	s_wait_alu 0xfffe
	s_xor_b32 s12, exec_lo, s13
; %bb.191:                              ;   in Loop: Header=BB129_2 Depth=1
	v_lshlrev_b32_e32 v49, 3, v109
	v_add_nc_u32_e32 v108, 1, v109
	ds_load_b64 v[49:50], v49 offset:8
; %bb.192:                              ;   in Loop: Header=BB129_2 Depth=1
	s_wait_alu 0xfffe
	s_or_saveexec_b32 s12, s12
	v_mov_b32_e32 v52, v48
	v_dual_mov_b32 v106, v109 :: v_dual_mov_b32 v51, v47
	s_wait_alu 0xfffe
	s_xor_b32 exec_lo, exec_lo, s12
	s_cbranch_execz .LBB129_1
; %bb.193:                              ;   in Loop: Header=BB129_2 Depth=1
	s_wait_dscnt 0x0
	v_dual_mov_b32 v106, v107 :: v_dual_lshlrev_b32 v49, 3, v107
	v_mov_b32_e32 v108, v109
	ds_load_b64 v[51:52], v49 offset:8
	v_add_nc_u32_e32 v49, 1, v107
	s_delay_alu instid0(VALU_DEP_1)
	v_dual_mov_b32 v107, v49 :: v_dual_mov_b32 v50, v46
	v_mov_b32_e32 v49, v45
	s_branch .LBB129_1
.LBB129_194:
	s_wait_dscnt 0x7
	v_add_co_u32 v15, vcc_lo, v19, v15
	s_delay_alu instid0(VALU_DEP_1)
	v_add_co_ci_u32_e64 v16, null, v20, v16, vcc_lo
	s_wait_dscnt 0x6
	v_add_co_u32 v13, vcc_lo, v35, v13
	s_wait_alu 0xfffd
	v_add_co_ci_u32_e64 v14, null, v36, v14, vcc_lo
	s_wait_dscnt 0x5
	v_add_co_u32 v11, vcc_lo, v33, v11
	s_wait_alu 0xfffd
	;; [unrolled: 4-line block ×4, first 2 shown]
	v_add_co_ci_u32_e64 v8, null, v26, v8, vcc_lo
	s_wait_dscnt 0x2
	v_add_co_u32 v5, vcc_lo, v23, v5
	v_lshlrev_b32_e32 v19, 3, v0
	s_wait_alu 0xfffd
	v_add_co_ci_u32_e64 v6, null, v24, v6, vcc_lo
	s_wait_dscnt 0x1
	v_add_co_u32 v3, vcc_lo, v21, v3
	s_wait_alu 0xfffd
	v_add_co_ci_u32_e64 v4, null, v22, v4, vcc_lo
	s_add_nc_u64 s[0:1], s[46:47], s[48:49]
	s_wait_dscnt 0x0
	v_add_co_u32 v0, vcc_lo, v17, v1
	s_wait_alu 0xfffd
	v_add_co_ci_u32_e64 v1, null, v18, v2, vcc_lo
	s_clause 0x7
	global_store_b64 v19, v[15:16], s[0:1]
	global_store_b64 v19, v[13:14], s[0:1] offset:512
	global_store_b64 v19, v[11:12], s[0:1] offset:1024
	;; [unrolled: 1-line block ×7, first 2 shown]
	s_nop 0
	s_sendmsg sendmsg(MSG_DEALLOC_VGPRS)
	s_endpgm
	.section	.rodata,"a",@progbits
	.p2align	6, 0x0
	.amdhsa_kernel _Z17sort_pairs_kernelIxLj64ELj8EN10test_utils4lessELj10EEvPKT_PS2_T2_
		.amdhsa_group_segment_fixed_size 4104
		.amdhsa_private_segment_fixed_size 0
		.amdhsa_kernarg_size 20
		.amdhsa_user_sgpr_count 2
		.amdhsa_user_sgpr_dispatch_ptr 0
		.amdhsa_user_sgpr_queue_ptr 0
		.amdhsa_user_sgpr_kernarg_segment_ptr 1
		.amdhsa_user_sgpr_dispatch_id 0
		.amdhsa_user_sgpr_private_segment_size 0
		.amdhsa_wavefront_size32 1
		.amdhsa_uses_dynamic_stack 0
		.amdhsa_enable_private_segment 0
		.amdhsa_system_sgpr_workgroup_id_x 1
		.amdhsa_system_sgpr_workgroup_id_y 0
		.amdhsa_system_sgpr_workgroup_id_z 0
		.amdhsa_system_sgpr_workgroup_info 0
		.amdhsa_system_vgpr_workitem_id 0
		.amdhsa_next_free_vgpr 110
		.amdhsa_next_free_sgpr 50
		.amdhsa_reserve_vcc 1
		.amdhsa_float_round_mode_32 0
		.amdhsa_float_round_mode_16_64 0
		.amdhsa_float_denorm_mode_32 3
		.amdhsa_float_denorm_mode_16_64 3
		.amdhsa_fp16_overflow 0
		.amdhsa_workgroup_processor_mode 1
		.amdhsa_memory_ordered 1
		.amdhsa_forward_progress 1
		.amdhsa_inst_pref_size 112
		.amdhsa_round_robin_scheduling 0
		.amdhsa_exception_fp_ieee_invalid_op 0
		.amdhsa_exception_fp_denorm_src 0
		.amdhsa_exception_fp_ieee_div_zero 0
		.amdhsa_exception_fp_ieee_overflow 0
		.amdhsa_exception_fp_ieee_underflow 0
		.amdhsa_exception_fp_ieee_inexact 0
		.amdhsa_exception_int_div_zero 0
	.end_amdhsa_kernel
	.section	.text._Z17sort_pairs_kernelIxLj64ELj8EN10test_utils4lessELj10EEvPKT_PS2_T2_,"axG",@progbits,_Z17sort_pairs_kernelIxLj64ELj8EN10test_utils4lessELj10EEvPKT_PS2_T2_,comdat
.Lfunc_end129:
	.size	_Z17sort_pairs_kernelIxLj64ELj8EN10test_utils4lessELj10EEvPKT_PS2_T2_, .Lfunc_end129-_Z17sort_pairs_kernelIxLj64ELj8EN10test_utils4lessELj10EEvPKT_PS2_T2_
                                        ; -- End function
	.set _Z17sort_pairs_kernelIxLj64ELj8EN10test_utils4lessELj10EEvPKT_PS2_T2_.num_vgpr, 110
	.set _Z17sort_pairs_kernelIxLj64ELj8EN10test_utils4lessELj10EEvPKT_PS2_T2_.num_agpr, 0
	.set _Z17sort_pairs_kernelIxLj64ELj8EN10test_utils4lessELj10EEvPKT_PS2_T2_.numbered_sgpr, 50
	.set _Z17sort_pairs_kernelIxLj64ELj8EN10test_utils4lessELj10EEvPKT_PS2_T2_.num_named_barrier, 0
	.set _Z17sort_pairs_kernelIxLj64ELj8EN10test_utils4lessELj10EEvPKT_PS2_T2_.private_seg_size, 0
	.set _Z17sort_pairs_kernelIxLj64ELj8EN10test_utils4lessELj10EEvPKT_PS2_T2_.uses_vcc, 1
	.set _Z17sort_pairs_kernelIxLj64ELj8EN10test_utils4lessELj10EEvPKT_PS2_T2_.uses_flat_scratch, 0
	.set _Z17sort_pairs_kernelIxLj64ELj8EN10test_utils4lessELj10EEvPKT_PS2_T2_.has_dyn_sized_stack, 0
	.set _Z17sort_pairs_kernelIxLj64ELj8EN10test_utils4lessELj10EEvPKT_PS2_T2_.has_recursion, 0
	.set _Z17sort_pairs_kernelIxLj64ELj8EN10test_utils4lessELj10EEvPKT_PS2_T2_.has_indirect_call, 0
	.section	.AMDGPU.csdata,"",@progbits
; Kernel info:
; codeLenInByte = 14252
; TotalNumSgprs: 52
; NumVgprs: 110
; ScratchSize: 0
; MemoryBound: 0
; FloatMode: 240
; IeeeMode: 1
; LDSByteSize: 4104 bytes/workgroup (compile time only)
; SGPRBlocks: 0
; VGPRBlocks: 13
; NumSGPRsForWavesPerEU: 52
; NumVGPRsForWavesPerEU: 110
; Occupancy: 12
; WaveLimiterHint : 1
; COMPUTE_PGM_RSRC2:SCRATCH_EN: 0
; COMPUTE_PGM_RSRC2:USER_SGPR: 2
; COMPUTE_PGM_RSRC2:TRAP_HANDLER: 0
; COMPUTE_PGM_RSRC2:TGID_X_EN: 1
; COMPUTE_PGM_RSRC2:TGID_Y_EN: 0
; COMPUTE_PGM_RSRC2:TGID_Z_EN: 0
; COMPUTE_PGM_RSRC2:TIDIG_COMP_CNT: 0
	.section	.text._Z16sort_keys_kernelIxLj128ELj1EN10test_utils4lessELj10EEvPKT_PS2_T2_,"axG",@progbits,_Z16sort_keys_kernelIxLj128ELj1EN10test_utils4lessELj10EEvPKT_PS2_T2_,comdat
	.protected	_Z16sort_keys_kernelIxLj128ELj1EN10test_utils4lessELj10EEvPKT_PS2_T2_ ; -- Begin function _Z16sort_keys_kernelIxLj128ELj1EN10test_utils4lessELj10EEvPKT_PS2_T2_
	.globl	_Z16sort_keys_kernelIxLj128ELj1EN10test_utils4lessELj10EEvPKT_PS2_T2_
	.p2align	8
	.type	_Z16sort_keys_kernelIxLj128ELj1EN10test_utils4lessELj10EEvPKT_PS2_T2_,@function
_Z16sort_keys_kernelIxLj128ELj1EN10test_utils4lessELj10EEvPKT_PS2_T2_: ; @_Z16sort_keys_kernelIxLj128ELj1EN10test_utils4lessELj10EEvPKT_PS2_T2_
; %bb.0:
	s_load_b128 s[8:11], s[0:1], 0x0
	s_lshl_b32 s12, ttmp9, 7
	s_mov_b32 s13, 0
	v_lshlrev_b32_e32 v3, 3, v0
	s_lshl_b64 s[14:15], s[12:13], 3
	v_and_b32_e32 v15, 0x7c, v0
	v_and_b32_e32 v21, 0x78, v0
	;; [unrolled: 1-line block ×6, first 2 shown]
	v_or_b32_e32 v44, 2, v15
	v_add_nc_u32_e32 v6, 4, v15
	v_or_b32_e32 v46, 4, v21
	v_add_nc_u32_e32 v12, 8, v21
	;; [unrolled: 2-line block ×4, first 2 shown]
	v_or_b32_e32 v52, 32, v40
	s_wait_kmcnt 0x0
	s_add_nc_u64 s[0:1], s[8:9], s[14:15]
	v_add_nc_u32_e32 v28, 64, v40
	global_load_b64 v[1:2], v3, s[0:1]
	v_and_b32_e32 v41, 1, v0
	v_or_b32_e32 v4, 1, v9
	v_and_b32_e32 v45, 3, v0
	v_sub_nc_u32_e32 v13, v6, v44
	v_and_b32_e32 v47, 7, v0
	v_sub_nc_u32_e32 v19, v12, v46
	;; [unrolled: 2-line block ×5, first 2 shown]
	v_add_nc_u32_e32 v7, -1, v41
	v_sub_nc_u32_e32 v5, v4, v9
	v_cmp_lt_i32_e32 vcc_lo, 0, v41
	v_sub_nc_u32_e32 v14, v45, v13
	v_sub_nc_u32_e32 v11, v44, v15
	v_cmp_ge_i32_e64 s0, v45, v13
	v_sub_nc_u32_e32 v20, v47, v19
	v_sub_nc_u32_e32 v17, v46, v21
	v_cmp_ge_i32_e64 s1, v47, v19
	;; [unrolled: 3-line block ×5, first 2 shown]
	v_dual_cndmask_b32 v7, 0, v7 :: v_dual_add_nc_u32 v10, v4, v41
	v_min_i32_e32 v8, v41, v5
	v_cndmask_b32_e64 v13, 0, v14, s0
	v_min_i32_e32 v14, v45, v11
	v_add_nc_u32_e32 v16, v44, v45
	v_cndmask_b32_e64 v19, 0, v20, s1
	v_min_i32_e32 v20, v47, v17
	v_add_nc_u32_e32 v22, v46, v47
	v_cndmask_b32_e64 v25, 0, v26, s2
	v_min_i32_e32 v26, v49, v23
	v_cndmask_b32_e64 v30, 0, v31, s3
	v_min_i32_e32 v31, v51, v29
	v_add_nc_u32_e32 v32, v48, v49
	v_add_nc_u32_e32 v35, v50, v51
	v_cndmask_b32_e64 v36, 0, v37, s4
	v_min_i32_e32 v37, v53, v34
	v_sub_nc_u32_e64 v38, v0, 64 clamp
	v_min_i32_e32 v39, 64, v0
	v_lshlrev_b32_e32 v43, 3, v41
	v_add_nc_u32_e32 v41, v52, v53
	v_lshlrev_b32_e32 v45, 3, v45
	v_lshlrev_b32_e32 v47, 3, v47
	;; [unrolled: 1-line block ×7, first 2 shown]
	v_cmp_lt_i32_e64 s0, v13, v14
	v_lshlrev_b32_e32 v21, 3, v21
	v_cmp_lt_i32_e64 s1, v19, v20
	v_lshlrev_b32_e32 v27, 3, v27
	;; [unrolled: 2-line block ×4, first 2 shown]
	v_cmp_lt_i32_e64 s4, v36, v37
	v_cmp_lt_i32_e64 s5, v38, v39
	v_add_nc_u32_e32 v42, 64, v0
	v_lshl_add_u32 v43, v4, 3, v43
	v_lshl_add_u32 v44, v44, 3, v45
	;; [unrolled: 1-line block ×6, first 2 shown]
	v_add_nc_u32_e32 v49, 0x200, v3
	v_cmp_lt_i32_e32 vcc_lo, v7, v8
	s_branch .LBB130_2
.LBB130_1:                              ;   in Loop: Header=BB130_2 Depth=1
	s_wait_alu 0xfffe
	s_or_b32 exec_lo, exec_lo, s7
	v_sub_nc_u32_e32 v2, v42, v1
	v_lshlrev_b32_e32 v50, 3, v1
	v_cmp_le_i32_e64 s7, 64, v1
	s_add_co_i32 s13, s13, 1
	v_lshlrev_b32_e32 v52, 3, v2
	v_cmp_gt_i32_e64 s8, 0x80, v2
	ds_load_b64 v[50:51], v50
	ds_load_b64 v[52:53], v52
	s_wait_dscnt 0x0
	v_cmp_lt_i64_e64 s6, v[52:53], v[50:51]
	s_or_b32 s6, s7, s6
	s_wait_alu 0xfffe
	s_and_b32 s6, s8, s6
	s_cmp_eq_u32 s13, 10
	s_wait_alu 0xfffe
	v_cndmask_b32_e64 v2, v51, v53, s6
	v_cndmask_b32_e64 v1, v50, v52, s6
	s_cbranch_scc1 .LBB130_30
.LBB130_2:                              ; =>This Loop Header: Depth=1
                                        ;     Child Loop BB130_4 Depth 2
                                        ;     Child Loop BB130_8 Depth 2
	;; [unrolled: 1-line block ×7, first 2 shown]
	s_wait_loadcnt 0x0
	s_barrier_signal -1
	s_barrier_wait -1
	global_inv scope:SCOPE_SE
	ds_store_b64 v3, v[1:2]
	v_mov_b32_e32 v1, v7
	s_wait_loadcnt_dscnt 0x0
	s_barrier_signal -1
	s_barrier_wait -1
	global_inv scope:SCOPE_SE
	s_and_saveexec_b32 s7, vcc_lo
	s_cbranch_execz .LBB130_6
; %bb.3:                                ;   in Loop: Header=BB130_2 Depth=1
	v_dual_mov_b32 v1, v7 :: v_dual_mov_b32 v2, v8
	s_mov_b32 s8, 0
.LBB130_4:                              ;   Parent Loop BB130_2 Depth=1
                                        ; =>  This Inner Loop Header: Depth=2
	s_delay_alu instid0(VALU_DEP_1) | instskip(NEXT) | instid1(VALU_DEP_1)
	v_sub_nc_u32_e32 v50, v2, v1
	v_lshrrev_b32_e32 v50, 1, v50
	s_delay_alu instid0(VALU_DEP_1) | instskip(NEXT) | instid1(VALU_DEP_1)
	v_add_nc_u32_e32 v54, v50, v1
	v_not_b32_e32 v50, v54
	v_lshl_add_u32 v51, v54, 3, v9
	s_delay_alu instid0(VALU_DEP_2)
	v_lshl_add_u32 v52, v50, 3, v43
	ds_load_b64 v[50:51], v51
	ds_load_b64 v[52:53], v52
	s_wait_dscnt 0x0
	v_cmp_lt_i64_e64 s6, v[52:53], v[50:51]
	v_add_nc_u32_e32 v50, 1, v54
	s_wait_alu 0xf1ff
	s_delay_alu instid0(VALU_DEP_2) | instskip(NEXT) | instid1(VALU_DEP_2)
	v_cndmask_b32_e64 v2, v2, v54, s6
	v_cndmask_b32_e64 v1, v50, v1, s6
	s_delay_alu instid0(VALU_DEP_1) | instskip(SKIP_1) | instid1(SALU_CYCLE_1)
	v_cmp_ge_i32_e64 s6, v1, v2
	s_or_b32 s8, s6, s8
	s_and_not1_b32 exec_lo, exec_lo, s8
	s_cbranch_execnz .LBB130_4
; %bb.5:                                ;   in Loop: Header=BB130_2 Depth=1
	s_or_b32 exec_lo, exec_lo, s8
.LBB130_6:                              ;   in Loop: Header=BB130_2 Depth=1
	s_wait_alu 0xfffe
	s_or_b32 exec_lo, exec_lo, s7
	v_sub_nc_u32_e32 v2, v10, v1
	v_lshl_add_u32 v50, v1, 3, v9
	v_cmp_ge_i32_e64 s7, v1, v5
	s_delay_alu instid0(VALU_DEP_3)
	v_dual_mov_b32 v1, v13 :: v_dual_lshlrev_b32 v52, 3, v2
	v_cmp_ge_i32_e64 s8, v4, v2
	ds_load_b64 v[50:51], v50
	ds_load_b64 v[52:53], v52
	s_wait_loadcnt_dscnt 0x0
	s_barrier_signal -1
	s_barrier_wait -1
	global_inv scope:SCOPE_SE
	v_cmp_lt_i64_e64 s6, v[52:53], v[50:51]
	s_or_b32 s6, s7, s6
	s_wait_alu 0xfffe
	s_and_b32 s6, s8, s6
	s_wait_alu 0xfffe
	v_cndmask_b32_e64 v51, v51, v53, s6
	v_cndmask_b32_e64 v50, v50, v52, s6
	ds_store_b64 v3, v[50:51]
	s_wait_loadcnt_dscnt 0x0
	s_barrier_signal -1
	s_barrier_wait -1
	global_inv scope:SCOPE_SE
	s_and_saveexec_b32 s7, s0
	s_cbranch_execz .LBB130_10
; %bb.7:                                ;   in Loop: Header=BB130_2 Depth=1
	v_dual_mov_b32 v1, v13 :: v_dual_mov_b32 v2, v14
	s_mov_b32 s8, 0
.LBB130_8:                              ;   Parent Loop BB130_2 Depth=1
                                        ; =>  This Inner Loop Header: Depth=2
	s_delay_alu instid0(VALU_DEP_1) | instskip(NEXT) | instid1(VALU_DEP_1)
	v_sub_nc_u32_e32 v50, v2, v1
	v_lshrrev_b32_e32 v50, 1, v50
	s_delay_alu instid0(VALU_DEP_1) | instskip(NEXT) | instid1(VALU_DEP_1)
	v_add_nc_u32_e32 v54, v50, v1
	v_not_b32_e32 v50, v54
	v_lshl_add_u32 v51, v54, 3, v15
	s_delay_alu instid0(VALU_DEP_2)
	v_lshl_add_u32 v52, v50, 3, v44
	ds_load_b64 v[50:51], v51
	ds_load_b64 v[52:53], v52
	s_wait_dscnt 0x0
	v_cmp_lt_i64_e64 s6, v[52:53], v[50:51]
	v_add_nc_u32_e32 v50, 1, v54
	s_wait_alu 0xf1ff
	s_delay_alu instid0(VALU_DEP_2) | instskip(NEXT) | instid1(VALU_DEP_2)
	v_cndmask_b32_e64 v2, v2, v54, s6
	v_cndmask_b32_e64 v1, v50, v1, s6
	s_delay_alu instid0(VALU_DEP_1) | instskip(SKIP_1) | instid1(SALU_CYCLE_1)
	v_cmp_ge_i32_e64 s6, v1, v2
	s_or_b32 s8, s6, s8
	s_and_not1_b32 exec_lo, exec_lo, s8
	s_cbranch_execnz .LBB130_8
; %bb.9:                                ;   in Loop: Header=BB130_2 Depth=1
	s_or_b32 exec_lo, exec_lo, s8
.LBB130_10:                             ;   in Loop: Header=BB130_2 Depth=1
	s_wait_alu 0xfffe
	s_or_b32 exec_lo, exec_lo, s7
	v_sub_nc_u32_e32 v2, v16, v1
	v_lshl_add_u32 v50, v1, 3, v15
	v_cmp_ge_i32_e64 s7, v1, v11
	s_delay_alu instid0(VALU_DEP_3)
	v_dual_mov_b32 v1, v19 :: v_dual_lshlrev_b32 v52, 3, v2
	v_cmp_gt_i32_e64 s8, v6, v2
	ds_load_b64 v[50:51], v50
	ds_load_b64 v[52:53], v52
	s_wait_loadcnt_dscnt 0x0
	s_barrier_signal -1
	s_barrier_wait -1
	global_inv scope:SCOPE_SE
	v_cmp_lt_i64_e64 s6, v[52:53], v[50:51]
	s_or_b32 s6, s7, s6
	s_wait_alu 0xfffe
	s_and_b32 s6, s8, s6
	s_wait_alu 0xfffe
	v_cndmask_b32_e64 v51, v51, v53, s6
	v_cndmask_b32_e64 v50, v50, v52, s6
	ds_store_b64 v3, v[50:51]
	s_wait_loadcnt_dscnt 0x0
	s_barrier_signal -1
	s_barrier_wait -1
	global_inv scope:SCOPE_SE
	s_and_saveexec_b32 s7, s1
	s_cbranch_execz .LBB130_14
; %bb.11:                               ;   in Loop: Header=BB130_2 Depth=1
	v_dual_mov_b32 v1, v19 :: v_dual_mov_b32 v2, v20
	s_mov_b32 s8, 0
.LBB130_12:                             ;   Parent Loop BB130_2 Depth=1
                                        ; =>  This Inner Loop Header: Depth=2
	s_delay_alu instid0(VALU_DEP_1) | instskip(NEXT) | instid1(VALU_DEP_1)
	v_sub_nc_u32_e32 v50, v2, v1
	v_lshrrev_b32_e32 v50, 1, v50
	s_delay_alu instid0(VALU_DEP_1) | instskip(NEXT) | instid1(VALU_DEP_1)
	v_add_nc_u32_e32 v54, v50, v1
	v_not_b32_e32 v50, v54
	v_lshl_add_u32 v51, v54, 3, v21
	s_delay_alu instid0(VALU_DEP_2)
	v_lshl_add_u32 v52, v50, 3, v45
	ds_load_b64 v[50:51], v51
	ds_load_b64 v[52:53], v52
	s_wait_dscnt 0x0
	v_cmp_lt_i64_e64 s6, v[52:53], v[50:51]
	v_add_nc_u32_e32 v50, 1, v54
	s_wait_alu 0xf1ff
	s_delay_alu instid0(VALU_DEP_2) | instskip(NEXT) | instid1(VALU_DEP_2)
	v_cndmask_b32_e64 v2, v2, v54, s6
	v_cndmask_b32_e64 v1, v50, v1, s6
	s_delay_alu instid0(VALU_DEP_1) | instskip(SKIP_1) | instid1(SALU_CYCLE_1)
	v_cmp_ge_i32_e64 s6, v1, v2
	s_or_b32 s8, s6, s8
	s_and_not1_b32 exec_lo, exec_lo, s8
	s_cbranch_execnz .LBB130_12
; %bb.13:                               ;   in Loop: Header=BB130_2 Depth=1
	s_or_b32 exec_lo, exec_lo, s8
.LBB130_14:                             ;   in Loop: Header=BB130_2 Depth=1
	s_wait_alu 0xfffe
	s_or_b32 exec_lo, exec_lo, s7
	v_sub_nc_u32_e32 v2, v22, v1
	v_lshl_add_u32 v50, v1, 3, v21
	v_cmp_ge_i32_e64 s7, v1, v17
	s_delay_alu instid0(VALU_DEP_3)
	v_dual_mov_b32 v1, v25 :: v_dual_lshlrev_b32 v52, 3, v2
	v_cmp_gt_i32_e64 s8, v12, v2
	ds_load_b64 v[50:51], v50
	ds_load_b64 v[52:53], v52
	s_wait_loadcnt_dscnt 0x0
	s_barrier_signal -1
	s_barrier_wait -1
	global_inv scope:SCOPE_SE
	v_cmp_lt_i64_e64 s6, v[52:53], v[50:51]
	s_or_b32 s6, s7, s6
	s_wait_alu 0xfffe
	s_and_b32 s6, s8, s6
	s_wait_alu 0xfffe
	v_cndmask_b32_e64 v51, v51, v53, s6
	v_cndmask_b32_e64 v50, v50, v52, s6
	ds_store_b64 v3, v[50:51]
	s_wait_loadcnt_dscnt 0x0
	s_barrier_signal -1
	s_barrier_wait -1
	global_inv scope:SCOPE_SE
	s_and_saveexec_b32 s7, s2
	s_cbranch_execz .LBB130_18
; %bb.15:                               ;   in Loop: Header=BB130_2 Depth=1
	v_dual_mov_b32 v1, v25 :: v_dual_mov_b32 v2, v26
	s_mov_b32 s8, 0
.LBB130_16:                             ;   Parent Loop BB130_2 Depth=1
                                        ; =>  This Inner Loop Header: Depth=2
	s_delay_alu instid0(VALU_DEP_1) | instskip(NEXT) | instid1(VALU_DEP_1)
	v_sub_nc_u32_e32 v50, v2, v1
	v_lshrrev_b32_e32 v50, 1, v50
	s_delay_alu instid0(VALU_DEP_1) | instskip(NEXT) | instid1(VALU_DEP_1)
	v_add_nc_u32_e32 v54, v50, v1
	v_not_b32_e32 v50, v54
	v_lshl_add_u32 v51, v54, 3, v27
	s_delay_alu instid0(VALU_DEP_2)
	v_lshl_add_u32 v52, v50, 3, v46
	ds_load_b64 v[50:51], v51
	ds_load_b64 v[52:53], v52
	s_wait_dscnt 0x0
	v_cmp_lt_i64_e64 s6, v[52:53], v[50:51]
	v_add_nc_u32_e32 v50, 1, v54
	s_wait_alu 0xf1ff
	s_delay_alu instid0(VALU_DEP_2) | instskip(NEXT) | instid1(VALU_DEP_2)
	v_cndmask_b32_e64 v2, v2, v54, s6
	v_cndmask_b32_e64 v1, v50, v1, s6
	s_delay_alu instid0(VALU_DEP_1) | instskip(SKIP_1) | instid1(SALU_CYCLE_1)
	v_cmp_ge_i32_e64 s6, v1, v2
	s_or_b32 s8, s6, s8
	s_and_not1_b32 exec_lo, exec_lo, s8
	s_cbranch_execnz .LBB130_16
; %bb.17:                               ;   in Loop: Header=BB130_2 Depth=1
	s_or_b32 exec_lo, exec_lo, s8
.LBB130_18:                             ;   in Loop: Header=BB130_2 Depth=1
	;; [unrolled: 59-line block ×4, first 2 shown]
	s_wait_alu 0xfffe
	s_or_b32 exec_lo, exec_lo, s7
	v_sub_nc_u32_e32 v2, v41, v1
	v_lshl_add_u32 v50, v1, 3, v40
	v_cmp_ge_i32_e64 s7, v1, v34
	s_delay_alu instid0(VALU_DEP_3)
	v_dual_mov_b32 v1, v38 :: v_dual_lshlrev_b32 v52, 3, v2
	v_cmp_gt_i32_e64 s8, v28, v2
	ds_load_b64 v[50:51], v50
	ds_load_b64 v[52:53], v52
	s_wait_loadcnt_dscnt 0x0
	s_barrier_signal -1
	s_barrier_wait -1
	global_inv scope:SCOPE_SE
	v_cmp_lt_i64_e64 s6, v[52:53], v[50:51]
	s_or_b32 s6, s7, s6
	s_wait_alu 0xfffe
	s_and_b32 s6, s8, s6
	s_wait_alu 0xfffe
	v_cndmask_b32_e64 v51, v51, v53, s6
	v_cndmask_b32_e64 v50, v50, v52, s6
	ds_store_b64 v3, v[50:51]
	s_wait_loadcnt_dscnt 0x0
	s_barrier_signal -1
	s_barrier_wait -1
	global_inv scope:SCOPE_SE
	s_and_saveexec_b32 s7, s5
	s_cbranch_execz .LBB130_1
; %bb.27:                               ;   in Loop: Header=BB130_2 Depth=1
	v_dual_mov_b32 v1, v38 :: v_dual_mov_b32 v2, v39
	s_mov_b32 s8, 0
.LBB130_28:                             ;   Parent Loop BB130_2 Depth=1
                                        ; =>  This Inner Loop Header: Depth=2
	s_delay_alu instid0(VALU_DEP_1) | instskip(NEXT) | instid1(VALU_DEP_1)
	v_sub_nc_u32_e32 v50, v2, v1
	v_lshrrev_b32_e32 v50, 1, v50
	s_delay_alu instid0(VALU_DEP_1) | instskip(NEXT) | instid1(VALU_DEP_1)
	v_add_nc_u32_e32 v54, v50, v1
	v_not_b32_e32 v50, v54
	v_lshlrev_b32_e32 v51, 3, v54
	s_delay_alu instid0(VALU_DEP_2)
	v_lshl_add_u32 v52, v50, 3, v49
	ds_load_b64 v[50:51], v51
	ds_load_b64 v[52:53], v52
	s_wait_dscnt 0x0
	v_cmp_lt_i64_e64 s6, v[52:53], v[50:51]
	v_add_nc_u32_e32 v50, 1, v54
	s_wait_alu 0xf1ff
	s_delay_alu instid0(VALU_DEP_2) | instskip(NEXT) | instid1(VALU_DEP_2)
	v_cndmask_b32_e64 v2, v2, v54, s6
	v_cndmask_b32_e64 v1, v50, v1, s6
	s_delay_alu instid0(VALU_DEP_1) | instskip(SKIP_1) | instid1(SALU_CYCLE_1)
	v_cmp_ge_i32_e64 s6, v1, v2
	s_or_b32 s8, s6, s8
	s_and_not1_b32 exec_lo, exec_lo, s8
	s_cbranch_execnz .LBB130_28
; %bb.29:                               ;   in Loop: Header=BB130_2 Depth=1
	s_or_b32 exec_lo, exec_lo, s8
	s_branch .LBB130_1
.LBB130_30:
	v_lshlrev_b32_e32 v0, 3, v0
	s_add_nc_u64 s[0:1], s[10:11], s[14:15]
	global_store_b64 v0, v[1:2], s[0:1]
	s_endpgm
	.section	.rodata,"a",@progbits
	.p2align	6, 0x0
	.amdhsa_kernel _Z16sort_keys_kernelIxLj128ELj1EN10test_utils4lessELj10EEvPKT_PS2_T2_
		.amdhsa_group_segment_fixed_size 1032
		.amdhsa_private_segment_fixed_size 0
		.amdhsa_kernarg_size 20
		.amdhsa_user_sgpr_count 2
		.amdhsa_user_sgpr_dispatch_ptr 0
		.amdhsa_user_sgpr_queue_ptr 0
		.amdhsa_user_sgpr_kernarg_segment_ptr 1
		.amdhsa_user_sgpr_dispatch_id 0
		.amdhsa_user_sgpr_private_segment_size 0
		.amdhsa_wavefront_size32 1
		.amdhsa_uses_dynamic_stack 0
		.amdhsa_enable_private_segment 0
		.amdhsa_system_sgpr_workgroup_id_x 1
		.amdhsa_system_sgpr_workgroup_id_y 0
		.amdhsa_system_sgpr_workgroup_id_z 0
		.amdhsa_system_sgpr_workgroup_info 0
		.amdhsa_system_vgpr_workitem_id 0
		.amdhsa_next_free_vgpr 55
		.amdhsa_next_free_sgpr 16
		.amdhsa_reserve_vcc 1
		.amdhsa_float_round_mode_32 0
		.amdhsa_float_round_mode_16_64 0
		.amdhsa_float_denorm_mode_32 3
		.amdhsa_float_denorm_mode_16_64 3
		.amdhsa_fp16_overflow 0
		.amdhsa_workgroup_processor_mode 1
		.amdhsa_memory_ordered 1
		.amdhsa_forward_progress 1
		.amdhsa_inst_pref_size 22
		.amdhsa_round_robin_scheduling 0
		.amdhsa_exception_fp_ieee_invalid_op 0
		.amdhsa_exception_fp_denorm_src 0
		.amdhsa_exception_fp_ieee_div_zero 0
		.amdhsa_exception_fp_ieee_overflow 0
		.amdhsa_exception_fp_ieee_underflow 0
		.amdhsa_exception_fp_ieee_inexact 0
		.amdhsa_exception_int_div_zero 0
	.end_amdhsa_kernel
	.section	.text._Z16sort_keys_kernelIxLj128ELj1EN10test_utils4lessELj10EEvPKT_PS2_T2_,"axG",@progbits,_Z16sort_keys_kernelIxLj128ELj1EN10test_utils4lessELj10EEvPKT_PS2_T2_,comdat
.Lfunc_end130:
	.size	_Z16sort_keys_kernelIxLj128ELj1EN10test_utils4lessELj10EEvPKT_PS2_T2_, .Lfunc_end130-_Z16sort_keys_kernelIxLj128ELj1EN10test_utils4lessELj10EEvPKT_PS2_T2_
                                        ; -- End function
	.set _Z16sort_keys_kernelIxLj128ELj1EN10test_utils4lessELj10EEvPKT_PS2_T2_.num_vgpr, 55
	.set _Z16sort_keys_kernelIxLj128ELj1EN10test_utils4lessELj10EEvPKT_PS2_T2_.num_agpr, 0
	.set _Z16sort_keys_kernelIxLj128ELj1EN10test_utils4lessELj10EEvPKT_PS2_T2_.numbered_sgpr, 16
	.set _Z16sort_keys_kernelIxLj128ELj1EN10test_utils4lessELj10EEvPKT_PS2_T2_.num_named_barrier, 0
	.set _Z16sort_keys_kernelIxLj128ELj1EN10test_utils4lessELj10EEvPKT_PS2_T2_.private_seg_size, 0
	.set _Z16sort_keys_kernelIxLj128ELj1EN10test_utils4lessELj10EEvPKT_PS2_T2_.uses_vcc, 1
	.set _Z16sort_keys_kernelIxLj128ELj1EN10test_utils4lessELj10EEvPKT_PS2_T2_.uses_flat_scratch, 0
	.set _Z16sort_keys_kernelIxLj128ELj1EN10test_utils4lessELj10EEvPKT_PS2_T2_.has_dyn_sized_stack, 0
	.set _Z16sort_keys_kernelIxLj128ELj1EN10test_utils4lessELj10EEvPKT_PS2_T2_.has_recursion, 0
	.set _Z16sort_keys_kernelIxLj128ELj1EN10test_utils4lessELj10EEvPKT_PS2_T2_.has_indirect_call, 0
	.section	.AMDGPU.csdata,"",@progbits
; Kernel info:
; codeLenInByte = 2728
; TotalNumSgprs: 18
; NumVgprs: 55
; ScratchSize: 0
; MemoryBound: 0
; FloatMode: 240
; IeeeMode: 1
; LDSByteSize: 1032 bytes/workgroup (compile time only)
; SGPRBlocks: 0
; VGPRBlocks: 6
; NumSGPRsForWavesPerEU: 18
; NumVGPRsForWavesPerEU: 55
; Occupancy: 16
; WaveLimiterHint : 0
; COMPUTE_PGM_RSRC2:SCRATCH_EN: 0
; COMPUTE_PGM_RSRC2:USER_SGPR: 2
; COMPUTE_PGM_RSRC2:TRAP_HANDLER: 0
; COMPUTE_PGM_RSRC2:TGID_X_EN: 1
; COMPUTE_PGM_RSRC2:TGID_Y_EN: 0
; COMPUTE_PGM_RSRC2:TGID_Z_EN: 0
; COMPUTE_PGM_RSRC2:TIDIG_COMP_CNT: 0
	.section	.text._Z17sort_pairs_kernelIxLj128ELj1EN10test_utils4lessELj10EEvPKT_PS2_T2_,"axG",@progbits,_Z17sort_pairs_kernelIxLj128ELj1EN10test_utils4lessELj10EEvPKT_PS2_T2_,comdat
	.protected	_Z17sort_pairs_kernelIxLj128ELj1EN10test_utils4lessELj10EEvPKT_PS2_T2_ ; -- Begin function _Z17sort_pairs_kernelIxLj128ELj1EN10test_utils4lessELj10EEvPKT_PS2_T2_
	.globl	_Z17sort_pairs_kernelIxLj128ELj1EN10test_utils4lessELj10EEvPKT_PS2_T2_
	.p2align	8
	.type	_Z17sort_pairs_kernelIxLj128ELj1EN10test_utils4lessELj10EEvPKT_PS2_T2_,@function
_Z17sort_pairs_kernelIxLj128ELj1EN10test_utils4lessELj10EEvPKT_PS2_T2_: ; @_Z17sort_pairs_kernelIxLj128ELj1EN10test_utils4lessELj10EEvPKT_PS2_T2_
; %bb.0:
	s_load_b128 s[8:11], s[0:1], 0x0
	s_lshl_b32 s14, ttmp9, 7
	s_mov_b32 s15, 0
	v_lshlrev_b32_e32 v5, 3, v0
	s_lshl_b64 s[12:13], s[14:15], 3
	v_and_b32_e32 v6, 0x7e, v0
	v_and_b32_e32 v7, 0x7c, v0
	;; [unrolled: 1-line block ×5, first 2 shown]
	v_or_b32_e32 v15, 1, v6
	v_or_b32_e32 v17, 2, v7
	v_add_nc_u32_e32 v18, 4, v7
	v_and_b32_e32 v9, 0x70, v0
	v_or_b32_e32 v20, 4, v8
	v_add_nc_u32_e32 v21, 8, v8
	v_sub_nc_u32_e32 v45, v15, v6
	v_sub_nc_u32_e32 v51, v18, v17
	v_and_b32_e32 v52, 7, v0
	v_and_b32_e32 v10, 0x60, v0
	s_wait_kmcnt 0x0
	s_add_nc_u64 s[0:1], s[8:9], s[12:13]
	v_add_nc_u32_e32 v32, -1, v3
	global_load_b64 v[1:2], v5, s[0:1]
	v_or_b32_e32 v23, 8, v9
	v_add_nc_u32_e32 v24, 16, v9
	v_lshlrev_b32_e32 v39, 3, v3
	v_cmp_lt_i32_e64 s0, 0, v3
	v_add_nc_u32_e32 v33, v15, v3
	v_sub_nc_u32_e32 v56, v21, v20
	v_min_i32_e32 v45, v3, v45
	v_sub_nc_u32_e32 v3, v4, v51
	v_cmp_ge_i32_e64 s1, v4, v51
	v_and_b32_e32 v53, 15, v0
	v_and_b32_e32 v11, 64, v0
	v_or_b32_e32 v26, 16, v10
	v_add_nc_u32_e32 v27, 32, v10
	v_sub_nc_u32_e32 v47, v20, v8
	v_sub_nc_u32_e32 v57, v24, v23
	;; [unrolled: 1-line block ×3, first 2 shown]
	v_cndmask_b32_e64 v51, 0, v3, s1
	v_cmp_ge_i32_e64 s1, v52, v56
	v_and_b32_e32 v54, 31, v0
	v_or_b32_e32 v29, 32, v11
	v_add_nc_u32_e32 v30, 64, v11
	v_lshlrev_b32_e32 v41, 3, v52
	v_add_nc_u32_e32 v35, v20, v52
	v_sub_nc_u32_e32 v48, v23, v9
	v_sub_nc_u32_e32 v58, v27, v26
	v_min_i32_e32 v47, v52, v47
	v_sub_nc_u32_e32 v61, v53, v57
	s_wait_alu 0xf1ff
	v_cndmask_b32_e64 v52, 0, v60, s1
	v_cmp_ge_i32_e64 s1, v53, v57
	v_and_b32_e32 v55, 63, v0
	v_lshlrev_b32_e32 v42, 3, v53
	v_add_nc_u32_e32 v36, v23, v53
	v_sub_nc_u32_e32 v49, v26, v10
	v_sub_nc_u32_e32 v59, v30, v29
	v_min_i32_e32 v48, v53, v48
	v_sub_nc_u32_e32 v62, v54, v58
	s_wait_alu 0xf1ff
	v_cndmask_b32_e64 v53, 0, v61, s1
	v_cmp_ge_i32_e64 s1, v54, v58
	v_lshlrev_b32_e32 v43, 3, v54
	v_sub_nc_u32_e32 v46, v17, v7
	v_add_nc_u32_e32 v37, v26, v54
	v_sub_nc_u32_e32 v50, v29, v11
	v_min_i32_e32 v49, v54, v49
	v_sub_nc_u32_e32 v63, v55, v59
	s_wait_alu 0xf1ff
	v_cndmask_b32_e64 v54, 0, v62, s1
	v_cmp_ge_i32_e64 s1, v55, v59
	v_lshlrev_b32_e32 v40, 3, v4
	v_lshlrev_b32_e32 v44, 3, v55
	v_cndmask_b32_e64 v32, 0, v32, s0
	v_add_nc_u32_e32 v38, v29, v55
	v_min_i32_e32 v46, v4, v46
	v_min_i32_e32 v50, v55, v50
	s_wait_alu 0xf1ff
	v_cndmask_b32_e64 v55, 0, v63, s1
	v_sub_nc_u32_e64 v12, v0, 64 clamp
	v_min_i32_e32 v13, 64, v0
	v_add_nc_u32_e32 v14, 64, v0
	v_lshlrev_b32_e32 v16, 3, v6
	v_lshlrev_b32_e32 v19, 3, v7
	;; [unrolled: 1-line block ×6, first 2 shown]
	v_add_nc_u32_e32 v34, v17, v4
	v_lshl_add_u32 v39, v15, 3, v39
	v_lshl_add_u32 v40, v17, 3, v40
	;; [unrolled: 1-line block ×6, first 2 shown]
	v_cmp_lt_i32_e64 s0, v32, v45
	v_cmp_lt_i32_e64 s1, v51, v46
	;; [unrolled: 1-line block ×6, first 2 shown]
	v_add_nc_u32_e32 v56, 0x200, v5
	v_cmp_lt_i32_e32 vcc_lo, v12, v13
	s_wait_loadcnt 0x0
	v_add_co_u32 v3, s6, v1, 1
	s_delay_alu instid0(VALU_DEP_1)
	v_add_co_ci_u32_e64 v4, null, 0, v2, s6
	s_branch .LBB131_2
.LBB131_1:                              ;   in Loop: Header=BB131_2 Depth=1
	s_wait_alu 0xfffe
	s_or_b32 exec_lo, exec_lo, s7
	v_sub_nc_u32_e32 v61, v14, v1
	v_lshlrev_b32_e32 v2, 3, v1
	v_cmp_le_i32_e64 s7, 64, v1
	s_add_co_i32 s15, s15, 1
	v_lshlrev_b32_e32 v59, 3, v61
	v_cmp_gt_i32_e64 s8, 0x80, v61
	ds_load_b64 v[57:58], v2
	ds_load_b64 v[59:60], v59
	s_wait_loadcnt_dscnt 0x0
	s_barrier_signal -1
	s_barrier_wait -1
	global_inv scope:SCOPE_SE
	ds_store_b64 v5, v[3:4]
	s_wait_loadcnt_dscnt 0x0
	s_barrier_signal -1
	s_barrier_wait -1
	global_inv scope:SCOPE_SE
	v_cmp_lt_i64_e64 s6, v[59:60], v[57:58]
	s_or_b32 s6, s7, s6
	s_wait_alu 0xfffe
	s_and_b32 s6, s8, s6
	s_cmp_eq_u32 s15, 10
	s_wait_alu 0xfffe
	v_cndmask_b32_e64 v1, v1, v61, s6
	v_cndmask_b32_e64 v2, v58, v60, s6
	s_delay_alu instid0(VALU_DEP_2)
	v_lshlrev_b32_e32 v1, 3, v1
	ds_load_b64 v[3:4], v1
	v_cndmask_b32_e64 v1, v57, v59, s6
	s_cbranch_scc1 .LBB131_30
.LBB131_2:                              ; =>This Loop Header: Depth=1
                                        ;     Child Loop BB131_4 Depth 2
                                        ;     Child Loop BB131_8 Depth 2
                                        ;     Child Loop BB131_12 Depth 2
                                        ;     Child Loop BB131_16 Depth 2
                                        ;     Child Loop BB131_20 Depth 2
                                        ;     Child Loop BB131_24 Depth 2
                                        ;     Child Loop BB131_28 Depth 2
	s_barrier_signal -1
	s_barrier_wait -1
	global_inv scope:SCOPE_SE
	ds_store_b64 v5, v[1:2]
	v_mov_b32_e32 v1, v32
	s_wait_loadcnt_dscnt 0x0
	s_barrier_signal -1
	s_barrier_wait -1
	global_inv scope:SCOPE_SE
	s_and_saveexec_b32 s7, s0
	s_cbranch_execz .LBB131_6
; %bb.3:                                ;   in Loop: Header=BB131_2 Depth=1
	v_dual_mov_b32 v1, v32 :: v_dual_mov_b32 v2, v45
	s_mov_b32 s8, 0
.LBB131_4:                              ;   Parent Loop BB131_2 Depth=1
                                        ; =>  This Inner Loop Header: Depth=2
	s_delay_alu instid0(VALU_DEP_1) | instskip(NEXT) | instid1(VALU_DEP_1)
	v_sub_nc_u32_e32 v57, v2, v1
	v_lshrrev_b32_e32 v57, 1, v57
	s_delay_alu instid0(VALU_DEP_1) | instskip(NEXT) | instid1(VALU_DEP_1)
	v_add_nc_u32_e32 v61, v57, v1
	v_not_b32_e32 v57, v61
	v_lshl_add_u32 v58, v61, 3, v16
	s_delay_alu instid0(VALU_DEP_2)
	v_lshl_add_u32 v59, v57, 3, v39
	ds_load_b64 v[57:58], v58
	ds_load_b64 v[59:60], v59
	s_wait_dscnt 0x0
	v_cmp_lt_i64_e64 s6, v[59:60], v[57:58]
	v_add_nc_u32_e32 v57, 1, v61
	s_wait_alu 0xf1ff
	s_delay_alu instid0(VALU_DEP_2) | instskip(NEXT) | instid1(VALU_DEP_2)
	v_cndmask_b32_e64 v2, v2, v61, s6
	v_cndmask_b32_e64 v1, v57, v1, s6
	s_delay_alu instid0(VALU_DEP_1) | instskip(SKIP_1) | instid1(SALU_CYCLE_1)
	v_cmp_ge_i32_e64 s6, v1, v2
	s_or_b32 s8, s6, s8
	s_and_not1_b32 exec_lo, exec_lo, s8
	s_cbranch_execnz .LBB131_4
; %bb.5:                                ;   in Loop: Header=BB131_2 Depth=1
	s_or_b32 exec_lo, exec_lo, s8
.LBB131_6:                              ;   in Loop: Header=BB131_2 Depth=1
	s_wait_alu 0xfffe
	s_or_b32 exec_lo, exec_lo, s7
	v_sub_nc_u32_e32 v2, v33, v1
	v_lshl_add_u32 v57, v1, 3, v16
	v_add_nc_u32_e32 v1, v1, v6
	s_delay_alu instid0(VALU_DEP_3) | instskip(SKIP_1) | instid1(VALU_DEP_3)
	v_lshlrev_b32_e32 v59, 3, v2
	v_cmp_ge_i32_e64 s8, v15, v2
	v_cmp_le_i32_e64 s7, v15, v1
	ds_load_b64 v[57:58], v57
	ds_load_b64 v[59:60], v59
	s_wait_loadcnt_dscnt 0x0
	s_barrier_signal -1
	s_barrier_wait -1
	global_inv scope:SCOPE_SE
	ds_store_b64 v5, v[3:4]
	s_wait_loadcnt_dscnt 0x0
	s_barrier_signal -1
	s_barrier_wait -1
	global_inv scope:SCOPE_SE
	v_mov_b32_e32 v3, v51
	v_cmp_lt_i64_e64 s6, v[59:60], v[57:58]
	s_or_b32 s6, s7, s6
	s_wait_alu 0xfffe
	s_and_b32 s6, s8, s6
	s_wait_alu 0xfffe
	v_cndmask_b32_e64 v1, v1, v2, s6
	v_cndmask_b32_e64 v58, v58, v60, s6
	;; [unrolled: 1-line block ×3, first 2 shown]
	s_delay_alu instid0(VALU_DEP_3)
	v_lshlrev_b32_e32 v1, 3, v1
	ds_load_b64 v[1:2], v1
	s_wait_loadcnt_dscnt 0x0
	s_barrier_signal -1
	s_barrier_wait -1
	global_inv scope:SCOPE_SE
	ds_store_b64 v5, v[57:58]
	s_wait_loadcnt_dscnt 0x0
	s_barrier_signal -1
	s_barrier_wait -1
	global_inv scope:SCOPE_SE
	s_and_saveexec_b32 s7, s1
	s_cbranch_execz .LBB131_10
; %bb.7:                                ;   in Loop: Header=BB131_2 Depth=1
	v_dual_mov_b32 v3, v51 :: v_dual_mov_b32 v4, v46
	s_mov_b32 s8, 0
.LBB131_8:                              ;   Parent Loop BB131_2 Depth=1
                                        ; =>  This Inner Loop Header: Depth=2
	s_delay_alu instid0(VALU_DEP_1) | instskip(NEXT) | instid1(VALU_DEP_1)
	v_sub_nc_u32_e32 v57, v4, v3
	v_lshrrev_b32_e32 v57, 1, v57
	s_delay_alu instid0(VALU_DEP_1) | instskip(NEXT) | instid1(VALU_DEP_1)
	v_add_nc_u32_e32 v61, v57, v3
	v_not_b32_e32 v57, v61
	v_lshl_add_u32 v58, v61, 3, v19
	s_delay_alu instid0(VALU_DEP_2)
	v_lshl_add_u32 v59, v57, 3, v40
	ds_load_b64 v[57:58], v58
	ds_load_b64 v[59:60], v59
	s_wait_dscnt 0x0
	v_cmp_lt_i64_e64 s6, v[59:60], v[57:58]
	v_add_nc_u32_e32 v57, 1, v61
	s_wait_alu 0xf1ff
	s_delay_alu instid0(VALU_DEP_2) | instskip(NEXT) | instid1(VALU_DEP_2)
	v_cndmask_b32_e64 v4, v4, v61, s6
	v_cndmask_b32_e64 v3, v57, v3, s6
	s_delay_alu instid0(VALU_DEP_1) | instskip(SKIP_1) | instid1(SALU_CYCLE_1)
	v_cmp_ge_i32_e64 s6, v3, v4
	s_or_b32 s8, s6, s8
	s_and_not1_b32 exec_lo, exec_lo, s8
	s_cbranch_execnz .LBB131_8
; %bb.9:                                ;   in Loop: Header=BB131_2 Depth=1
	s_or_b32 exec_lo, exec_lo, s8
.LBB131_10:                             ;   in Loop: Header=BB131_2 Depth=1
	s_wait_alu 0xfffe
	s_or_b32 exec_lo, exec_lo, s7
	v_sub_nc_u32_e32 v61, v34, v3
	v_lshl_add_u32 v4, v3, 3, v19
	v_add_nc_u32_e32 v3, v3, v7
	s_delay_alu instid0(VALU_DEP_3) | instskip(SKIP_1) | instid1(VALU_DEP_3)
	v_lshlrev_b32_e32 v59, 3, v61
	v_cmp_gt_i32_e64 s8, v18, v61
	v_cmp_le_i32_e64 s7, v17, v3
	ds_load_b64 v[57:58], v4
	ds_load_b64 v[59:60], v59
	s_wait_loadcnt_dscnt 0x0
	s_barrier_signal -1
	s_barrier_wait -1
	global_inv scope:SCOPE_SE
	ds_store_b64 v5, v[1:2]
	s_wait_loadcnt_dscnt 0x0
	s_barrier_signal -1
	s_barrier_wait -1
	global_inv scope:SCOPE_SE
	v_cmp_lt_i64_e64 s6, v[59:60], v[57:58]
	s_or_b32 s6, s7, s6
	s_wait_alu 0xfffe
	s_and_b32 s6, s8, s6
	s_wait_alu 0xfffe
	v_cndmask_b32_e64 v3, v3, v61, s6
	v_cndmask_b32_e64 v4, v58, v60, s6
	s_delay_alu instid0(VALU_DEP_2)
	v_lshlrev_b32_e32 v1, 3, v3
	v_cndmask_b32_e64 v3, v57, v59, s6
	ds_load_b64 v[1:2], v1
	s_wait_loadcnt_dscnt 0x0
	s_barrier_signal -1
	s_barrier_wait -1
	global_inv scope:SCOPE_SE
	ds_store_b64 v5, v[3:4]
	v_mov_b32_e32 v3, v52
	s_wait_loadcnt_dscnt 0x0
	s_barrier_signal -1
	s_barrier_wait -1
	global_inv scope:SCOPE_SE
	s_and_saveexec_b32 s7, s2
	s_cbranch_execz .LBB131_14
; %bb.11:                               ;   in Loop: Header=BB131_2 Depth=1
	v_dual_mov_b32 v3, v52 :: v_dual_mov_b32 v4, v47
	s_mov_b32 s8, 0
.LBB131_12:                             ;   Parent Loop BB131_2 Depth=1
                                        ; =>  This Inner Loop Header: Depth=2
	s_delay_alu instid0(VALU_DEP_1) | instskip(NEXT) | instid1(VALU_DEP_1)
	v_sub_nc_u32_e32 v57, v4, v3
	v_lshrrev_b32_e32 v57, 1, v57
	s_delay_alu instid0(VALU_DEP_1) | instskip(NEXT) | instid1(VALU_DEP_1)
	v_add_nc_u32_e32 v61, v57, v3
	v_not_b32_e32 v57, v61
	v_lshl_add_u32 v58, v61, 3, v22
	s_delay_alu instid0(VALU_DEP_2)
	v_lshl_add_u32 v59, v57, 3, v41
	ds_load_b64 v[57:58], v58
	ds_load_b64 v[59:60], v59
	s_wait_dscnt 0x0
	v_cmp_lt_i64_e64 s6, v[59:60], v[57:58]
	v_add_nc_u32_e32 v57, 1, v61
	s_wait_alu 0xf1ff
	s_delay_alu instid0(VALU_DEP_2) | instskip(NEXT) | instid1(VALU_DEP_2)
	v_cndmask_b32_e64 v4, v4, v61, s6
	v_cndmask_b32_e64 v3, v57, v3, s6
	s_delay_alu instid0(VALU_DEP_1) | instskip(SKIP_1) | instid1(SALU_CYCLE_1)
	v_cmp_ge_i32_e64 s6, v3, v4
	s_or_b32 s8, s6, s8
	s_and_not1_b32 exec_lo, exec_lo, s8
	s_cbranch_execnz .LBB131_12
; %bb.13:                               ;   in Loop: Header=BB131_2 Depth=1
	s_or_b32 exec_lo, exec_lo, s8
.LBB131_14:                             ;   in Loop: Header=BB131_2 Depth=1
	s_wait_alu 0xfffe
	s_or_b32 exec_lo, exec_lo, s7
	v_sub_nc_u32_e32 v61, v35, v3
	v_lshl_add_u32 v4, v3, 3, v22
	v_add_nc_u32_e32 v3, v3, v8
	s_delay_alu instid0(VALU_DEP_3) | instskip(SKIP_1) | instid1(VALU_DEP_3)
	v_lshlrev_b32_e32 v59, 3, v61
	v_cmp_gt_i32_e64 s8, v21, v61
	v_cmp_le_i32_e64 s7, v20, v3
	ds_load_b64 v[57:58], v4
	ds_load_b64 v[59:60], v59
	s_wait_loadcnt_dscnt 0x0
	s_barrier_signal -1
	s_barrier_wait -1
	global_inv scope:SCOPE_SE
	ds_store_b64 v5, v[1:2]
	s_wait_loadcnt_dscnt 0x0
	s_barrier_signal -1
	s_barrier_wait -1
	global_inv scope:SCOPE_SE
	v_cmp_lt_i64_e64 s6, v[59:60], v[57:58]
	s_or_b32 s6, s7, s6
	s_wait_alu 0xfffe
	s_and_b32 s6, s8, s6
	s_wait_alu 0xfffe
	v_cndmask_b32_e64 v3, v3, v61, s6
	v_cndmask_b32_e64 v4, v58, v60, s6
	s_delay_alu instid0(VALU_DEP_2)
	v_lshlrev_b32_e32 v1, 3, v3
	v_cndmask_b32_e64 v3, v57, v59, s6
	ds_load_b64 v[1:2], v1
	s_wait_loadcnt_dscnt 0x0
	s_barrier_signal -1
	s_barrier_wait -1
	global_inv scope:SCOPE_SE
	ds_store_b64 v5, v[3:4]
	v_mov_b32_e32 v3, v53
	s_wait_loadcnt_dscnt 0x0
	s_barrier_signal -1
	s_barrier_wait -1
	global_inv scope:SCOPE_SE
	s_and_saveexec_b32 s7, s3
	s_cbranch_execz .LBB131_18
; %bb.15:                               ;   in Loop: Header=BB131_2 Depth=1
	v_dual_mov_b32 v3, v53 :: v_dual_mov_b32 v4, v48
	s_mov_b32 s8, 0
.LBB131_16:                             ;   Parent Loop BB131_2 Depth=1
                                        ; =>  This Inner Loop Header: Depth=2
	s_delay_alu instid0(VALU_DEP_1) | instskip(NEXT) | instid1(VALU_DEP_1)
	v_sub_nc_u32_e32 v57, v4, v3
	v_lshrrev_b32_e32 v57, 1, v57
	s_delay_alu instid0(VALU_DEP_1) | instskip(NEXT) | instid1(VALU_DEP_1)
	v_add_nc_u32_e32 v61, v57, v3
	v_not_b32_e32 v57, v61
	v_lshl_add_u32 v58, v61, 3, v25
	s_delay_alu instid0(VALU_DEP_2)
	v_lshl_add_u32 v59, v57, 3, v42
	ds_load_b64 v[57:58], v58
	ds_load_b64 v[59:60], v59
	s_wait_dscnt 0x0
	v_cmp_lt_i64_e64 s6, v[59:60], v[57:58]
	v_add_nc_u32_e32 v57, 1, v61
	s_wait_alu 0xf1ff
	s_delay_alu instid0(VALU_DEP_2) | instskip(NEXT) | instid1(VALU_DEP_2)
	v_cndmask_b32_e64 v4, v4, v61, s6
	v_cndmask_b32_e64 v3, v57, v3, s6
	s_delay_alu instid0(VALU_DEP_1) | instskip(SKIP_1) | instid1(SALU_CYCLE_1)
	v_cmp_ge_i32_e64 s6, v3, v4
	s_or_b32 s8, s6, s8
	s_and_not1_b32 exec_lo, exec_lo, s8
	s_cbranch_execnz .LBB131_16
; %bb.17:                               ;   in Loop: Header=BB131_2 Depth=1
	s_or_b32 exec_lo, exec_lo, s8
.LBB131_18:                             ;   in Loop: Header=BB131_2 Depth=1
	s_wait_alu 0xfffe
	s_or_b32 exec_lo, exec_lo, s7
	v_sub_nc_u32_e32 v61, v36, v3
	v_lshl_add_u32 v4, v3, 3, v25
	v_add_nc_u32_e32 v3, v3, v9
	s_delay_alu instid0(VALU_DEP_3) | instskip(SKIP_1) | instid1(VALU_DEP_3)
	v_lshlrev_b32_e32 v59, 3, v61
	v_cmp_gt_i32_e64 s8, v24, v61
	v_cmp_le_i32_e64 s7, v23, v3
	ds_load_b64 v[57:58], v4
	ds_load_b64 v[59:60], v59
	s_wait_loadcnt_dscnt 0x0
	s_barrier_signal -1
	s_barrier_wait -1
	global_inv scope:SCOPE_SE
	ds_store_b64 v5, v[1:2]
	s_wait_loadcnt_dscnt 0x0
	s_barrier_signal -1
	s_barrier_wait -1
	global_inv scope:SCOPE_SE
	v_cmp_lt_i64_e64 s6, v[59:60], v[57:58]
	s_or_b32 s6, s7, s6
	s_wait_alu 0xfffe
	s_and_b32 s6, s8, s6
	s_wait_alu 0xfffe
	v_cndmask_b32_e64 v3, v3, v61, s6
	v_cndmask_b32_e64 v4, v58, v60, s6
	s_delay_alu instid0(VALU_DEP_2)
	v_lshlrev_b32_e32 v1, 3, v3
	v_cndmask_b32_e64 v3, v57, v59, s6
	ds_load_b64 v[1:2], v1
	s_wait_loadcnt_dscnt 0x0
	s_barrier_signal -1
	s_barrier_wait -1
	global_inv scope:SCOPE_SE
	ds_store_b64 v5, v[3:4]
	v_mov_b32_e32 v3, v54
	s_wait_loadcnt_dscnt 0x0
	s_barrier_signal -1
	s_barrier_wait -1
	global_inv scope:SCOPE_SE
	s_and_saveexec_b32 s7, s4
	s_cbranch_execz .LBB131_22
; %bb.19:                               ;   in Loop: Header=BB131_2 Depth=1
	v_dual_mov_b32 v3, v54 :: v_dual_mov_b32 v4, v49
	s_mov_b32 s8, 0
.LBB131_20:                             ;   Parent Loop BB131_2 Depth=1
                                        ; =>  This Inner Loop Header: Depth=2
	s_delay_alu instid0(VALU_DEP_1) | instskip(NEXT) | instid1(VALU_DEP_1)
	v_sub_nc_u32_e32 v57, v4, v3
	v_lshrrev_b32_e32 v57, 1, v57
	s_delay_alu instid0(VALU_DEP_1) | instskip(NEXT) | instid1(VALU_DEP_1)
	v_add_nc_u32_e32 v61, v57, v3
	v_not_b32_e32 v57, v61
	v_lshl_add_u32 v58, v61, 3, v28
	s_delay_alu instid0(VALU_DEP_2)
	v_lshl_add_u32 v59, v57, 3, v43
	ds_load_b64 v[57:58], v58
	ds_load_b64 v[59:60], v59
	s_wait_dscnt 0x0
	v_cmp_lt_i64_e64 s6, v[59:60], v[57:58]
	v_add_nc_u32_e32 v57, 1, v61
	s_wait_alu 0xf1ff
	s_delay_alu instid0(VALU_DEP_2) | instskip(NEXT) | instid1(VALU_DEP_2)
	v_cndmask_b32_e64 v4, v4, v61, s6
	v_cndmask_b32_e64 v3, v57, v3, s6
	s_delay_alu instid0(VALU_DEP_1) | instskip(SKIP_1) | instid1(SALU_CYCLE_1)
	v_cmp_ge_i32_e64 s6, v3, v4
	s_or_b32 s8, s6, s8
	s_and_not1_b32 exec_lo, exec_lo, s8
	s_cbranch_execnz .LBB131_20
; %bb.21:                               ;   in Loop: Header=BB131_2 Depth=1
	s_or_b32 exec_lo, exec_lo, s8
.LBB131_22:                             ;   in Loop: Header=BB131_2 Depth=1
	s_wait_alu 0xfffe
	s_or_b32 exec_lo, exec_lo, s7
	v_sub_nc_u32_e32 v61, v37, v3
	v_lshl_add_u32 v4, v3, 3, v28
	v_add_nc_u32_e32 v3, v3, v10
	s_delay_alu instid0(VALU_DEP_3) | instskip(SKIP_1) | instid1(VALU_DEP_3)
	v_lshlrev_b32_e32 v59, 3, v61
	v_cmp_gt_i32_e64 s8, v27, v61
	v_cmp_le_i32_e64 s7, v26, v3
	ds_load_b64 v[57:58], v4
	ds_load_b64 v[59:60], v59
	s_wait_loadcnt_dscnt 0x0
	s_barrier_signal -1
	s_barrier_wait -1
	global_inv scope:SCOPE_SE
	ds_store_b64 v5, v[1:2]
	s_wait_loadcnt_dscnt 0x0
	s_barrier_signal -1
	s_barrier_wait -1
	global_inv scope:SCOPE_SE
	v_cmp_lt_i64_e64 s6, v[59:60], v[57:58]
	s_or_b32 s6, s7, s6
	s_wait_alu 0xfffe
	s_and_b32 s6, s8, s6
	s_wait_alu 0xfffe
	v_cndmask_b32_e64 v3, v3, v61, s6
	v_cndmask_b32_e64 v4, v58, v60, s6
	s_delay_alu instid0(VALU_DEP_2)
	v_lshlrev_b32_e32 v1, 3, v3
	v_cndmask_b32_e64 v3, v57, v59, s6
	ds_load_b64 v[1:2], v1
	s_wait_loadcnt_dscnt 0x0
	s_barrier_signal -1
	s_barrier_wait -1
	global_inv scope:SCOPE_SE
	ds_store_b64 v5, v[3:4]
	v_mov_b32_e32 v3, v55
	s_wait_loadcnt_dscnt 0x0
	s_barrier_signal -1
	s_barrier_wait -1
	global_inv scope:SCOPE_SE
	s_and_saveexec_b32 s7, s5
	s_cbranch_execz .LBB131_26
; %bb.23:                               ;   in Loop: Header=BB131_2 Depth=1
	v_dual_mov_b32 v3, v55 :: v_dual_mov_b32 v4, v50
	s_mov_b32 s8, 0
.LBB131_24:                             ;   Parent Loop BB131_2 Depth=1
                                        ; =>  This Inner Loop Header: Depth=2
	s_delay_alu instid0(VALU_DEP_1) | instskip(NEXT) | instid1(VALU_DEP_1)
	v_sub_nc_u32_e32 v57, v4, v3
	v_lshrrev_b32_e32 v57, 1, v57
	s_delay_alu instid0(VALU_DEP_1) | instskip(NEXT) | instid1(VALU_DEP_1)
	v_add_nc_u32_e32 v61, v57, v3
	v_not_b32_e32 v57, v61
	v_lshl_add_u32 v58, v61, 3, v31
	s_delay_alu instid0(VALU_DEP_2)
	v_lshl_add_u32 v59, v57, 3, v44
	ds_load_b64 v[57:58], v58
	ds_load_b64 v[59:60], v59
	s_wait_dscnt 0x0
	v_cmp_lt_i64_e64 s6, v[59:60], v[57:58]
	v_add_nc_u32_e32 v57, 1, v61
	s_wait_alu 0xf1ff
	s_delay_alu instid0(VALU_DEP_2) | instskip(NEXT) | instid1(VALU_DEP_2)
	v_cndmask_b32_e64 v4, v4, v61, s6
	v_cndmask_b32_e64 v3, v57, v3, s6
	s_delay_alu instid0(VALU_DEP_1) | instskip(SKIP_1) | instid1(SALU_CYCLE_1)
	v_cmp_ge_i32_e64 s6, v3, v4
	s_or_b32 s8, s6, s8
	s_and_not1_b32 exec_lo, exec_lo, s8
	s_cbranch_execnz .LBB131_24
; %bb.25:                               ;   in Loop: Header=BB131_2 Depth=1
	s_or_b32 exec_lo, exec_lo, s8
.LBB131_26:                             ;   in Loop: Header=BB131_2 Depth=1
	s_wait_alu 0xfffe
	s_or_b32 exec_lo, exec_lo, s7
	v_sub_nc_u32_e32 v4, v38, v3
	v_lshl_add_u32 v57, v3, 3, v31
	v_add_nc_u32_e32 v3, v3, v11
	s_delay_alu instid0(VALU_DEP_3) | instskip(SKIP_1) | instid1(VALU_DEP_3)
	v_lshlrev_b32_e32 v59, 3, v4
	v_cmp_gt_i32_e64 s8, v30, v4
	v_cmp_le_i32_e64 s7, v29, v3
	ds_load_b64 v[57:58], v57
	ds_load_b64 v[59:60], v59
	s_wait_loadcnt_dscnt 0x0
	s_barrier_signal -1
	s_barrier_wait -1
	global_inv scope:SCOPE_SE
	ds_store_b64 v5, v[1:2]
	s_wait_loadcnt_dscnt 0x0
	s_barrier_signal -1
	s_barrier_wait -1
	global_inv scope:SCOPE_SE
	v_cmp_lt_i64_e64 s6, v[59:60], v[57:58]
	s_or_b32 s6, s7, s6
	s_wait_alu 0xfffe
	s_and_b32 s6, s8, s6
	s_wait_alu 0xfffe
	v_cndmask_b32_e64 v3, v3, v4, s6
	v_cndmask_b32_e64 v58, v58, v60, s6
	v_cndmask_b32_e64 v57, v57, v59, s6
	s_delay_alu instid0(VALU_DEP_3)
	v_lshlrev_b32_e32 v1, 3, v3
	ds_load_b64 v[3:4], v1
	v_mov_b32_e32 v1, v12
	s_wait_loadcnt_dscnt 0x0
	s_barrier_signal -1
	s_barrier_wait -1
	global_inv scope:SCOPE_SE
	ds_store_b64 v5, v[57:58]
	s_wait_loadcnt_dscnt 0x0
	s_barrier_signal -1
	s_barrier_wait -1
	global_inv scope:SCOPE_SE
	s_and_saveexec_b32 s7, vcc_lo
	s_cbranch_execz .LBB131_1
; %bb.27:                               ;   in Loop: Header=BB131_2 Depth=1
	v_dual_mov_b32 v1, v12 :: v_dual_mov_b32 v2, v13
	s_mov_b32 s8, 0
.LBB131_28:                             ;   Parent Loop BB131_2 Depth=1
                                        ; =>  This Inner Loop Header: Depth=2
	s_delay_alu instid0(VALU_DEP_1) | instskip(NEXT) | instid1(VALU_DEP_1)
	v_sub_nc_u32_e32 v57, v2, v1
	v_lshrrev_b32_e32 v57, 1, v57
	s_delay_alu instid0(VALU_DEP_1) | instskip(NEXT) | instid1(VALU_DEP_1)
	v_add_nc_u32_e32 v61, v57, v1
	v_not_b32_e32 v57, v61
	v_lshlrev_b32_e32 v58, 3, v61
	s_delay_alu instid0(VALU_DEP_2)
	v_lshl_add_u32 v59, v57, 3, v56
	ds_load_b64 v[57:58], v58
	ds_load_b64 v[59:60], v59
	s_wait_dscnt 0x0
	v_cmp_lt_i64_e64 s6, v[59:60], v[57:58]
	v_add_nc_u32_e32 v57, 1, v61
	s_wait_alu 0xf1ff
	s_delay_alu instid0(VALU_DEP_2) | instskip(NEXT) | instid1(VALU_DEP_2)
	v_cndmask_b32_e64 v2, v2, v61, s6
	v_cndmask_b32_e64 v1, v57, v1, s6
	s_delay_alu instid0(VALU_DEP_1) | instskip(SKIP_1) | instid1(SALU_CYCLE_1)
	v_cmp_ge_i32_e64 s6, v1, v2
	s_or_b32 s8, s6, s8
	s_and_not1_b32 exec_lo, exec_lo, s8
	s_cbranch_execnz .LBB131_28
; %bb.29:                               ;   in Loop: Header=BB131_2 Depth=1
	s_or_b32 exec_lo, exec_lo, s8
	s_branch .LBB131_1
.LBB131_30:
	s_wait_dscnt 0x0
	s_delay_alu instid0(VALU_DEP_1) | instskip(NEXT) | instid1(VALU_DEP_1)
	v_add_co_u32 v1, vcc_lo, v1, v3
	v_add_co_ci_u32_e64 v2, null, v2, v4, vcc_lo
	v_lshlrev_b32_e32 v0, 3, v0
	s_add_nc_u64 s[0:1], s[10:11], s[12:13]
	global_store_b64 v0, v[1:2], s[0:1]
	s_endpgm
	.section	.rodata,"a",@progbits
	.p2align	6, 0x0
	.amdhsa_kernel _Z17sort_pairs_kernelIxLj128ELj1EN10test_utils4lessELj10EEvPKT_PS2_T2_
		.amdhsa_group_segment_fixed_size 1032
		.amdhsa_private_segment_fixed_size 0
		.amdhsa_kernarg_size 20
		.amdhsa_user_sgpr_count 2
		.amdhsa_user_sgpr_dispatch_ptr 0
		.amdhsa_user_sgpr_queue_ptr 0
		.amdhsa_user_sgpr_kernarg_segment_ptr 1
		.amdhsa_user_sgpr_dispatch_id 0
		.amdhsa_user_sgpr_private_segment_size 0
		.amdhsa_wavefront_size32 1
		.amdhsa_uses_dynamic_stack 0
		.amdhsa_enable_private_segment 0
		.amdhsa_system_sgpr_workgroup_id_x 1
		.amdhsa_system_sgpr_workgroup_id_y 0
		.amdhsa_system_sgpr_workgroup_id_z 0
		.amdhsa_system_sgpr_workgroup_info 0
		.amdhsa_system_vgpr_workitem_id 0
		.amdhsa_next_free_vgpr 64
		.amdhsa_next_free_sgpr 16
		.amdhsa_reserve_vcc 1
		.amdhsa_float_round_mode_32 0
		.amdhsa_float_round_mode_16_64 0
		.amdhsa_float_denorm_mode_32 3
		.amdhsa_float_denorm_mode_16_64 3
		.amdhsa_fp16_overflow 0
		.amdhsa_workgroup_processor_mode 1
		.amdhsa_memory_ordered 1
		.amdhsa_forward_progress 1
		.amdhsa_inst_pref_size 27
		.amdhsa_round_robin_scheduling 0
		.amdhsa_exception_fp_ieee_invalid_op 0
		.amdhsa_exception_fp_denorm_src 0
		.amdhsa_exception_fp_ieee_div_zero 0
		.amdhsa_exception_fp_ieee_overflow 0
		.amdhsa_exception_fp_ieee_underflow 0
		.amdhsa_exception_fp_ieee_inexact 0
		.amdhsa_exception_int_div_zero 0
	.end_amdhsa_kernel
	.section	.text._Z17sort_pairs_kernelIxLj128ELj1EN10test_utils4lessELj10EEvPKT_PS2_T2_,"axG",@progbits,_Z17sort_pairs_kernelIxLj128ELj1EN10test_utils4lessELj10EEvPKT_PS2_T2_,comdat
.Lfunc_end131:
	.size	_Z17sort_pairs_kernelIxLj128ELj1EN10test_utils4lessELj10EEvPKT_PS2_T2_, .Lfunc_end131-_Z17sort_pairs_kernelIxLj128ELj1EN10test_utils4lessELj10EEvPKT_PS2_T2_
                                        ; -- End function
	.set _Z17sort_pairs_kernelIxLj128ELj1EN10test_utils4lessELj10EEvPKT_PS2_T2_.num_vgpr, 64
	.set _Z17sort_pairs_kernelIxLj128ELj1EN10test_utils4lessELj10EEvPKT_PS2_T2_.num_agpr, 0
	.set _Z17sort_pairs_kernelIxLj128ELj1EN10test_utils4lessELj10EEvPKT_PS2_T2_.numbered_sgpr, 16
	.set _Z17sort_pairs_kernelIxLj128ELj1EN10test_utils4lessELj10EEvPKT_PS2_T2_.num_named_barrier, 0
	.set _Z17sort_pairs_kernelIxLj128ELj1EN10test_utils4lessELj10EEvPKT_PS2_T2_.private_seg_size, 0
	.set _Z17sort_pairs_kernelIxLj128ELj1EN10test_utils4lessELj10EEvPKT_PS2_T2_.uses_vcc, 1
	.set _Z17sort_pairs_kernelIxLj128ELj1EN10test_utils4lessELj10EEvPKT_PS2_T2_.uses_flat_scratch, 0
	.set _Z17sort_pairs_kernelIxLj128ELj1EN10test_utils4lessELj10EEvPKT_PS2_T2_.has_dyn_sized_stack, 0
	.set _Z17sort_pairs_kernelIxLj128ELj1EN10test_utils4lessELj10EEvPKT_PS2_T2_.has_recursion, 0
	.set _Z17sort_pairs_kernelIxLj128ELj1EN10test_utils4lessELj10EEvPKT_PS2_T2_.has_indirect_call, 0
	.section	.AMDGPU.csdata,"",@progbits
; Kernel info:
; codeLenInByte = 3376
; TotalNumSgprs: 18
; NumVgprs: 64
; ScratchSize: 0
; MemoryBound: 0
; FloatMode: 240
; IeeeMode: 1
; LDSByteSize: 1032 bytes/workgroup (compile time only)
; SGPRBlocks: 0
; VGPRBlocks: 7
; NumSGPRsForWavesPerEU: 18
; NumVGPRsForWavesPerEU: 64
; Occupancy: 16
; WaveLimiterHint : 0
; COMPUTE_PGM_RSRC2:SCRATCH_EN: 0
; COMPUTE_PGM_RSRC2:USER_SGPR: 2
; COMPUTE_PGM_RSRC2:TRAP_HANDLER: 0
; COMPUTE_PGM_RSRC2:TGID_X_EN: 1
; COMPUTE_PGM_RSRC2:TGID_Y_EN: 0
; COMPUTE_PGM_RSRC2:TGID_Z_EN: 0
; COMPUTE_PGM_RSRC2:TIDIG_COMP_CNT: 0
	.section	.text._Z16sort_keys_kernelIxLj128ELj2EN10test_utils4lessELj10EEvPKT_PS2_T2_,"axG",@progbits,_Z16sort_keys_kernelIxLj128ELj2EN10test_utils4lessELj10EEvPKT_PS2_T2_,comdat
	.protected	_Z16sort_keys_kernelIxLj128ELj2EN10test_utils4lessELj10EEvPKT_PS2_T2_ ; -- Begin function _Z16sort_keys_kernelIxLj128ELj2EN10test_utils4lessELj10EEvPKT_PS2_T2_
	.globl	_Z16sort_keys_kernelIxLj128ELj2EN10test_utils4lessELj10EEvPKT_PS2_T2_
	.p2align	8
	.type	_Z16sort_keys_kernelIxLj128ELj2EN10test_utils4lessELj10EEvPKT_PS2_T2_,@function
_Z16sort_keys_kernelIxLj128ELj2EN10test_utils4lessELj10EEvPKT_PS2_T2_: ; @_Z16sort_keys_kernelIxLj128ELj2EN10test_utils4lessELj10EEvPKT_PS2_T2_
; %bb.0:
	s_load_b128 s[8:11], s[0:1], 0x0
	s_lshl_b32 s12, ttmp9, 8
	s_mov_b32 s13, 0
	v_lshlrev_b32_e32 v3, 3, v0
	s_lshl_b64 s[14:15], s[12:13], 3
	v_lshlrev_b32_e32 v5, 1, v0
	v_lshlrev_b32_e32 v13, 4, v0
	s_delay_alu instid0(VALU_DEP_2)
	v_and_b32_e32 v26, 0xe0, v5
	v_and_b32_e32 v9, 0xfc, v5
	;; [unrolled: 1-line block ×5, first 2 shown]
	v_or_b32_e32 v28, 16, v26
	v_add_nc_u32_e32 v29, 32, v26
	v_or_b32_e32 v10, 2, v9
	v_add_nc_u32_e32 v11, 4, v9
	v_or_b32_e32 v14, 4, v12
	s_wait_kmcnt 0x0
	s_add_nc_u64 s[0:1], s[8:9], s[14:15]
	v_sub_nc_u32_e32 v37, v29, v28
	s_clause 0x1
	global_load_b64 v[1:2], v3, s[0:1]
	global_load_b64 v[3:4], v3, s[0:1] offset:1024
	v_sub_nc_u32_e32 v7, v11, v10
	v_add_nc_u32_e32 v15, 8, v12
	v_and_b32_e32 v19, 0xf0, v5
	v_sub_nc_u32_e32 v38, v56, v37
	v_cmp_ge_i32_e64 s2, v56, v37
	v_sub_nc_u32_e32 v8, v6, v7
	v_cmp_ge_i32_e32 vcc_lo, v6, v7
	v_and_b32_e32 v33, 0xc0, v5
	v_and_b32_e32 v7, 6, v5
	v_cndmask_b32_e64 v37, 0, v38, s2
	v_and_b32_e32 v38, 0x80, v5
	v_cndmask_b32_e32 v16, 0, v8, vcc_lo
	v_sub_nc_u32_e32 v8, v15, v14
	v_or_b32_e32 v21, 8, v19
	v_add_nc_u32_e32 v22, 16, v19
	v_or_b32_e32 v35, 32, v33
	v_add_nc_u32_e32 v36, 64, v33
	;; [unrolled: 2-line block ×3, first 2 shown]
	v_sub_nc_u32_e32 v17, v10, v9
	v_sub_nc_u32_e32 v23, v7, v8
	v_cmp_ge_i32_e64 s0, v7, v8
	v_and_b32_e32 v8, 14, v5
	v_sub_nc_u32_e32 v30, v22, v21
	v_and_b32_e32 v57, 62, v5
	v_sub_nc_u32_e32 v43, v36, v35
	;; [unrolled: 2-line block ×3, first 2 shown]
	v_min_i32_e32 v17, v6, v17
	v_add_nc_u32_e32 v20, v10, v6
	v_sub_nc_u32_e32 v24, v14, v12
	v_sub_nc_u32_e32 v31, v8, v30
	;; [unrolled: 1-line block ×3, first 2 shown]
	v_cmp_ge_i32_e64 s1, v8, v30
	v_sub_nc_u32_e32 v39, v28, v26
	v_sub_nc_u32_e32 v44, v57, v43
	v_sub_nc_u32_e32 v45, v35, v33
	v_cmp_ge_i32_e64 s3, v57, v43
	v_sub_nc_u32_e32 v49, v58, v48
	v_sub_nc_u32_e32 v50, v41, v38
	v_cmp_ge_i32_e64 s4, v58, v48
	v_lshlrev_b32_e32 v6, 3, v6
	v_cndmask_b32_e64 v23, 0, v23, s0
	v_min_i32_e32 v24, v7, v24
	v_add_nc_u32_e32 v27, v14, v7
	v_cndmask_b32_e64 v30, 0, v31, s1
	v_min_i32_e32 v31, v8, v32
	v_add_nc_u32_e32 v34, v21, v8
	v_min_i32_e32 v39, v56, v39
	s_wait_alu 0xf1ff
	v_cndmask_b32_e64 v43, 0, v44, s3
	v_min_i32_e32 v44, v57, v45
	v_cndmask_b32_e64 v48, 0, v49, s4
	v_min_i32_e32 v49, v58, v50
	v_subrev_nc_u32_e64 v50, 0x80, v5 clamp
	v_min_i32_e32 v51, 0x80, v5
	v_add_nc_u32_e32 v54, 0x80, v5
	v_lshl_add_u32 v55, v10, 3, v6
	v_lshlrev_b32_e32 v5, 3, v7
	v_lshlrev_b32_e32 v6, 3, v8
	;; [unrolled: 1-line block ×7, first 2 shown]
	v_cmp_lt_i32_e64 s0, v23, v24
	v_lshlrev_b32_e32 v32, 3, v19
	v_cmp_lt_i32_e64 s1, v30, v31
	v_lshlrev_b32_e32 v40, 3, v26
	v_cmp_lt_i32_e64 s2, v37, v39
	v_add_nc_u32_e32 v45, v28, v56
	v_lshlrev_b32_e32 v46, 3, v33
	v_cmp_lt_i32_e64 s3, v43, v44
	v_add_nc_u32_e32 v47, v35, v57
	;; [unrolled: 3-line block ×3, first 2 shown]
	v_cmp_lt_i32_e64 s5, v50, v51
	v_lshl_add_u32 v56, v14, 3, v5
	v_lshl_add_u32 v57, v21, 3, v6
	;; [unrolled: 1-line block ×5, first 2 shown]
	v_add_nc_u32_e32 v61, 0x400, v13
	v_cmp_lt_i32_e32 vcc_lo, v16, v17
	s_branch .LBB132_2
.LBB132_1:                              ;   in Loop: Header=BB132_2 Depth=1
	s_or_b32 exec_lo, exec_lo, s7
	s_wait_dscnt 0x0
	s_delay_alu instid0(VALU_DEP_1)
	v_cmp_lt_i64_e64 s7, v[7:8], v[5:6]
	v_cmp_le_i32_e64 s8, 0x80, v62
	v_cmp_gt_i32_e64 s9, 0x100, v63
	v_cndmask_b32_e64 v2, v2, v4, s6
	v_cndmask_b32_e64 v1, v1, v3, s6
	s_add_co_i32 s13, s13, 1
	s_or_b32 s7, s8, s7
	s_wait_alu 0xfffe
	s_and_b32 s6, s9, s7
	s_cmp_eq_u32 s13, 10
	s_wait_alu 0xfffe
	v_cndmask_b32_e64 v4, v6, v8, s6
	v_cndmask_b32_e64 v3, v5, v7, s6
	s_cbranch_scc1 .LBB132_58
.LBB132_2:                              ; =>This Loop Header: Depth=1
                                        ;     Child Loop BB132_4 Depth 2
                                        ;     Child Loop BB132_12 Depth 2
	;; [unrolled: 1-line block ×7, first 2 shown]
	s_wait_loadcnt 0x0
	s_delay_alu instid0(VALU_DEP_1)
	v_cmp_lt_i64_e64 s6, v[3:4], v[1:2]
	v_mov_b32_e32 v5, v16
	s_barrier_signal -1
	s_barrier_wait -1
	global_inv scope:SCOPE_SE
	s_wait_alu 0xf1ff
	v_cndmask_b32_e64 v7, v4, v2, s6
	v_cndmask_b32_e64 v6, v3, v1, s6
	;; [unrolled: 1-line block ×4, first 2 shown]
	ds_store_2addr_b64 v13, v[1:2], v[6:7] offset1:1
	s_wait_loadcnt_dscnt 0x0
	s_barrier_signal -1
	s_barrier_wait -1
	global_inv scope:SCOPE_SE
	s_and_saveexec_b32 s7, vcc_lo
	s_cbranch_execz .LBB132_6
; %bb.3:                                ;   in Loop: Header=BB132_2 Depth=1
	v_mov_b32_e32 v5, v16
	v_mov_b32_e32 v1, v17
	s_mov_b32 s8, 0
.LBB132_4:                              ;   Parent Loop BB132_2 Depth=1
                                        ; =>  This Inner Loop Header: Depth=2
	s_delay_alu instid0(VALU_DEP_1) | instskip(NEXT) | instid1(VALU_DEP_1)
	v_sub_nc_u32_e32 v2, v1, v5
	v_lshrrev_b32_e32 v2, 1, v2
	s_delay_alu instid0(VALU_DEP_1) | instskip(NEXT) | instid1(VALU_DEP_1)
	v_add_nc_u32_e32 v4, v2, v5
	v_not_b32_e32 v2, v4
	v_lshl_add_u32 v3, v4, 3, v18
	s_delay_alu instid0(VALU_DEP_2)
	v_lshl_add_u32 v6, v2, 3, v55
	ds_load_b64 v[2:3], v3
	ds_load_b64 v[6:7], v6
	s_wait_dscnt 0x0
	v_cmp_lt_i64_e64 s6, v[6:7], v[2:3]
	v_add_nc_u32_e32 v2, 1, v4
	s_wait_alu 0xf1ff
	s_delay_alu instid0(VALU_DEP_2) | instskip(NEXT) | instid1(VALU_DEP_2)
	v_cndmask_b32_e64 v1, v1, v4, s6
	v_cndmask_b32_e64 v5, v2, v5, s6
	s_delay_alu instid0(VALU_DEP_1) | instskip(SKIP_1) | instid1(SALU_CYCLE_1)
	v_cmp_ge_i32_e64 s6, v5, v1
	s_or_b32 s8, s6, s8
	s_and_not1_b32 exec_lo, exec_lo, s8
	s_cbranch_execnz .LBB132_4
; %bb.5:                                ;   in Loop: Header=BB132_2 Depth=1
	s_or_b32 exec_lo, exec_lo, s8
.LBB132_6:                              ;   in Loop: Header=BB132_2 Depth=1
	s_wait_alu 0xfffe
	s_or_b32 exec_lo, exec_lo, s7
	v_sub_nc_u32_e32 v62, v20, v5
	v_lshl_add_u32 v7, v5, 3, v18
	v_add_nc_u32_e32 v63, v5, v9
                                        ; implicit-def: $vgpr5_vgpr6
	s_delay_alu instid0(VALU_DEP_3) | instskip(SKIP_1) | instid1(VALU_DEP_3)
	v_lshlrev_b32_e32 v64, 3, v62
	v_cmp_gt_i32_e64 s8, v11, v62
	v_cmp_le_i32_e64 s7, v10, v63
	ds_load_b64 v[1:2], v7
	ds_load_b64 v[3:4], v64
	s_wait_dscnt 0x0
	v_cmp_lt_i64_e64 s6, v[3:4], v[1:2]
	s_or_b32 s6, s7, s6
	s_wait_alu 0xfffe
	s_and_b32 s6, s8, s6
	s_wait_alu 0xfffe
	s_xor_b32 s7, s6, -1
	s_wait_alu 0xfffe
	s_and_saveexec_b32 s8, s7
	s_delay_alu instid0(SALU_CYCLE_1)
	s_xor_b32 s7, exec_lo, s8
; %bb.7:                                ;   in Loop: Header=BB132_2 Depth=1
	ds_load_b64 v[5:6], v7 offset:8
                                        ; implicit-def: $vgpr64
; %bb.8:                                ;   in Loop: Header=BB132_2 Depth=1
	s_wait_alu 0xfffe
	s_or_saveexec_b32 s7, s7
	v_dual_mov_b32 v8, v4 :: v_dual_mov_b32 v7, v3
	s_wait_alu 0xfffe
	s_xor_b32 exec_lo, exec_lo, s7
	s_cbranch_execz .LBB132_10
; %bb.9:                                ;   in Loop: Header=BB132_2 Depth=1
	ds_load_b64 v[7:8], v64 offset:8
	s_wait_dscnt 0x1
	v_dual_mov_b32 v6, v2 :: v_dual_mov_b32 v5, v1
.LBB132_10:                             ;   in Loop: Header=BB132_2 Depth=1
	s_or_b32 exec_lo, exec_lo, s7
	v_add_nc_u32_e32 v64, 1, v63
	v_add_nc_u32_e32 v65, 1, v62
	s_wait_dscnt 0x0
	v_cmp_lt_i64_e64 s7, v[7:8], v[5:6]
	v_cndmask_b32_e64 v2, v2, v4, s6
	v_cndmask_b32_e64 v1, v1, v3, s6
	;; [unrolled: 1-line block ×4, first 2 shown]
	s_wait_loadcnt 0x0
	s_barrier_signal -1
	s_barrier_wait -1
	v_cmp_ge_i32_e64 s8, v63, v10
	v_cmp_lt_i32_e64 s9, v62, v11
	global_inv scope:SCOPE_SE
	s_or_b32 s6, s8, s7
	s_wait_alu 0xfffe
	s_and_b32 s6, s9, s6
	s_wait_alu 0xfffe
	v_cndmask_b32_e64 v4, v6, v8, s6
	v_cndmask_b32_e64 v3, v5, v7, s6
	v_mov_b32_e32 v5, v23
	ds_store_2addr_b64 v13, v[1:2], v[3:4] offset1:1
	s_wait_loadcnt_dscnt 0x0
	s_barrier_signal -1
	s_barrier_wait -1
	global_inv scope:SCOPE_SE
	s_and_saveexec_b32 s7, s0
	s_cbranch_execz .LBB132_14
; %bb.11:                               ;   in Loop: Header=BB132_2 Depth=1
	v_mov_b32_e32 v5, v23
	v_mov_b32_e32 v1, v24
	s_mov_b32 s8, 0
.LBB132_12:                             ;   Parent Loop BB132_2 Depth=1
                                        ; =>  This Inner Loop Header: Depth=2
	s_delay_alu instid0(VALU_DEP_1) | instskip(NEXT) | instid1(VALU_DEP_1)
	v_sub_nc_u32_e32 v2, v1, v5
	v_lshrrev_b32_e32 v2, 1, v2
	s_delay_alu instid0(VALU_DEP_1) | instskip(NEXT) | instid1(VALU_DEP_1)
	v_add_nc_u32_e32 v4, v2, v5
	v_not_b32_e32 v2, v4
	v_lshl_add_u32 v3, v4, 3, v25
	s_delay_alu instid0(VALU_DEP_2)
	v_lshl_add_u32 v6, v2, 3, v56
	ds_load_b64 v[2:3], v3
	ds_load_b64 v[6:7], v6
	s_wait_dscnt 0x0
	v_cmp_lt_i64_e64 s6, v[6:7], v[2:3]
	v_add_nc_u32_e32 v2, 1, v4
	s_wait_alu 0xf1ff
	s_delay_alu instid0(VALU_DEP_2) | instskip(NEXT) | instid1(VALU_DEP_2)
	v_cndmask_b32_e64 v1, v1, v4, s6
	v_cndmask_b32_e64 v5, v2, v5, s6
	s_delay_alu instid0(VALU_DEP_1) | instskip(SKIP_1) | instid1(SALU_CYCLE_1)
	v_cmp_ge_i32_e64 s6, v5, v1
	s_or_b32 s8, s6, s8
	s_and_not1_b32 exec_lo, exec_lo, s8
	s_cbranch_execnz .LBB132_12
; %bb.13:                               ;   in Loop: Header=BB132_2 Depth=1
	s_or_b32 exec_lo, exec_lo, s8
.LBB132_14:                             ;   in Loop: Header=BB132_2 Depth=1
	s_wait_alu 0xfffe
	s_or_b32 exec_lo, exec_lo, s7
	v_sub_nc_u32_e32 v62, v27, v5
	v_lshl_add_u32 v7, v5, 3, v25
	v_add_nc_u32_e32 v63, v5, v12
                                        ; implicit-def: $vgpr5_vgpr6
	s_delay_alu instid0(VALU_DEP_3) | instskip(SKIP_1) | instid1(VALU_DEP_3)
	v_lshlrev_b32_e32 v64, 3, v62
	v_cmp_gt_i32_e64 s8, v15, v62
	v_cmp_le_i32_e64 s7, v14, v63
	ds_load_b64 v[1:2], v7
	ds_load_b64 v[3:4], v64
	s_wait_dscnt 0x0
	v_cmp_lt_i64_e64 s6, v[3:4], v[1:2]
	s_or_b32 s6, s7, s6
	s_wait_alu 0xfffe
	s_and_b32 s6, s8, s6
	s_wait_alu 0xfffe
	s_xor_b32 s7, s6, -1
	s_wait_alu 0xfffe
	s_and_saveexec_b32 s8, s7
	s_delay_alu instid0(SALU_CYCLE_1)
	s_xor_b32 s7, exec_lo, s8
; %bb.15:                               ;   in Loop: Header=BB132_2 Depth=1
	ds_load_b64 v[5:6], v7 offset:8
                                        ; implicit-def: $vgpr64
; %bb.16:                               ;   in Loop: Header=BB132_2 Depth=1
	s_wait_alu 0xfffe
	s_or_saveexec_b32 s7, s7
	v_dual_mov_b32 v8, v4 :: v_dual_mov_b32 v7, v3
	s_wait_alu 0xfffe
	s_xor_b32 exec_lo, exec_lo, s7
	s_cbranch_execz .LBB132_18
; %bb.17:                               ;   in Loop: Header=BB132_2 Depth=1
	ds_load_b64 v[7:8], v64 offset:8
	s_wait_dscnt 0x1
	v_dual_mov_b32 v6, v2 :: v_dual_mov_b32 v5, v1
.LBB132_18:                             ;   in Loop: Header=BB132_2 Depth=1
	s_or_b32 exec_lo, exec_lo, s7
	v_add_nc_u32_e32 v64, 1, v63
	v_add_nc_u32_e32 v65, 1, v62
	s_wait_dscnt 0x0
	v_cmp_lt_i64_e64 s7, v[7:8], v[5:6]
	v_cndmask_b32_e64 v2, v2, v4, s6
	v_cndmask_b32_e64 v1, v1, v3, s6
	v_cndmask_b32_e64 v63, v64, v63, s6
	v_cndmask_b32_e64 v62, v62, v65, s6
	s_wait_loadcnt 0x0
	s_barrier_signal -1
	s_barrier_wait -1
	v_cmp_ge_i32_e64 s8, v63, v14
	v_cmp_lt_i32_e64 s9, v62, v15
	global_inv scope:SCOPE_SE
	s_or_b32 s6, s8, s7
	s_wait_alu 0xfffe
	s_and_b32 s6, s9, s6
	s_wait_alu 0xfffe
	v_cndmask_b32_e64 v4, v6, v8, s6
	v_cndmask_b32_e64 v3, v5, v7, s6
	v_mov_b32_e32 v5, v30
	ds_store_2addr_b64 v13, v[1:2], v[3:4] offset1:1
	s_wait_loadcnt_dscnt 0x0
	s_barrier_signal -1
	s_barrier_wait -1
	global_inv scope:SCOPE_SE
	s_and_saveexec_b32 s7, s1
	s_cbranch_execz .LBB132_22
; %bb.19:                               ;   in Loop: Header=BB132_2 Depth=1
	v_mov_b32_e32 v5, v30
	v_mov_b32_e32 v1, v31
	s_mov_b32 s8, 0
.LBB132_20:                             ;   Parent Loop BB132_2 Depth=1
                                        ; =>  This Inner Loop Header: Depth=2
	s_delay_alu instid0(VALU_DEP_1) | instskip(NEXT) | instid1(VALU_DEP_1)
	v_sub_nc_u32_e32 v2, v1, v5
	v_lshrrev_b32_e32 v2, 1, v2
	s_delay_alu instid0(VALU_DEP_1) | instskip(NEXT) | instid1(VALU_DEP_1)
	v_add_nc_u32_e32 v4, v2, v5
	v_not_b32_e32 v2, v4
	v_lshl_add_u32 v3, v4, 3, v32
	s_delay_alu instid0(VALU_DEP_2)
	v_lshl_add_u32 v6, v2, 3, v57
	ds_load_b64 v[2:3], v3
	ds_load_b64 v[6:7], v6
	s_wait_dscnt 0x0
	v_cmp_lt_i64_e64 s6, v[6:7], v[2:3]
	v_add_nc_u32_e32 v2, 1, v4
	s_wait_alu 0xf1ff
	s_delay_alu instid0(VALU_DEP_2) | instskip(NEXT) | instid1(VALU_DEP_2)
	v_cndmask_b32_e64 v1, v1, v4, s6
	v_cndmask_b32_e64 v5, v2, v5, s6
	s_delay_alu instid0(VALU_DEP_1) | instskip(SKIP_1) | instid1(SALU_CYCLE_1)
	v_cmp_ge_i32_e64 s6, v5, v1
	s_or_b32 s8, s6, s8
	s_and_not1_b32 exec_lo, exec_lo, s8
	s_cbranch_execnz .LBB132_20
; %bb.21:                               ;   in Loop: Header=BB132_2 Depth=1
	s_or_b32 exec_lo, exec_lo, s8
.LBB132_22:                             ;   in Loop: Header=BB132_2 Depth=1
	s_wait_alu 0xfffe
	s_or_b32 exec_lo, exec_lo, s7
	v_sub_nc_u32_e32 v62, v34, v5
	v_lshl_add_u32 v7, v5, 3, v32
	v_add_nc_u32_e32 v63, v5, v19
                                        ; implicit-def: $vgpr5_vgpr6
	s_delay_alu instid0(VALU_DEP_3) | instskip(SKIP_1) | instid1(VALU_DEP_3)
	v_lshlrev_b32_e32 v64, 3, v62
	v_cmp_gt_i32_e64 s8, v22, v62
	v_cmp_le_i32_e64 s7, v21, v63
	ds_load_b64 v[1:2], v7
	ds_load_b64 v[3:4], v64
	s_wait_dscnt 0x0
	v_cmp_lt_i64_e64 s6, v[3:4], v[1:2]
	s_or_b32 s6, s7, s6
	s_wait_alu 0xfffe
	s_and_b32 s6, s8, s6
	s_wait_alu 0xfffe
	s_xor_b32 s7, s6, -1
	s_wait_alu 0xfffe
	s_and_saveexec_b32 s8, s7
	s_delay_alu instid0(SALU_CYCLE_1)
	s_xor_b32 s7, exec_lo, s8
; %bb.23:                               ;   in Loop: Header=BB132_2 Depth=1
	ds_load_b64 v[5:6], v7 offset:8
                                        ; implicit-def: $vgpr64
; %bb.24:                               ;   in Loop: Header=BB132_2 Depth=1
	s_wait_alu 0xfffe
	s_or_saveexec_b32 s7, s7
	v_dual_mov_b32 v8, v4 :: v_dual_mov_b32 v7, v3
	s_wait_alu 0xfffe
	s_xor_b32 exec_lo, exec_lo, s7
	s_cbranch_execz .LBB132_26
; %bb.25:                               ;   in Loop: Header=BB132_2 Depth=1
	ds_load_b64 v[7:8], v64 offset:8
	s_wait_dscnt 0x1
	v_dual_mov_b32 v6, v2 :: v_dual_mov_b32 v5, v1
.LBB132_26:                             ;   in Loop: Header=BB132_2 Depth=1
	s_or_b32 exec_lo, exec_lo, s7
	v_add_nc_u32_e32 v64, 1, v63
	v_add_nc_u32_e32 v65, 1, v62
	s_wait_dscnt 0x0
	v_cmp_lt_i64_e64 s7, v[7:8], v[5:6]
	v_cndmask_b32_e64 v2, v2, v4, s6
	v_cndmask_b32_e64 v1, v1, v3, s6
	v_cndmask_b32_e64 v63, v64, v63, s6
	v_cndmask_b32_e64 v62, v62, v65, s6
	s_wait_loadcnt 0x0
	s_barrier_signal -1
	s_barrier_wait -1
	v_cmp_ge_i32_e64 s8, v63, v21
	v_cmp_lt_i32_e64 s9, v62, v22
	global_inv scope:SCOPE_SE
	s_or_b32 s6, s8, s7
	s_wait_alu 0xfffe
	s_and_b32 s6, s9, s6
	s_wait_alu 0xfffe
	v_cndmask_b32_e64 v4, v6, v8, s6
	v_cndmask_b32_e64 v3, v5, v7, s6
	v_mov_b32_e32 v5, v37
	ds_store_2addr_b64 v13, v[1:2], v[3:4] offset1:1
	s_wait_loadcnt_dscnt 0x0
	s_barrier_signal -1
	s_barrier_wait -1
	global_inv scope:SCOPE_SE
	s_and_saveexec_b32 s7, s2
	s_cbranch_execz .LBB132_30
; %bb.27:                               ;   in Loop: Header=BB132_2 Depth=1
	v_mov_b32_e32 v5, v37
	v_mov_b32_e32 v1, v39
	s_mov_b32 s8, 0
.LBB132_28:                             ;   Parent Loop BB132_2 Depth=1
                                        ; =>  This Inner Loop Header: Depth=2
	s_delay_alu instid0(VALU_DEP_1) | instskip(NEXT) | instid1(VALU_DEP_1)
	v_sub_nc_u32_e32 v2, v1, v5
	v_lshrrev_b32_e32 v2, 1, v2
	s_delay_alu instid0(VALU_DEP_1) | instskip(NEXT) | instid1(VALU_DEP_1)
	v_add_nc_u32_e32 v4, v2, v5
	v_not_b32_e32 v2, v4
	v_lshl_add_u32 v3, v4, 3, v40
	s_delay_alu instid0(VALU_DEP_2)
	v_lshl_add_u32 v6, v2, 3, v58
	ds_load_b64 v[2:3], v3
	ds_load_b64 v[6:7], v6
	s_wait_dscnt 0x0
	v_cmp_lt_i64_e64 s6, v[6:7], v[2:3]
	v_add_nc_u32_e32 v2, 1, v4
	s_wait_alu 0xf1ff
	s_delay_alu instid0(VALU_DEP_2) | instskip(NEXT) | instid1(VALU_DEP_2)
	v_cndmask_b32_e64 v1, v1, v4, s6
	v_cndmask_b32_e64 v5, v2, v5, s6
	s_delay_alu instid0(VALU_DEP_1) | instskip(SKIP_1) | instid1(SALU_CYCLE_1)
	v_cmp_ge_i32_e64 s6, v5, v1
	s_or_b32 s8, s6, s8
	s_and_not1_b32 exec_lo, exec_lo, s8
	s_cbranch_execnz .LBB132_28
; %bb.29:                               ;   in Loop: Header=BB132_2 Depth=1
	s_or_b32 exec_lo, exec_lo, s8
.LBB132_30:                             ;   in Loop: Header=BB132_2 Depth=1
	s_wait_alu 0xfffe
	s_or_b32 exec_lo, exec_lo, s7
	v_sub_nc_u32_e32 v62, v45, v5
	v_lshl_add_u32 v7, v5, 3, v40
	v_add_nc_u32_e32 v63, v5, v26
                                        ; implicit-def: $vgpr5_vgpr6
	s_delay_alu instid0(VALU_DEP_3) | instskip(SKIP_1) | instid1(VALU_DEP_3)
	v_lshlrev_b32_e32 v64, 3, v62
	v_cmp_gt_i32_e64 s8, v29, v62
	v_cmp_le_i32_e64 s7, v28, v63
	ds_load_b64 v[1:2], v7
	ds_load_b64 v[3:4], v64
	s_wait_dscnt 0x0
	v_cmp_lt_i64_e64 s6, v[3:4], v[1:2]
	s_or_b32 s6, s7, s6
	s_wait_alu 0xfffe
	s_and_b32 s6, s8, s6
	s_wait_alu 0xfffe
	s_xor_b32 s7, s6, -1
	s_wait_alu 0xfffe
	s_and_saveexec_b32 s8, s7
	s_delay_alu instid0(SALU_CYCLE_1)
	s_xor_b32 s7, exec_lo, s8
; %bb.31:                               ;   in Loop: Header=BB132_2 Depth=1
	ds_load_b64 v[5:6], v7 offset:8
                                        ; implicit-def: $vgpr64
; %bb.32:                               ;   in Loop: Header=BB132_2 Depth=1
	s_wait_alu 0xfffe
	s_or_saveexec_b32 s7, s7
	v_dual_mov_b32 v8, v4 :: v_dual_mov_b32 v7, v3
	s_wait_alu 0xfffe
	s_xor_b32 exec_lo, exec_lo, s7
	s_cbranch_execz .LBB132_34
; %bb.33:                               ;   in Loop: Header=BB132_2 Depth=1
	ds_load_b64 v[7:8], v64 offset:8
	s_wait_dscnt 0x1
	v_dual_mov_b32 v6, v2 :: v_dual_mov_b32 v5, v1
.LBB132_34:                             ;   in Loop: Header=BB132_2 Depth=1
	s_or_b32 exec_lo, exec_lo, s7
	v_add_nc_u32_e32 v64, 1, v63
	v_add_nc_u32_e32 v65, 1, v62
	s_wait_dscnt 0x0
	v_cmp_lt_i64_e64 s7, v[7:8], v[5:6]
	v_cndmask_b32_e64 v2, v2, v4, s6
	v_cndmask_b32_e64 v1, v1, v3, s6
	;; [unrolled: 1-line block ×4, first 2 shown]
	s_wait_loadcnt 0x0
	s_barrier_signal -1
	s_barrier_wait -1
	v_cmp_ge_i32_e64 s8, v63, v28
	v_cmp_lt_i32_e64 s9, v62, v29
	global_inv scope:SCOPE_SE
	s_or_b32 s6, s8, s7
	s_wait_alu 0xfffe
	s_and_b32 s6, s9, s6
	s_wait_alu 0xfffe
	v_cndmask_b32_e64 v4, v6, v8, s6
	v_cndmask_b32_e64 v3, v5, v7, s6
	v_mov_b32_e32 v5, v43
	ds_store_2addr_b64 v13, v[1:2], v[3:4] offset1:1
	s_wait_loadcnt_dscnt 0x0
	s_barrier_signal -1
	s_barrier_wait -1
	global_inv scope:SCOPE_SE
	s_and_saveexec_b32 s7, s3
	s_cbranch_execz .LBB132_38
; %bb.35:                               ;   in Loop: Header=BB132_2 Depth=1
	v_mov_b32_e32 v5, v43
	v_mov_b32_e32 v1, v44
	s_mov_b32 s8, 0
.LBB132_36:                             ;   Parent Loop BB132_2 Depth=1
                                        ; =>  This Inner Loop Header: Depth=2
	s_delay_alu instid0(VALU_DEP_1) | instskip(NEXT) | instid1(VALU_DEP_1)
	v_sub_nc_u32_e32 v2, v1, v5
	v_lshrrev_b32_e32 v2, 1, v2
	s_delay_alu instid0(VALU_DEP_1) | instskip(NEXT) | instid1(VALU_DEP_1)
	v_add_nc_u32_e32 v4, v2, v5
	v_not_b32_e32 v2, v4
	v_lshl_add_u32 v3, v4, 3, v46
	s_delay_alu instid0(VALU_DEP_2)
	v_lshl_add_u32 v6, v2, 3, v59
	ds_load_b64 v[2:3], v3
	ds_load_b64 v[6:7], v6
	s_wait_dscnt 0x0
	v_cmp_lt_i64_e64 s6, v[6:7], v[2:3]
	v_add_nc_u32_e32 v2, 1, v4
	s_wait_alu 0xf1ff
	s_delay_alu instid0(VALU_DEP_2) | instskip(NEXT) | instid1(VALU_DEP_2)
	v_cndmask_b32_e64 v1, v1, v4, s6
	v_cndmask_b32_e64 v5, v2, v5, s6
	s_delay_alu instid0(VALU_DEP_1) | instskip(SKIP_1) | instid1(SALU_CYCLE_1)
	v_cmp_ge_i32_e64 s6, v5, v1
	s_or_b32 s8, s6, s8
	s_and_not1_b32 exec_lo, exec_lo, s8
	s_cbranch_execnz .LBB132_36
; %bb.37:                               ;   in Loop: Header=BB132_2 Depth=1
	s_or_b32 exec_lo, exec_lo, s8
.LBB132_38:                             ;   in Loop: Header=BB132_2 Depth=1
	s_wait_alu 0xfffe
	s_or_b32 exec_lo, exec_lo, s7
	v_sub_nc_u32_e32 v62, v47, v5
	v_lshl_add_u32 v7, v5, 3, v46
	v_add_nc_u32_e32 v63, v5, v33
                                        ; implicit-def: $vgpr5_vgpr6
	s_delay_alu instid0(VALU_DEP_3) | instskip(SKIP_1) | instid1(VALU_DEP_3)
	v_lshlrev_b32_e32 v64, 3, v62
	v_cmp_gt_i32_e64 s8, v36, v62
	v_cmp_le_i32_e64 s7, v35, v63
	ds_load_b64 v[1:2], v7
	ds_load_b64 v[3:4], v64
	s_wait_dscnt 0x0
	v_cmp_lt_i64_e64 s6, v[3:4], v[1:2]
	s_or_b32 s6, s7, s6
	s_wait_alu 0xfffe
	s_and_b32 s6, s8, s6
	s_wait_alu 0xfffe
	s_xor_b32 s7, s6, -1
	s_wait_alu 0xfffe
	s_and_saveexec_b32 s8, s7
	s_delay_alu instid0(SALU_CYCLE_1)
	s_xor_b32 s7, exec_lo, s8
; %bb.39:                               ;   in Loop: Header=BB132_2 Depth=1
	ds_load_b64 v[5:6], v7 offset:8
                                        ; implicit-def: $vgpr64
; %bb.40:                               ;   in Loop: Header=BB132_2 Depth=1
	s_wait_alu 0xfffe
	s_or_saveexec_b32 s7, s7
	v_dual_mov_b32 v8, v4 :: v_dual_mov_b32 v7, v3
	s_wait_alu 0xfffe
	s_xor_b32 exec_lo, exec_lo, s7
	s_cbranch_execz .LBB132_42
; %bb.41:                               ;   in Loop: Header=BB132_2 Depth=1
	ds_load_b64 v[7:8], v64 offset:8
	s_wait_dscnt 0x1
	v_dual_mov_b32 v6, v2 :: v_dual_mov_b32 v5, v1
.LBB132_42:                             ;   in Loop: Header=BB132_2 Depth=1
	s_or_b32 exec_lo, exec_lo, s7
	v_add_nc_u32_e32 v64, 1, v63
	v_add_nc_u32_e32 v65, 1, v62
	s_wait_dscnt 0x0
	v_cmp_lt_i64_e64 s7, v[7:8], v[5:6]
	v_cndmask_b32_e64 v2, v2, v4, s6
	v_cndmask_b32_e64 v1, v1, v3, s6
	v_cndmask_b32_e64 v63, v64, v63, s6
	v_cndmask_b32_e64 v62, v62, v65, s6
	s_wait_loadcnt 0x0
	s_barrier_signal -1
	s_barrier_wait -1
	v_cmp_ge_i32_e64 s8, v63, v35
	v_cmp_lt_i32_e64 s9, v62, v36
	global_inv scope:SCOPE_SE
	s_or_b32 s6, s8, s7
	s_wait_alu 0xfffe
	s_and_b32 s6, s9, s6
	s_wait_alu 0xfffe
	v_cndmask_b32_e64 v4, v6, v8, s6
	v_cndmask_b32_e64 v3, v5, v7, s6
	v_mov_b32_e32 v5, v48
	ds_store_2addr_b64 v13, v[1:2], v[3:4] offset1:1
	s_wait_loadcnt_dscnt 0x0
	s_barrier_signal -1
	s_barrier_wait -1
	global_inv scope:SCOPE_SE
	s_and_saveexec_b32 s7, s4
	s_cbranch_execz .LBB132_46
; %bb.43:                               ;   in Loop: Header=BB132_2 Depth=1
	v_mov_b32_e32 v5, v48
	v_mov_b32_e32 v1, v49
	s_mov_b32 s8, 0
.LBB132_44:                             ;   Parent Loop BB132_2 Depth=1
                                        ; =>  This Inner Loop Header: Depth=2
	s_delay_alu instid0(VALU_DEP_1) | instskip(NEXT) | instid1(VALU_DEP_1)
	v_sub_nc_u32_e32 v2, v1, v5
	v_lshrrev_b32_e32 v2, 1, v2
	s_delay_alu instid0(VALU_DEP_1) | instskip(NEXT) | instid1(VALU_DEP_1)
	v_add_nc_u32_e32 v4, v2, v5
	v_not_b32_e32 v2, v4
	v_lshl_add_u32 v3, v4, 3, v52
	s_delay_alu instid0(VALU_DEP_2)
	v_lshl_add_u32 v6, v2, 3, v60
	ds_load_b64 v[2:3], v3
	ds_load_b64 v[6:7], v6
	s_wait_dscnt 0x0
	v_cmp_lt_i64_e64 s6, v[6:7], v[2:3]
	v_add_nc_u32_e32 v2, 1, v4
	s_wait_alu 0xf1ff
	s_delay_alu instid0(VALU_DEP_2) | instskip(NEXT) | instid1(VALU_DEP_2)
	v_cndmask_b32_e64 v1, v1, v4, s6
	v_cndmask_b32_e64 v5, v2, v5, s6
	s_delay_alu instid0(VALU_DEP_1) | instskip(SKIP_1) | instid1(SALU_CYCLE_1)
	v_cmp_ge_i32_e64 s6, v5, v1
	s_or_b32 s8, s6, s8
	s_and_not1_b32 exec_lo, exec_lo, s8
	s_cbranch_execnz .LBB132_44
; %bb.45:                               ;   in Loop: Header=BB132_2 Depth=1
	s_or_b32 exec_lo, exec_lo, s8
.LBB132_46:                             ;   in Loop: Header=BB132_2 Depth=1
	s_wait_alu 0xfffe
	s_or_b32 exec_lo, exec_lo, s7
	v_sub_nc_u32_e32 v62, v53, v5
	v_lshl_add_u32 v7, v5, 3, v52
	v_add_nc_u32_e32 v63, v5, v38
                                        ; implicit-def: $vgpr5_vgpr6
	s_delay_alu instid0(VALU_DEP_3) | instskip(SKIP_1) | instid1(VALU_DEP_3)
	v_lshlrev_b32_e32 v64, 3, v62
	v_cmp_gt_i32_e64 s8, v42, v62
	v_cmp_le_i32_e64 s7, v41, v63
	ds_load_b64 v[1:2], v7
	ds_load_b64 v[3:4], v64
	s_wait_dscnt 0x0
	v_cmp_lt_i64_e64 s6, v[3:4], v[1:2]
	s_or_b32 s6, s7, s6
	s_wait_alu 0xfffe
	s_and_b32 s6, s8, s6
	s_wait_alu 0xfffe
	s_xor_b32 s7, s6, -1
	s_wait_alu 0xfffe
	s_and_saveexec_b32 s8, s7
	s_delay_alu instid0(SALU_CYCLE_1)
	s_xor_b32 s7, exec_lo, s8
; %bb.47:                               ;   in Loop: Header=BB132_2 Depth=1
	ds_load_b64 v[5:6], v7 offset:8
                                        ; implicit-def: $vgpr64
; %bb.48:                               ;   in Loop: Header=BB132_2 Depth=1
	s_wait_alu 0xfffe
	s_or_saveexec_b32 s7, s7
	v_dual_mov_b32 v8, v4 :: v_dual_mov_b32 v7, v3
	s_wait_alu 0xfffe
	s_xor_b32 exec_lo, exec_lo, s7
	s_cbranch_execz .LBB132_50
; %bb.49:                               ;   in Loop: Header=BB132_2 Depth=1
	ds_load_b64 v[7:8], v64 offset:8
	s_wait_dscnt 0x1
	v_dual_mov_b32 v6, v2 :: v_dual_mov_b32 v5, v1
.LBB132_50:                             ;   in Loop: Header=BB132_2 Depth=1
	s_or_b32 exec_lo, exec_lo, s7
	v_add_nc_u32_e32 v64, 1, v63
	v_add_nc_u32_e32 v65, 1, v62
	s_wait_dscnt 0x0
	v_cmp_lt_i64_e64 s7, v[7:8], v[5:6]
	v_cndmask_b32_e64 v2, v2, v4, s6
	v_cndmask_b32_e64 v1, v1, v3, s6
	;; [unrolled: 1-line block ×4, first 2 shown]
	s_wait_loadcnt 0x0
	s_barrier_signal -1
	s_barrier_wait -1
	v_cmp_ge_i32_e64 s8, v63, v41
	v_cmp_lt_i32_e64 s9, v62, v42
	v_mov_b32_e32 v62, v50
	global_inv scope:SCOPE_SE
	s_or_b32 s6, s8, s7
	s_wait_alu 0xfffe
	s_and_b32 s6, s9, s6
	s_wait_alu 0xfffe
	v_cndmask_b32_e64 v4, v6, v8, s6
	v_cndmask_b32_e64 v3, v5, v7, s6
	ds_store_2addr_b64 v13, v[1:2], v[3:4] offset1:1
	s_wait_loadcnt_dscnt 0x0
	s_barrier_signal -1
	s_barrier_wait -1
	global_inv scope:SCOPE_SE
	s_and_saveexec_b32 s7, s5
	s_cbranch_execz .LBB132_54
; %bb.51:                               ;   in Loop: Header=BB132_2 Depth=1
	v_dual_mov_b32 v62, v50 :: v_dual_mov_b32 v1, v51
	s_mov_b32 s8, 0
.LBB132_52:                             ;   Parent Loop BB132_2 Depth=1
                                        ; =>  This Inner Loop Header: Depth=2
	s_delay_alu instid0(VALU_DEP_1) | instskip(NEXT) | instid1(VALU_DEP_1)
	v_sub_nc_u32_e32 v2, v1, v62
	v_lshrrev_b32_e32 v2, 1, v2
	s_delay_alu instid0(VALU_DEP_1) | instskip(NEXT) | instid1(VALU_DEP_1)
	v_add_nc_u32_e32 v6, v2, v62
	v_not_b32_e32 v2, v6
	v_lshlrev_b32_e32 v3, 3, v6
	s_delay_alu instid0(VALU_DEP_2)
	v_lshl_add_u32 v4, v2, 3, v61
	ds_load_b64 v[2:3], v3
	ds_load_b64 v[4:5], v4
	s_wait_dscnt 0x0
	v_cmp_lt_i64_e64 s6, v[4:5], v[2:3]
	v_add_nc_u32_e32 v2, 1, v6
	s_wait_alu 0xf1ff
	s_delay_alu instid0(VALU_DEP_2) | instskip(NEXT) | instid1(VALU_DEP_2)
	v_cndmask_b32_e64 v1, v1, v6, s6
	v_cndmask_b32_e64 v62, v2, v62, s6
	s_delay_alu instid0(VALU_DEP_1) | instskip(SKIP_1) | instid1(SALU_CYCLE_1)
	v_cmp_ge_i32_e64 s6, v62, v1
	s_or_b32 s8, s6, s8
	s_and_not1_b32 exec_lo, exec_lo, s8
	s_cbranch_execnz .LBB132_52
; %bb.53:                               ;   in Loop: Header=BB132_2 Depth=1
	s_or_b32 exec_lo, exec_lo, s8
.LBB132_54:                             ;   in Loop: Header=BB132_2 Depth=1
	s_wait_alu 0xfffe
	s_or_b32 exec_lo, exec_lo, s7
	v_sub_nc_u32_e32 v63, v54, v62
	v_lshlrev_b32_e32 v7, 3, v62
	v_cmp_le_i32_e64 s7, 0x80, v62
                                        ; implicit-def: $vgpr5_vgpr6
	s_delay_alu instid0(VALU_DEP_3)
	v_lshlrev_b32_e32 v64, 3, v63
	v_cmp_gt_i32_e64 s8, 0x100, v63
	ds_load_b64 v[1:2], v7
	ds_load_b64 v[3:4], v64
	s_wait_dscnt 0x0
	v_cmp_lt_i64_e64 s6, v[3:4], v[1:2]
	s_or_b32 s6, s7, s6
	s_wait_alu 0xfffe
	s_and_b32 s6, s8, s6
	s_wait_alu 0xfffe
	s_xor_b32 s7, s6, -1
	s_wait_alu 0xfffe
	s_and_saveexec_b32 s8, s7
	s_delay_alu instid0(SALU_CYCLE_1)
	s_xor_b32 s7, exec_lo, s8
; %bb.55:                               ;   in Loop: Header=BB132_2 Depth=1
	ds_load_b64 v[5:6], v7 offset:8
	v_add_nc_u32_e32 v62, 1, v62
                                        ; implicit-def: $vgpr64
; %bb.56:                               ;   in Loop: Header=BB132_2 Depth=1
	s_wait_alu 0xfffe
	s_or_saveexec_b32 s7, s7
	v_dual_mov_b32 v8, v4 :: v_dual_mov_b32 v7, v3
	s_wait_alu 0xfffe
	s_xor_b32 exec_lo, exec_lo, s7
	s_cbranch_execz .LBB132_1
; %bb.57:                               ;   in Loop: Header=BB132_2 Depth=1
	ds_load_b64 v[7:8], v64 offset:8
	s_wait_dscnt 0x1
	v_dual_mov_b32 v6, v2 :: v_dual_add_nc_u32 v63, 1, v63
	v_mov_b32_e32 v5, v1
	s_branch .LBB132_1
.LBB132_58:
	v_lshlrev_b32_e32 v0, 3, v0
	s_add_nc_u64 s[0:1], s[10:11], s[14:15]
	s_clause 0x1
	global_store_b64 v0, v[1:2], s[0:1]
	global_store_b64 v0, v[3:4], s[0:1] offset:1024
	s_endpgm
	.section	.rodata,"a",@progbits
	.p2align	6, 0x0
	.amdhsa_kernel _Z16sort_keys_kernelIxLj128ELj2EN10test_utils4lessELj10EEvPKT_PS2_T2_
		.amdhsa_group_segment_fixed_size 2056
		.amdhsa_private_segment_fixed_size 0
		.amdhsa_kernarg_size 20
		.amdhsa_user_sgpr_count 2
		.amdhsa_user_sgpr_dispatch_ptr 0
		.amdhsa_user_sgpr_queue_ptr 0
		.amdhsa_user_sgpr_kernarg_segment_ptr 1
		.amdhsa_user_sgpr_dispatch_id 0
		.amdhsa_user_sgpr_private_segment_size 0
		.amdhsa_wavefront_size32 1
		.amdhsa_uses_dynamic_stack 0
		.amdhsa_enable_private_segment 0
		.amdhsa_system_sgpr_workgroup_id_x 1
		.amdhsa_system_sgpr_workgroup_id_y 0
		.amdhsa_system_sgpr_workgroup_id_z 0
		.amdhsa_system_sgpr_workgroup_info 0
		.amdhsa_system_vgpr_workitem_id 0
		.amdhsa_next_free_vgpr 66
		.amdhsa_next_free_sgpr 16
		.amdhsa_reserve_vcc 1
		.amdhsa_float_round_mode_32 0
		.amdhsa_float_round_mode_16_64 0
		.amdhsa_float_denorm_mode_32 3
		.amdhsa_float_denorm_mode_16_64 3
		.amdhsa_fp16_overflow 0
		.amdhsa_workgroup_processor_mode 1
		.amdhsa_memory_ordered 1
		.amdhsa_forward_progress 1
		.amdhsa_inst_pref_size 32
		.amdhsa_round_robin_scheduling 0
		.amdhsa_exception_fp_ieee_invalid_op 0
		.amdhsa_exception_fp_denorm_src 0
		.amdhsa_exception_fp_ieee_div_zero 0
		.amdhsa_exception_fp_ieee_overflow 0
		.amdhsa_exception_fp_ieee_underflow 0
		.amdhsa_exception_fp_ieee_inexact 0
		.amdhsa_exception_int_div_zero 0
	.end_amdhsa_kernel
	.section	.text._Z16sort_keys_kernelIxLj128ELj2EN10test_utils4lessELj10EEvPKT_PS2_T2_,"axG",@progbits,_Z16sort_keys_kernelIxLj128ELj2EN10test_utils4lessELj10EEvPKT_PS2_T2_,comdat
.Lfunc_end132:
	.size	_Z16sort_keys_kernelIxLj128ELj2EN10test_utils4lessELj10EEvPKT_PS2_T2_, .Lfunc_end132-_Z16sort_keys_kernelIxLj128ELj2EN10test_utils4lessELj10EEvPKT_PS2_T2_
                                        ; -- End function
	.set _Z16sort_keys_kernelIxLj128ELj2EN10test_utils4lessELj10EEvPKT_PS2_T2_.num_vgpr, 66
	.set _Z16sort_keys_kernelIxLj128ELj2EN10test_utils4lessELj10EEvPKT_PS2_T2_.num_agpr, 0
	.set _Z16sort_keys_kernelIxLj128ELj2EN10test_utils4lessELj10EEvPKT_PS2_T2_.numbered_sgpr, 16
	.set _Z16sort_keys_kernelIxLj128ELj2EN10test_utils4lessELj10EEvPKT_PS2_T2_.num_named_barrier, 0
	.set _Z16sort_keys_kernelIxLj128ELj2EN10test_utils4lessELj10EEvPKT_PS2_T2_.private_seg_size, 0
	.set _Z16sort_keys_kernelIxLj128ELj2EN10test_utils4lessELj10EEvPKT_PS2_T2_.uses_vcc, 1
	.set _Z16sort_keys_kernelIxLj128ELj2EN10test_utils4lessELj10EEvPKT_PS2_T2_.uses_flat_scratch, 0
	.set _Z16sort_keys_kernelIxLj128ELj2EN10test_utils4lessELj10EEvPKT_PS2_T2_.has_dyn_sized_stack, 0
	.set _Z16sort_keys_kernelIxLj128ELj2EN10test_utils4lessELj10EEvPKT_PS2_T2_.has_recursion, 0
	.set _Z16sort_keys_kernelIxLj128ELj2EN10test_utils4lessELj10EEvPKT_PS2_T2_.has_indirect_call, 0
	.section	.AMDGPU.csdata,"",@progbits
; Kernel info:
; codeLenInByte = 4056
; TotalNumSgprs: 18
; NumVgprs: 66
; ScratchSize: 0
; MemoryBound: 0
; FloatMode: 240
; IeeeMode: 1
; LDSByteSize: 2056 bytes/workgroup (compile time only)
; SGPRBlocks: 0
; VGPRBlocks: 8
; NumSGPRsForWavesPerEU: 18
; NumVGPRsForWavesPerEU: 66
; Occupancy: 16
; WaveLimiterHint : 1
; COMPUTE_PGM_RSRC2:SCRATCH_EN: 0
; COMPUTE_PGM_RSRC2:USER_SGPR: 2
; COMPUTE_PGM_RSRC2:TRAP_HANDLER: 0
; COMPUTE_PGM_RSRC2:TGID_X_EN: 1
; COMPUTE_PGM_RSRC2:TGID_Y_EN: 0
; COMPUTE_PGM_RSRC2:TGID_Z_EN: 0
; COMPUTE_PGM_RSRC2:TIDIG_COMP_CNT: 0
	.section	.text._Z17sort_pairs_kernelIxLj128ELj2EN10test_utils4lessELj10EEvPKT_PS2_T2_,"axG",@progbits,_Z17sort_pairs_kernelIxLj128ELj2EN10test_utils4lessELj10EEvPKT_PS2_T2_,comdat
	.protected	_Z17sort_pairs_kernelIxLj128ELj2EN10test_utils4lessELj10EEvPKT_PS2_T2_ ; -- Begin function _Z17sort_pairs_kernelIxLj128ELj2EN10test_utils4lessELj10EEvPKT_PS2_T2_
	.globl	_Z17sort_pairs_kernelIxLj128ELj2EN10test_utils4lessELj10EEvPKT_PS2_T2_
	.p2align	8
	.type	_Z17sort_pairs_kernelIxLj128ELj2EN10test_utils4lessELj10EEvPKT_PS2_T2_,@function
_Z17sort_pairs_kernelIxLj128ELj2EN10test_utils4lessELj10EEvPKT_PS2_T2_: ; @_Z17sort_pairs_kernelIxLj128ELj2EN10test_utils4lessELj10EEvPKT_PS2_T2_
; %bb.0:
	s_load_b128 s[12:15], s[0:1], 0x0
	s_lshl_b32 s10, ttmp9, 8
	s_mov_b32 s11, 0
	v_lshlrev_b32_e32 v1, 3, v0
	s_lshl_b64 s[16:17], s[10:11], 3
	v_lshlrev_b32_e32 v5, 1, v0
	v_lshlrev_b32_e32 v17, 4, v0
	s_delay_alu instid0(VALU_DEP_2)
	v_and_b32_e32 v18, 0xfc, v5
	v_and_b32_e32 v6, 2, v5
	;; [unrolled: 1-line block ×5, first 2 shown]
	v_or_b32_e32 v27, 2, v18
	v_add_nc_u32_e32 v28, 4, v18
	v_and_b32_e32 v8, 14, v5
	v_and_b32_e32 v21, 0xe0, v5
	;; [unrolled: 1-line block ×3, first 2 shown]
	s_wait_kmcnt 0x0
	s_add_nc_u64 s[0:1], s[12:13], s[16:17]
	v_and_b32_e32 v22, 0xc0, v5
	s_clause 0x1
	global_load_b64 v[3:4], v1, s[0:1]
	global_load_b64 v[1:2], v1, s[0:1] offset:1024
	v_and_b32_e32 v10, 62, v5
	v_and_b32_e32 v23, 0x80, v5
	;; [unrolled: 1-line block ×3, first 2 shown]
	v_subrev_nc_u32_e64 v24, 0x80, v5 clamp
	v_min_i32_e32 v25, 0x80, v5
	v_add_nc_u32_e32 v26, 0x80, v5
	v_or_b32_e32 v30, 4, v19
	v_add_nc_u32_e32 v31, 8, v19
	v_lshlrev_b32_e32 v5, 3, v6
	v_sub_nc_u32_e32 v63, v28, v27
	v_or_b32_e32 v33, 8, v20
	v_add_nc_u32_e32 v34, 16, v20
	v_lshlrev_b32_e32 v12, 3, v7
	v_sub_nc_u32_e32 v64, v31, v30
	v_lshl_add_u32 v51, v27, 3, v5
	v_sub_nc_u32_e32 v5, v6, v63
	v_cmp_ge_i32_e64 s0, v6, v63
	v_or_b32_e32 v36, 16, v21
	v_add_nc_u32_e32 v37, 32, v21
	v_lshlrev_b32_e32 v13, 3, v8
	v_sub_nc_u32_e32 v65, v34, v33
	v_lshl_add_u32 v52, v30, 3, v12
	v_sub_nc_u32_e32 v12, v7, v64
	v_cndmask_b32_e64 v63, 0, v5, s0
	v_cmp_ge_i32_e64 s0, v7, v64
	v_or_b32_e32 v39, 32, v22
	v_add_nc_u32_e32 v40, 64, v22
	v_lshlrev_b32_e32 v14, 3, v9
	v_sub_nc_u32_e32 v66, v37, v36
	v_lshl_add_u32 v53, v33, 3, v13
	v_sub_nc_u32_e32 v13, v8, v65
	s_wait_alu 0xf1ff
	v_cndmask_b32_e64 v64, 0, v12, s0
	v_cmp_ge_i32_e64 s0, v8, v65
	v_or_b32_e32 v42, 64, v23
	v_add_nc_u32_e32 v43, 0x80, v23
	v_lshlrev_b32_e32 v15, 3, v10
	v_sub_nc_u32_e32 v67, v40, v39
	v_lshl_add_u32 v54, v36, 3, v14
	v_sub_nc_u32_e32 v14, v9, v66
	s_wait_alu 0xf1ff
	v_cndmask_b32_e64 v65, 0, v13, s0
	v_cmp_ge_i32_e64 s0, v9, v66
	v_lshlrev_b32_e32 v16, 3, v11
	v_sub_nc_u32_e32 v68, v43, v42
	v_lshl_add_u32 v55, v39, 3, v15
	v_sub_nc_u32_e32 v15, v10, v67
	s_wait_alu 0xf1ff
	v_cndmask_b32_e64 v66, 0, v14, s0
	v_cmp_ge_i32_e64 s0, v10, v67
	v_sub_nc_u32_e32 v57, v27, v18
	v_sub_nc_u32_e32 v58, v30, v19
	;; [unrolled: 1-line block ×6, first 2 shown]
	v_lshl_add_u32 v56, v42, 3, v16
	v_sub_nc_u32_e32 v16, v11, v68
	s_wait_alu 0xf1ff
	v_cndmask_b32_e64 v67, 0, v15, s0
	v_cmp_ge_i32_e64 s0, v11, v68
	v_min_i32_e32 v57, v6, v57
	v_min_i32_e32 v58, v7, v58
	;; [unrolled: 1-line block ×6, first 2 shown]
	s_wait_alu 0xf1ff
	v_cndmask_b32_e64 v68, 0, v16, s0
	v_add_nc_u32_e32 v46, v30, v7
	v_add_nc_u32_e32 v47, v33, v8
	v_lshlrev_b32_e32 v29, 3, v18
	v_lshlrev_b32_e32 v32, 3, v19
	;; [unrolled: 1-line block ×6, first 2 shown]
	v_add_nc_u32_e32 v45, v27, v6
	v_add_nc_u32_e32 v48, v36, v9
	v_add_nc_u32_e32 v49, v39, v10
	v_add_nc_u32_e32 v50, v42, v11
	v_cmp_lt_i32_e64 s0, v63, v57
	v_cmp_lt_i32_e64 s1, v64, v58
	;; [unrolled: 1-line block ×6, first 2 shown]
	v_add_nc_u32_e32 v69, 0x400, v17
	v_cmp_lt_i32_e32 vcc_lo, v24, v25
	s_wait_loadcnt 0x1
	v_add_co_u32 v7, s6, v3, 1
	s_delay_alu instid0(VALU_DEP_1)
	v_add_co_ci_u32_e64 v8, null, 0, v4, s6
	s_wait_loadcnt 0x0
	v_add_co_u32 v5, s6, v1, 1
	s_wait_alu 0xf1ff
	v_add_co_ci_u32_e64 v6, null, 0, v2, s6
	s_branch .LBB133_2
.LBB133_1:                              ;   in Loop: Header=BB133_2 Depth=1
	s_or_b32 exec_lo, exec_lo, s7
	s_wait_dscnt 0x0
	s_delay_alu instid0(VALU_DEP_1)
	v_cmp_lt_i64_e64 s7, v[13:14], v[1:2]
	v_cmp_le_i32_e64 s8, 0x80, v15
	v_cmp_gt_i32_e64 s9, 0x100, v8
	s_wait_loadcnt 0x0
	s_barrier_signal -1
	s_barrier_wait -1
	s_or_b32 s7, s8, s7
	global_inv scope:SCOPE_SE
	s_wait_alu 0xfffe
	s_and_b32 s7, s9, s7
	ds_store_2addr_b64 v17, v[3:4], v[5:6] offset1:1
	s_wait_alu 0xfffe
	v_cndmask_b32_e64 v7, v15, v8, s7
	v_lshlrev_b32_e32 v3, 3, v16
	s_wait_loadcnt_dscnt 0x0
	s_barrier_signal -1
	s_barrier_wait -1
	v_lshlrev_b32_e32 v4, 3, v7
	global_inv scope:SCOPE_SE
	v_cndmask_b32_e64 v2, v2, v14, s7
	v_cndmask_b32_e64 v1, v1, v13, s7
	ds_load_b64 v[7:8], v3
	ds_load_b64 v[5:6], v4
	v_cndmask_b32_e64 v4, v10, v12, s6
	v_cndmask_b32_e64 v3, v9, v11, s6
	s_add_co_i32 s11, s11, 1
	s_delay_alu instid0(SALU_CYCLE_1)
	s_cmp_eq_u32 s11, 10
	s_cbranch_scc1 .LBB133_58
.LBB133_2:                              ; =>This Loop Header: Depth=1
                                        ;     Child Loop BB133_4 Depth 2
                                        ;     Child Loop BB133_12 Depth 2
	;; [unrolled: 1-line block ×7, first 2 shown]
	s_delay_alu instid0(VALU_DEP_1)
	v_cmp_lt_i64_e64 s6, v[1:2], v[3:4]
	s_barrier_signal -1
	s_barrier_wait -1
	global_inv scope:SCOPE_SE
	s_wait_alu 0xf1ff
	v_cndmask_b32_e64 v10, v2, v4, s6
	v_cndmask_b32_e64 v9, v1, v3, s6
	v_cndmask_b32_e64 v4, v4, v2, s6
	v_cndmask_b32_e64 v3, v3, v1, s6
	v_mov_b32_e32 v2, v63
	ds_store_2addr_b64 v17, v[3:4], v[9:10] offset1:1
	s_wait_loadcnt_dscnt 0x0
	s_barrier_signal -1
	s_barrier_wait -1
	global_inv scope:SCOPE_SE
	s_and_saveexec_b32 s8, s0
	s_cbranch_execz .LBB133_6
; %bb.3:                                ;   in Loop: Header=BB133_2 Depth=1
	v_dual_mov_b32 v2, v63 :: v_dual_mov_b32 v1, v57
	s_mov_b32 s9, 0
.LBB133_4:                              ;   Parent Loop BB133_2 Depth=1
                                        ; =>  This Inner Loop Header: Depth=2
	s_delay_alu instid0(VALU_DEP_1) | instskip(NEXT) | instid1(VALU_DEP_1)
	v_sub_nc_u32_e32 v3, v1, v2
	v_lshrrev_b32_e32 v3, 1, v3
	s_delay_alu instid0(VALU_DEP_1) | instskip(NEXT) | instid1(VALU_DEP_1)
	v_add_nc_u32_e32 v11, v3, v2
	v_not_b32_e32 v3, v11
	v_lshl_add_u32 v4, v11, 3, v29
	s_delay_alu instid0(VALU_DEP_2)
	v_lshl_add_u32 v9, v3, 3, v51
	ds_load_b64 v[3:4], v4
	ds_load_b64 v[9:10], v9
	s_wait_dscnt 0x0
	v_cmp_lt_i64_e64 s7, v[9:10], v[3:4]
	v_add_nc_u32_e32 v3, 1, v11
	s_wait_alu 0xf1ff
	s_delay_alu instid0(VALU_DEP_2) | instskip(NEXT) | instid1(VALU_DEP_2)
	v_cndmask_b32_e64 v1, v1, v11, s7
	v_cndmask_b32_e64 v2, v3, v2, s7
	s_delay_alu instid0(VALU_DEP_1) | instskip(SKIP_1) | instid1(SALU_CYCLE_1)
	v_cmp_ge_i32_e64 s7, v2, v1
	s_or_b32 s9, s7, s9
	s_and_not1_b32 exec_lo, exec_lo, s9
	s_cbranch_execnz .LBB133_4
; %bb.5:                                ;   in Loop: Header=BB133_2 Depth=1
	s_or_b32 exec_lo, exec_lo, s9
.LBB133_6:                              ;   in Loop: Header=BB133_2 Depth=1
	s_delay_alu instid0(SALU_CYCLE_1) | instskip(SKIP_3) | instid1(VALU_DEP_3)
	s_or_b32 exec_lo, exec_lo, s8
	v_sub_nc_u32_e32 v1, v45, v2
	v_lshl_add_u32 v4, v2, 3, v29
	v_add_nc_u32_e32 v2, v2, v18
                                        ; implicit-def: $vgpr13_vgpr14
	v_lshlrev_b32_e32 v3, 3, v1
	v_cmp_gt_i32_e64 s9, v28, v1
	s_delay_alu instid0(VALU_DEP_3)
	v_cmp_le_i32_e64 s8, v27, v2
	ds_load_b64 v[9:10], v4
	ds_load_b64 v[11:12], v3
	s_wait_dscnt 0x0
	v_cmp_lt_i64_e64 s7, v[11:12], v[9:10]
	s_or_b32 s7, s8, s7
	s_wait_alu 0xfffe
	s_and_b32 s7, s9, s7
	s_wait_alu 0xfffe
	s_xor_b32 s8, s7, -1
	s_delay_alu instid0(SALU_CYCLE_1) | instskip(NEXT) | instid1(SALU_CYCLE_1)
	s_and_saveexec_b32 s9, s8
	s_xor_b32 s8, exec_lo, s9
; %bb.7:                                ;   in Loop: Header=BB133_2 Depth=1
	ds_load_b64 v[13:14], v4 offset:8
                                        ; implicit-def: $vgpr3
; %bb.8:                                ;   in Loop: Header=BB133_2 Depth=1
	s_or_saveexec_b32 s8, s8
	v_dual_mov_b32 v16, v12 :: v_dual_mov_b32 v15, v11
	s_xor_b32 exec_lo, exec_lo, s8
	s_cbranch_execz .LBB133_10
; %bb.9:                                ;   in Loop: Header=BB133_2 Depth=1
	ds_load_b64 v[15:16], v3 offset:8
	s_wait_dscnt 0x1
	v_dual_mov_b32 v14, v10 :: v_dual_mov_b32 v13, v9
.LBB133_10:                             ;   in Loop: Header=BB133_2 Depth=1
	s_or_b32 exec_lo, exec_lo, s8
	v_add_nc_u32_e32 v3, 1, v2
	v_add_nc_u32_e32 v4, 1, v1
	s_wait_dscnt 0x0
	v_cmp_lt_i64_e64 s8, v[15:16], v[13:14]
	v_cndmask_b32_e64 v70, v2, v1, s7
	s_wait_loadcnt 0x0
	v_cndmask_b32_e64 v71, v3, v2, s7
	v_cndmask_b32_e64 v72, v1, v4, s7
	;; [unrolled: 1-line block ×5, first 2 shown]
	v_cmp_ge_i32_e64 s9, v71, v27
	v_cmp_lt_i32_e64 s10, v72, v28
	v_cndmask_b32_e64 v3, v7, v5, s6
	s_barrier_signal -1
	s_barrier_wait -1
	s_or_b32 s6, s9, s8
	global_inv scope:SCOPE_SE
	s_wait_alu 0xfffe
	s_and_b32 s6, s10, s6
	ds_store_2addr_b64 v17, v[3:4], v[1:2] offset1:1
	s_wait_alu 0xfffe
	v_cndmask_b32_e64 v5, v71, v72, s6
	v_lshlrev_b32_e32 v1, 3, v70
	s_wait_loadcnt_dscnt 0x0
	s_barrier_signal -1
	s_barrier_wait -1
	v_lshlrev_b32_e32 v3, 3, v5
	global_inv scope:SCOPE_SE
	v_cndmask_b32_e64 v6, v14, v16, s6
	v_cndmask_b32_e64 v8, v10, v12, s7
	ds_load_b64 v[1:2], v1
	ds_load_b64 v[3:4], v3
	v_cndmask_b32_e64 v7, v9, v11, s7
	v_cndmask_b32_e64 v5, v13, v15, s6
	v_mov_b32_e32 v9, v64
	s_wait_loadcnt_dscnt 0x0
	s_barrier_signal -1
	s_barrier_wait -1
	global_inv scope:SCOPE_SE
	ds_store_2addr_b64 v17, v[7:8], v[5:6] offset1:1
	s_wait_loadcnt_dscnt 0x0
	s_barrier_signal -1
	s_barrier_wait -1
	global_inv scope:SCOPE_SE
	s_and_saveexec_b32 s7, s1
	s_cbranch_execz .LBB133_14
; %bb.11:                               ;   in Loop: Header=BB133_2 Depth=1
	v_mov_b32_e32 v9, v64
	v_mov_b32_e32 v5, v58
	s_mov_b32 s8, 0
.LBB133_12:                             ;   Parent Loop BB133_2 Depth=1
                                        ; =>  This Inner Loop Header: Depth=2
	s_delay_alu instid0(VALU_DEP_1) | instskip(NEXT) | instid1(VALU_DEP_1)
	v_sub_nc_u32_e32 v6, v5, v9
	v_lshrrev_b32_e32 v6, 1, v6
	s_delay_alu instid0(VALU_DEP_1) | instskip(NEXT) | instid1(VALU_DEP_1)
	v_add_nc_u32_e32 v8, v6, v9
	v_not_b32_e32 v6, v8
	v_lshl_add_u32 v7, v8, 3, v32
	s_delay_alu instid0(VALU_DEP_2)
	v_lshl_add_u32 v10, v6, 3, v52
	ds_load_b64 v[6:7], v7
	ds_load_b64 v[10:11], v10
	s_wait_dscnt 0x0
	v_cmp_lt_i64_e64 s6, v[10:11], v[6:7]
	v_add_nc_u32_e32 v6, 1, v8
	s_wait_alu 0xf1ff
	s_delay_alu instid0(VALU_DEP_2) | instskip(NEXT) | instid1(VALU_DEP_2)
	v_cndmask_b32_e64 v5, v5, v8, s6
	v_cndmask_b32_e64 v9, v6, v9, s6
	s_delay_alu instid0(VALU_DEP_1) | instskip(SKIP_1) | instid1(SALU_CYCLE_1)
	v_cmp_ge_i32_e64 s6, v9, v5
	s_or_b32 s8, s6, s8
	s_and_not1_b32 exec_lo, exec_lo, s8
	s_cbranch_execnz .LBB133_12
; %bb.13:                               ;   in Loop: Header=BB133_2 Depth=1
	s_or_b32 exec_lo, exec_lo, s8
.LBB133_14:                             ;   in Loop: Header=BB133_2 Depth=1
	s_wait_alu 0xfffe
	s_or_b32 exec_lo, exec_lo, s7
	v_sub_nc_u32_e32 v13, v46, v9
	v_lshl_add_u32 v11, v9, 3, v32
	v_add_nc_u32_e32 v14, v9, v19
                                        ; implicit-def: $vgpr9_vgpr10
	s_delay_alu instid0(VALU_DEP_3) | instskip(SKIP_1) | instid1(VALU_DEP_3)
	v_lshlrev_b32_e32 v15, 3, v13
	v_cmp_gt_i32_e64 s8, v31, v13
	v_cmp_le_i32_e64 s7, v30, v14
	ds_load_b64 v[5:6], v11
	ds_load_b64 v[7:8], v15
	s_wait_dscnt 0x0
	v_cmp_lt_i64_e64 s6, v[7:8], v[5:6]
	s_or_b32 s6, s7, s6
	s_wait_alu 0xfffe
	s_and_b32 s6, s8, s6
	s_wait_alu 0xfffe
	s_xor_b32 s7, s6, -1
	s_wait_alu 0xfffe
	s_and_saveexec_b32 s8, s7
	s_delay_alu instid0(SALU_CYCLE_1)
	s_xor_b32 s7, exec_lo, s8
; %bb.15:                               ;   in Loop: Header=BB133_2 Depth=1
	ds_load_b64 v[9:10], v11 offset:8
                                        ; implicit-def: $vgpr15
; %bb.16:                               ;   in Loop: Header=BB133_2 Depth=1
	s_wait_alu 0xfffe
	s_or_saveexec_b32 s7, s7
	v_dual_mov_b32 v12, v8 :: v_dual_mov_b32 v11, v7
	s_wait_alu 0xfffe
	s_xor_b32 exec_lo, exec_lo, s7
	s_cbranch_execz .LBB133_18
; %bb.17:                               ;   in Loop: Header=BB133_2 Depth=1
	ds_load_b64 v[11:12], v15 offset:8
	s_wait_dscnt 0x1
	v_dual_mov_b32 v10, v6 :: v_dual_mov_b32 v9, v5
.LBB133_18:                             ;   in Loop: Header=BB133_2 Depth=1
	s_or_b32 exec_lo, exec_lo, s7
	v_add_nc_u32_e32 v15, 1, v14
	v_add_nc_u32_e32 v16, 1, v13
	s_wait_dscnt 0x0
	v_cmp_lt_i64_e64 s7, v[11:12], v[9:10]
	s_wait_loadcnt 0x0
	s_barrier_signal -1
	v_cndmask_b32_e64 v15, v15, v14, s6
	v_cndmask_b32_e64 v16, v13, v16, s6
	;; [unrolled: 1-line block ×3, first 2 shown]
	s_barrier_wait -1
	global_inv scope:SCOPE_SE
	v_cmp_ge_i32_e64 s8, v15, v30
	v_cmp_lt_i32_e64 s9, v16, v31
	ds_store_2addr_b64 v17, v[1:2], v[3:4] offset1:1
	v_lshlrev_b32_e32 v1, 3, v13
	s_wait_loadcnt_dscnt 0x0
	s_or_b32 s7, s8, s7
	s_barrier_signal -1
	s_wait_alu 0xfffe
	s_and_b32 s7, s9, s7
	s_barrier_wait -1
	s_wait_alu 0xfffe
	v_cndmask_b32_e64 v10, v10, v12, s7
	v_cndmask_b32_e64 v12, v15, v16, s7
	global_inv scope:SCOPE_SE
	v_cndmask_b32_e64 v6, v6, v8, s6
	v_cndmask_b32_e64 v5, v5, v7, s6
	;; [unrolled: 1-line block ×3, first 2 shown]
	v_lshlrev_b32_e32 v3, 3, v12
	ds_load_b64 v[1:2], v1
	ds_load_b64 v[3:4], v3
	s_wait_loadcnt_dscnt 0x0
	s_barrier_signal -1
	s_barrier_wait -1
	global_inv scope:SCOPE_SE
	ds_store_2addr_b64 v17, v[5:6], v[9:10] offset1:1
	v_mov_b32_e32 v9, v65
	s_wait_loadcnt_dscnt 0x0
	s_barrier_signal -1
	s_barrier_wait -1
	global_inv scope:SCOPE_SE
	s_and_saveexec_b32 s7, s2
	s_cbranch_execz .LBB133_22
; %bb.19:                               ;   in Loop: Header=BB133_2 Depth=1
	v_mov_b32_e32 v9, v65
	v_mov_b32_e32 v5, v59
	s_mov_b32 s8, 0
.LBB133_20:                             ;   Parent Loop BB133_2 Depth=1
                                        ; =>  This Inner Loop Header: Depth=2
	s_delay_alu instid0(VALU_DEP_1) | instskip(NEXT) | instid1(VALU_DEP_1)
	v_sub_nc_u32_e32 v6, v5, v9
	v_lshrrev_b32_e32 v6, 1, v6
	s_delay_alu instid0(VALU_DEP_1) | instskip(NEXT) | instid1(VALU_DEP_1)
	v_add_nc_u32_e32 v8, v6, v9
	v_not_b32_e32 v6, v8
	v_lshl_add_u32 v7, v8, 3, v35
	s_delay_alu instid0(VALU_DEP_2)
	v_lshl_add_u32 v10, v6, 3, v53
	ds_load_b64 v[6:7], v7
	ds_load_b64 v[10:11], v10
	s_wait_dscnt 0x0
	v_cmp_lt_i64_e64 s6, v[10:11], v[6:7]
	v_add_nc_u32_e32 v6, 1, v8
	s_wait_alu 0xf1ff
	s_delay_alu instid0(VALU_DEP_2) | instskip(NEXT) | instid1(VALU_DEP_2)
	v_cndmask_b32_e64 v5, v5, v8, s6
	v_cndmask_b32_e64 v9, v6, v9, s6
	s_delay_alu instid0(VALU_DEP_1) | instskip(SKIP_1) | instid1(SALU_CYCLE_1)
	v_cmp_ge_i32_e64 s6, v9, v5
	s_or_b32 s8, s6, s8
	s_and_not1_b32 exec_lo, exec_lo, s8
	s_cbranch_execnz .LBB133_20
; %bb.21:                               ;   in Loop: Header=BB133_2 Depth=1
	s_or_b32 exec_lo, exec_lo, s8
.LBB133_22:                             ;   in Loop: Header=BB133_2 Depth=1
	s_wait_alu 0xfffe
	s_or_b32 exec_lo, exec_lo, s7
	v_sub_nc_u32_e32 v13, v47, v9
	v_lshl_add_u32 v11, v9, 3, v35
	v_add_nc_u32_e32 v14, v9, v20
                                        ; implicit-def: $vgpr9_vgpr10
	s_delay_alu instid0(VALU_DEP_3) | instskip(SKIP_1) | instid1(VALU_DEP_3)
	v_lshlrev_b32_e32 v15, 3, v13
	v_cmp_gt_i32_e64 s8, v34, v13
	v_cmp_le_i32_e64 s7, v33, v14
	ds_load_b64 v[5:6], v11
	ds_load_b64 v[7:8], v15
	s_wait_dscnt 0x0
	v_cmp_lt_i64_e64 s6, v[7:8], v[5:6]
	s_or_b32 s6, s7, s6
	s_wait_alu 0xfffe
	s_and_b32 s6, s8, s6
	s_wait_alu 0xfffe
	s_xor_b32 s7, s6, -1
	s_wait_alu 0xfffe
	s_and_saveexec_b32 s8, s7
	s_delay_alu instid0(SALU_CYCLE_1)
	s_xor_b32 s7, exec_lo, s8
; %bb.23:                               ;   in Loop: Header=BB133_2 Depth=1
	ds_load_b64 v[9:10], v11 offset:8
                                        ; implicit-def: $vgpr15
; %bb.24:                               ;   in Loop: Header=BB133_2 Depth=1
	s_wait_alu 0xfffe
	s_or_saveexec_b32 s7, s7
	v_dual_mov_b32 v12, v8 :: v_dual_mov_b32 v11, v7
	s_wait_alu 0xfffe
	s_xor_b32 exec_lo, exec_lo, s7
	s_cbranch_execz .LBB133_26
; %bb.25:                               ;   in Loop: Header=BB133_2 Depth=1
	ds_load_b64 v[11:12], v15 offset:8
	s_wait_dscnt 0x1
	v_dual_mov_b32 v10, v6 :: v_dual_mov_b32 v9, v5
.LBB133_26:                             ;   in Loop: Header=BB133_2 Depth=1
	s_or_b32 exec_lo, exec_lo, s7
	v_add_nc_u32_e32 v15, 1, v14
	v_add_nc_u32_e32 v16, 1, v13
	s_wait_dscnt 0x0
	v_cmp_lt_i64_e64 s7, v[11:12], v[9:10]
	s_wait_loadcnt 0x0
	s_barrier_signal -1
	v_cndmask_b32_e64 v15, v15, v14, s6
	v_cndmask_b32_e64 v16, v13, v16, s6
	;; [unrolled: 1-line block ×3, first 2 shown]
	s_barrier_wait -1
	global_inv scope:SCOPE_SE
	v_cmp_ge_i32_e64 s8, v15, v33
	v_cmp_lt_i32_e64 s9, v16, v34
	ds_store_2addr_b64 v17, v[1:2], v[3:4] offset1:1
	v_lshlrev_b32_e32 v1, 3, v13
	s_wait_loadcnt_dscnt 0x0
	s_or_b32 s7, s8, s7
	s_barrier_signal -1
	s_wait_alu 0xfffe
	s_and_b32 s7, s9, s7
	s_barrier_wait -1
	s_wait_alu 0xfffe
	v_cndmask_b32_e64 v10, v10, v12, s7
	v_cndmask_b32_e64 v12, v15, v16, s7
	global_inv scope:SCOPE_SE
	v_cndmask_b32_e64 v6, v6, v8, s6
	v_cndmask_b32_e64 v5, v5, v7, s6
	;; [unrolled: 1-line block ×3, first 2 shown]
	v_lshlrev_b32_e32 v3, 3, v12
	ds_load_b64 v[1:2], v1
	ds_load_b64 v[3:4], v3
	s_wait_loadcnt_dscnt 0x0
	s_barrier_signal -1
	s_barrier_wait -1
	global_inv scope:SCOPE_SE
	ds_store_2addr_b64 v17, v[5:6], v[9:10] offset1:1
	v_mov_b32_e32 v9, v66
	s_wait_loadcnt_dscnt 0x0
	s_barrier_signal -1
	s_barrier_wait -1
	global_inv scope:SCOPE_SE
	s_and_saveexec_b32 s7, s3
	s_cbranch_execz .LBB133_30
; %bb.27:                               ;   in Loop: Header=BB133_2 Depth=1
	v_mov_b32_e32 v9, v66
	v_mov_b32_e32 v5, v60
	s_mov_b32 s8, 0
.LBB133_28:                             ;   Parent Loop BB133_2 Depth=1
                                        ; =>  This Inner Loop Header: Depth=2
	s_delay_alu instid0(VALU_DEP_1) | instskip(NEXT) | instid1(VALU_DEP_1)
	v_sub_nc_u32_e32 v6, v5, v9
	v_lshrrev_b32_e32 v6, 1, v6
	s_delay_alu instid0(VALU_DEP_1) | instskip(NEXT) | instid1(VALU_DEP_1)
	v_add_nc_u32_e32 v8, v6, v9
	v_not_b32_e32 v6, v8
	v_lshl_add_u32 v7, v8, 3, v38
	s_delay_alu instid0(VALU_DEP_2)
	v_lshl_add_u32 v10, v6, 3, v54
	ds_load_b64 v[6:7], v7
	ds_load_b64 v[10:11], v10
	s_wait_dscnt 0x0
	v_cmp_lt_i64_e64 s6, v[10:11], v[6:7]
	v_add_nc_u32_e32 v6, 1, v8
	s_wait_alu 0xf1ff
	s_delay_alu instid0(VALU_DEP_2) | instskip(NEXT) | instid1(VALU_DEP_2)
	v_cndmask_b32_e64 v5, v5, v8, s6
	v_cndmask_b32_e64 v9, v6, v9, s6
	s_delay_alu instid0(VALU_DEP_1) | instskip(SKIP_1) | instid1(SALU_CYCLE_1)
	v_cmp_ge_i32_e64 s6, v9, v5
	s_or_b32 s8, s6, s8
	s_and_not1_b32 exec_lo, exec_lo, s8
	s_cbranch_execnz .LBB133_28
; %bb.29:                               ;   in Loop: Header=BB133_2 Depth=1
	s_or_b32 exec_lo, exec_lo, s8
.LBB133_30:                             ;   in Loop: Header=BB133_2 Depth=1
	s_wait_alu 0xfffe
	s_or_b32 exec_lo, exec_lo, s7
	v_sub_nc_u32_e32 v13, v48, v9
	v_lshl_add_u32 v11, v9, 3, v38
	v_add_nc_u32_e32 v14, v9, v21
                                        ; implicit-def: $vgpr9_vgpr10
	s_delay_alu instid0(VALU_DEP_3) | instskip(SKIP_1) | instid1(VALU_DEP_3)
	v_lshlrev_b32_e32 v15, 3, v13
	v_cmp_gt_i32_e64 s8, v37, v13
	v_cmp_le_i32_e64 s7, v36, v14
	ds_load_b64 v[5:6], v11
	ds_load_b64 v[7:8], v15
	s_wait_dscnt 0x0
	v_cmp_lt_i64_e64 s6, v[7:8], v[5:6]
	s_or_b32 s6, s7, s6
	s_wait_alu 0xfffe
	s_and_b32 s6, s8, s6
	s_wait_alu 0xfffe
	s_xor_b32 s7, s6, -1
	s_wait_alu 0xfffe
	s_and_saveexec_b32 s8, s7
	s_delay_alu instid0(SALU_CYCLE_1)
	s_xor_b32 s7, exec_lo, s8
; %bb.31:                               ;   in Loop: Header=BB133_2 Depth=1
	ds_load_b64 v[9:10], v11 offset:8
                                        ; implicit-def: $vgpr15
; %bb.32:                               ;   in Loop: Header=BB133_2 Depth=1
	s_wait_alu 0xfffe
	s_or_saveexec_b32 s7, s7
	v_dual_mov_b32 v12, v8 :: v_dual_mov_b32 v11, v7
	s_wait_alu 0xfffe
	s_xor_b32 exec_lo, exec_lo, s7
	s_cbranch_execz .LBB133_34
; %bb.33:                               ;   in Loop: Header=BB133_2 Depth=1
	ds_load_b64 v[11:12], v15 offset:8
	s_wait_dscnt 0x1
	v_dual_mov_b32 v10, v6 :: v_dual_mov_b32 v9, v5
.LBB133_34:                             ;   in Loop: Header=BB133_2 Depth=1
	s_or_b32 exec_lo, exec_lo, s7
	v_add_nc_u32_e32 v15, 1, v14
	v_add_nc_u32_e32 v16, 1, v13
	s_wait_dscnt 0x0
	v_cmp_lt_i64_e64 s7, v[11:12], v[9:10]
	s_wait_loadcnt 0x0
	s_barrier_signal -1
	v_cndmask_b32_e64 v15, v15, v14, s6
	v_cndmask_b32_e64 v16, v13, v16, s6
	;; [unrolled: 1-line block ×3, first 2 shown]
	s_barrier_wait -1
	global_inv scope:SCOPE_SE
	v_cmp_ge_i32_e64 s8, v15, v36
	v_cmp_lt_i32_e64 s9, v16, v37
	ds_store_2addr_b64 v17, v[1:2], v[3:4] offset1:1
	v_lshlrev_b32_e32 v1, 3, v13
	s_wait_loadcnt_dscnt 0x0
	s_or_b32 s7, s8, s7
	s_barrier_signal -1
	s_wait_alu 0xfffe
	s_and_b32 s7, s9, s7
	s_barrier_wait -1
	s_wait_alu 0xfffe
	v_cndmask_b32_e64 v10, v10, v12, s7
	v_cndmask_b32_e64 v12, v15, v16, s7
	global_inv scope:SCOPE_SE
	v_cndmask_b32_e64 v6, v6, v8, s6
	v_cndmask_b32_e64 v5, v5, v7, s6
	;; [unrolled: 1-line block ×3, first 2 shown]
	v_lshlrev_b32_e32 v3, 3, v12
	ds_load_b64 v[1:2], v1
	ds_load_b64 v[3:4], v3
	s_wait_loadcnt_dscnt 0x0
	s_barrier_signal -1
	s_barrier_wait -1
	global_inv scope:SCOPE_SE
	ds_store_2addr_b64 v17, v[5:6], v[9:10] offset1:1
	v_mov_b32_e32 v9, v67
	s_wait_loadcnt_dscnt 0x0
	s_barrier_signal -1
	s_barrier_wait -1
	global_inv scope:SCOPE_SE
	s_and_saveexec_b32 s7, s4
	s_cbranch_execz .LBB133_38
; %bb.35:                               ;   in Loop: Header=BB133_2 Depth=1
	v_mov_b32_e32 v9, v67
	v_mov_b32_e32 v5, v61
	s_mov_b32 s8, 0
.LBB133_36:                             ;   Parent Loop BB133_2 Depth=1
                                        ; =>  This Inner Loop Header: Depth=2
	s_delay_alu instid0(VALU_DEP_1) | instskip(NEXT) | instid1(VALU_DEP_1)
	v_sub_nc_u32_e32 v6, v5, v9
	v_lshrrev_b32_e32 v6, 1, v6
	s_delay_alu instid0(VALU_DEP_1) | instskip(NEXT) | instid1(VALU_DEP_1)
	v_add_nc_u32_e32 v8, v6, v9
	v_not_b32_e32 v6, v8
	v_lshl_add_u32 v7, v8, 3, v41
	s_delay_alu instid0(VALU_DEP_2)
	v_lshl_add_u32 v10, v6, 3, v55
	ds_load_b64 v[6:7], v7
	ds_load_b64 v[10:11], v10
	s_wait_dscnt 0x0
	v_cmp_lt_i64_e64 s6, v[10:11], v[6:7]
	v_add_nc_u32_e32 v6, 1, v8
	s_wait_alu 0xf1ff
	s_delay_alu instid0(VALU_DEP_2) | instskip(NEXT) | instid1(VALU_DEP_2)
	v_cndmask_b32_e64 v5, v5, v8, s6
	v_cndmask_b32_e64 v9, v6, v9, s6
	s_delay_alu instid0(VALU_DEP_1) | instskip(SKIP_1) | instid1(SALU_CYCLE_1)
	v_cmp_ge_i32_e64 s6, v9, v5
	s_or_b32 s8, s6, s8
	s_and_not1_b32 exec_lo, exec_lo, s8
	s_cbranch_execnz .LBB133_36
; %bb.37:                               ;   in Loop: Header=BB133_2 Depth=1
	s_or_b32 exec_lo, exec_lo, s8
.LBB133_38:                             ;   in Loop: Header=BB133_2 Depth=1
	s_wait_alu 0xfffe
	s_or_b32 exec_lo, exec_lo, s7
	v_sub_nc_u32_e32 v13, v49, v9
	v_lshl_add_u32 v11, v9, 3, v41
	v_add_nc_u32_e32 v14, v9, v22
                                        ; implicit-def: $vgpr9_vgpr10
	s_delay_alu instid0(VALU_DEP_3) | instskip(SKIP_1) | instid1(VALU_DEP_3)
	v_lshlrev_b32_e32 v15, 3, v13
	v_cmp_gt_i32_e64 s8, v40, v13
	v_cmp_le_i32_e64 s7, v39, v14
	ds_load_b64 v[5:6], v11
	ds_load_b64 v[7:8], v15
	s_wait_dscnt 0x0
	v_cmp_lt_i64_e64 s6, v[7:8], v[5:6]
	s_or_b32 s6, s7, s6
	s_wait_alu 0xfffe
	s_and_b32 s6, s8, s6
	s_wait_alu 0xfffe
	s_xor_b32 s7, s6, -1
	s_wait_alu 0xfffe
	s_and_saveexec_b32 s8, s7
	s_delay_alu instid0(SALU_CYCLE_1)
	s_xor_b32 s7, exec_lo, s8
; %bb.39:                               ;   in Loop: Header=BB133_2 Depth=1
	ds_load_b64 v[9:10], v11 offset:8
                                        ; implicit-def: $vgpr15
; %bb.40:                               ;   in Loop: Header=BB133_2 Depth=1
	s_wait_alu 0xfffe
	s_or_saveexec_b32 s7, s7
	v_dual_mov_b32 v12, v8 :: v_dual_mov_b32 v11, v7
	s_wait_alu 0xfffe
	s_xor_b32 exec_lo, exec_lo, s7
	s_cbranch_execz .LBB133_42
; %bb.41:                               ;   in Loop: Header=BB133_2 Depth=1
	ds_load_b64 v[11:12], v15 offset:8
	s_wait_dscnt 0x1
	v_dual_mov_b32 v10, v6 :: v_dual_mov_b32 v9, v5
.LBB133_42:                             ;   in Loop: Header=BB133_2 Depth=1
	s_or_b32 exec_lo, exec_lo, s7
	v_add_nc_u32_e32 v15, 1, v14
	v_add_nc_u32_e32 v16, 1, v13
	s_wait_dscnt 0x0
	v_cmp_lt_i64_e64 s7, v[11:12], v[9:10]
	s_wait_loadcnt 0x0
	s_barrier_signal -1
	v_cndmask_b32_e64 v15, v15, v14, s6
	v_cndmask_b32_e64 v16, v13, v16, s6
	;; [unrolled: 1-line block ×3, first 2 shown]
	s_barrier_wait -1
	global_inv scope:SCOPE_SE
	v_cmp_ge_i32_e64 s8, v15, v39
	v_cmp_lt_i32_e64 s9, v16, v40
	ds_store_2addr_b64 v17, v[1:2], v[3:4] offset1:1
	v_lshlrev_b32_e32 v1, 3, v13
	s_wait_loadcnt_dscnt 0x0
	s_or_b32 s7, s8, s7
	s_barrier_signal -1
	s_wait_alu 0xfffe
	s_and_b32 s7, s9, s7
	s_barrier_wait -1
	s_wait_alu 0xfffe
	v_cndmask_b32_e64 v10, v10, v12, s7
	v_cndmask_b32_e64 v12, v15, v16, s7
	global_inv scope:SCOPE_SE
	v_cndmask_b32_e64 v6, v6, v8, s6
	v_cndmask_b32_e64 v5, v5, v7, s6
	;; [unrolled: 1-line block ×3, first 2 shown]
	v_lshlrev_b32_e32 v3, 3, v12
	ds_load_b64 v[1:2], v1
	ds_load_b64 v[3:4], v3
	s_wait_loadcnt_dscnt 0x0
	s_barrier_signal -1
	s_barrier_wait -1
	global_inv scope:SCOPE_SE
	ds_store_2addr_b64 v17, v[5:6], v[9:10] offset1:1
	v_mov_b32_e32 v6, v68
	s_wait_loadcnt_dscnt 0x0
	s_barrier_signal -1
	s_barrier_wait -1
	global_inv scope:SCOPE_SE
	s_and_saveexec_b32 s7, s5
	s_cbranch_execz .LBB133_46
; %bb.43:                               ;   in Loop: Header=BB133_2 Depth=1
	v_dual_mov_b32 v6, v68 :: v_dual_mov_b32 v5, v62
	s_mov_b32 s8, 0
.LBB133_44:                             ;   Parent Loop BB133_2 Depth=1
                                        ; =>  This Inner Loop Header: Depth=2
	s_delay_alu instid0(VALU_DEP_1) | instskip(NEXT) | instid1(VALU_DEP_1)
	v_sub_nc_u32_e32 v7, v5, v6
	v_lshrrev_b32_e32 v7, 1, v7
	s_delay_alu instid0(VALU_DEP_1) | instskip(NEXT) | instid1(VALU_DEP_1)
	v_add_nc_u32_e32 v11, v7, v6
	v_not_b32_e32 v7, v11
	v_lshl_add_u32 v8, v11, 3, v44
	s_delay_alu instid0(VALU_DEP_2)
	v_lshl_add_u32 v9, v7, 3, v56
	ds_load_b64 v[7:8], v8
	ds_load_b64 v[9:10], v9
	s_wait_dscnt 0x0
	v_cmp_lt_i64_e64 s6, v[9:10], v[7:8]
	v_add_nc_u32_e32 v7, 1, v11
	s_wait_alu 0xf1ff
	s_delay_alu instid0(VALU_DEP_2) | instskip(NEXT) | instid1(VALU_DEP_2)
	v_cndmask_b32_e64 v5, v5, v11, s6
	v_cndmask_b32_e64 v6, v7, v6, s6
	s_delay_alu instid0(VALU_DEP_1) | instskip(SKIP_1) | instid1(SALU_CYCLE_1)
	v_cmp_ge_i32_e64 s6, v6, v5
	s_or_b32 s8, s6, s8
	s_and_not1_b32 exec_lo, exec_lo, s8
	s_cbranch_execnz .LBB133_44
; %bb.45:                               ;   in Loop: Header=BB133_2 Depth=1
	s_or_b32 exec_lo, exec_lo, s8
.LBB133_46:                             ;   in Loop: Header=BB133_2 Depth=1
	s_wait_alu 0xfffe
	s_or_b32 exec_lo, exec_lo, s7
	v_sub_nc_u32_e32 v5, v50, v6
	v_lshl_add_u32 v13, v6, 3, v44
	v_add_nc_u32_e32 v6, v6, v23
                                        ; implicit-def: $vgpr11_vgpr12
	s_delay_alu instid0(VALU_DEP_3) | instskip(SKIP_1) | instid1(VALU_DEP_3)
	v_lshlrev_b32_e32 v15, 3, v5
	v_cmp_gt_i32_e64 s8, v43, v5
	v_cmp_le_i32_e64 s7, v42, v6
	ds_load_b64 v[7:8], v13
	ds_load_b64 v[9:10], v15
	s_wait_dscnt 0x0
	v_cmp_lt_i64_e64 s6, v[9:10], v[7:8]
	s_or_b32 s6, s7, s6
	s_wait_alu 0xfffe
	s_and_b32 s6, s8, s6
	s_wait_alu 0xfffe
	s_xor_b32 s7, s6, -1
	s_wait_alu 0xfffe
	s_and_saveexec_b32 s8, s7
	s_delay_alu instid0(SALU_CYCLE_1)
	s_xor_b32 s7, exec_lo, s8
; %bb.47:                               ;   in Loop: Header=BB133_2 Depth=1
	ds_load_b64 v[11:12], v13 offset:8
                                        ; implicit-def: $vgpr15
; %bb.48:                               ;   in Loop: Header=BB133_2 Depth=1
	s_wait_alu 0xfffe
	s_or_saveexec_b32 s7, s7
	v_dual_mov_b32 v14, v10 :: v_dual_mov_b32 v13, v9
	s_wait_alu 0xfffe
	s_xor_b32 exec_lo, exec_lo, s7
	s_cbranch_execz .LBB133_50
; %bb.49:                               ;   in Loop: Header=BB133_2 Depth=1
	ds_load_b64 v[13:14], v15 offset:8
	s_wait_dscnt 0x1
	v_dual_mov_b32 v12, v8 :: v_dual_mov_b32 v11, v7
.LBB133_50:                             ;   in Loop: Header=BB133_2 Depth=1
	s_or_b32 exec_lo, exec_lo, s7
	v_add_nc_u32_e32 v15, 1, v6
	v_add_nc_u32_e32 v16, 1, v5
	s_wait_dscnt 0x0
	v_cmp_lt_i64_e64 s7, v[13:14], v[11:12]
	s_wait_loadcnt 0x0
	s_barrier_signal -1
	v_cndmask_b32_e64 v15, v15, v6, s6
	v_cndmask_b32_e64 v16, v5, v16, s6
	;; [unrolled: 1-line block ×3, first 2 shown]
	s_barrier_wait -1
	global_inv scope:SCOPE_SE
	v_cmp_ge_i32_e64 s8, v15, v42
	v_cmp_lt_i32_e64 s9, v16, v43
	ds_store_2addr_b64 v17, v[1:2], v[3:4] offset1:1
	v_lshlrev_b32_e32 v1, 3, v5
	s_wait_loadcnt_dscnt 0x0
	s_or_b32 s7, s8, s7
	s_barrier_signal -1
	s_wait_alu 0xfffe
	s_and_b32 s7, s9, s7
	s_barrier_wait -1
	s_wait_alu 0xfffe
	v_cndmask_b32_e64 v6, v15, v16, s7
	global_inv scope:SCOPE_SE
	v_cndmask_b32_e64 v12, v12, v14, s7
	v_cndmask_b32_e64 v11, v11, v13, s7
	v_lshlrev_b32_e32 v2, 3, v6
	ds_load_b64 v[3:4], v1
	ds_load_b64 v[5:6], v2
	v_cndmask_b32_e64 v2, v8, v10, s6
	v_cndmask_b32_e64 v1, v7, v9, s6
	v_mov_b32_e32 v7, v24
	s_wait_loadcnt_dscnt 0x0
	s_barrier_signal -1
	s_barrier_wait -1
	global_inv scope:SCOPE_SE
	ds_store_2addr_b64 v17, v[1:2], v[11:12] offset1:1
	s_wait_loadcnt_dscnt 0x0
	s_barrier_signal -1
	s_barrier_wait -1
	global_inv scope:SCOPE_SE
	s_and_saveexec_b32 s7, vcc_lo
	s_cbranch_execz .LBB133_54
; %bb.51:                               ;   in Loop: Header=BB133_2 Depth=1
	v_mov_b32_e32 v7, v24
	v_mov_b32_e32 v1, v25
	s_mov_b32 s8, 0
.LBB133_52:                             ;   Parent Loop BB133_2 Depth=1
                                        ; =>  This Inner Loop Header: Depth=2
	s_delay_alu instid0(VALU_DEP_1) | instskip(NEXT) | instid1(VALU_DEP_1)
	v_sub_nc_u32_e32 v2, v1, v7
	v_lshrrev_b32_e32 v2, 1, v2
	s_delay_alu instid0(VALU_DEP_1) | instskip(NEXT) | instid1(VALU_DEP_1)
	v_add_nc_u32_e32 v2, v2, v7
	v_not_b32_e32 v8, v2
	v_lshlrev_b32_e32 v9, 3, v2
	s_delay_alu instid0(VALU_DEP_2)
	v_lshl_add_u32 v10, v8, 3, v69
	ds_load_b64 v[8:9], v9
	ds_load_b64 v[10:11], v10
	s_wait_dscnt 0x0
	v_cmp_lt_i64_e64 s6, v[10:11], v[8:9]
	v_add_nc_u32_e32 v8, 1, v2
	s_wait_alu 0xf1ff
	s_delay_alu instid0(VALU_DEP_2) | instskip(NEXT) | instid1(VALU_DEP_2)
	v_cndmask_b32_e64 v1, v1, v2, s6
	v_cndmask_b32_e64 v7, v8, v7, s6
	s_delay_alu instid0(VALU_DEP_1) | instskip(SKIP_1) | instid1(SALU_CYCLE_1)
	v_cmp_ge_i32_e64 s6, v7, v1
	s_or_b32 s8, s6, s8
	s_and_not1_b32 exec_lo, exec_lo, s8
	s_cbranch_execnz .LBB133_52
; %bb.53:                               ;   in Loop: Header=BB133_2 Depth=1
	s_or_b32 exec_lo, exec_lo, s8
.LBB133_54:                             ;   in Loop: Header=BB133_2 Depth=1
	s_wait_alu 0xfffe
	s_or_b32 exec_lo, exec_lo, s7
	v_sub_nc_u32_e32 v8, v26, v7
	v_lshlrev_b32_e32 v13, 3, v7
	v_cmp_le_i32_e64 s7, 0x80, v7
                                        ; implicit-def: $vgpr1_vgpr2
                                        ; implicit-def: $vgpr15
	s_delay_alu instid0(VALU_DEP_3)
	v_lshlrev_b32_e32 v70, 3, v8
	v_cmp_gt_i32_e64 s8, 0x100, v8
	ds_load_b64 v[9:10], v13
	ds_load_b64 v[11:12], v70
	s_wait_dscnt 0x0
	v_cmp_lt_i64_e64 s6, v[11:12], v[9:10]
	s_or_b32 s6, s7, s6
	s_wait_alu 0xfffe
	s_and_b32 s6, s8, s6
	s_wait_alu 0xfffe
	s_xor_b32 s7, s6, -1
	s_wait_alu 0xfffe
	s_and_saveexec_b32 s8, s7
	s_delay_alu instid0(SALU_CYCLE_1)
	s_xor_b32 s7, exec_lo, s8
; %bb.55:                               ;   in Loop: Header=BB133_2 Depth=1
	ds_load_b64 v[1:2], v13 offset:8
	v_add_nc_u32_e32 v15, 1, v7
                                        ; implicit-def: $vgpr70
; %bb.56:                               ;   in Loop: Header=BB133_2 Depth=1
	s_wait_alu 0xfffe
	s_or_saveexec_b32 s7, s7
	v_mov_b32_e32 v14, v12
	v_dual_mov_b32 v16, v7 :: v_dual_mov_b32 v13, v11
	s_wait_alu 0xfffe
	s_xor_b32 exec_lo, exec_lo, s7
	s_cbranch_execz .LBB133_1
; %bb.57:                               ;   in Loop: Header=BB133_2 Depth=1
	ds_load_b64 v[13:14], v70 offset:8
	s_wait_dscnt 0x1
	v_dual_mov_b32 v16, v8 :: v_dual_add_nc_u32 v1, 1, v8
	s_delay_alu instid0(VALU_DEP_1)
	v_dual_mov_b32 v15, v7 :: v_dual_mov_b32 v8, v1
	v_dual_mov_b32 v1, v9 :: v_dual_mov_b32 v2, v10
	s_branch .LBB133_1
.LBB133_58:
	s_wait_dscnt 0x1
	v_add_co_u32 v3, vcc_lo, v3, v7
	s_delay_alu instid0(VALU_DEP_1)
	v_add_co_ci_u32_e64 v4, null, v4, v8, vcc_lo
	v_lshlrev_b32_e32 v7, 3, v0
	s_wait_dscnt 0x0
	v_add_co_u32 v0, vcc_lo, v1, v5
	s_wait_alu 0xfffd
	v_add_co_ci_u32_e64 v1, null, v2, v6, vcc_lo
	s_add_nc_u64 s[0:1], s[14:15], s[16:17]
	s_clause 0x1
	global_store_b64 v7, v[3:4], s[0:1]
	global_store_b64 v7, v[0:1], s[0:1] offset:1024
	s_endpgm
	.section	.rodata,"a",@progbits
	.p2align	6, 0x0
	.amdhsa_kernel _Z17sort_pairs_kernelIxLj128ELj2EN10test_utils4lessELj10EEvPKT_PS2_T2_
		.amdhsa_group_segment_fixed_size 2056
		.amdhsa_private_segment_fixed_size 0
		.amdhsa_kernarg_size 20
		.amdhsa_user_sgpr_count 2
		.amdhsa_user_sgpr_dispatch_ptr 0
		.amdhsa_user_sgpr_queue_ptr 0
		.amdhsa_user_sgpr_kernarg_segment_ptr 1
		.amdhsa_user_sgpr_dispatch_id 0
		.amdhsa_user_sgpr_private_segment_size 0
		.amdhsa_wavefront_size32 1
		.amdhsa_uses_dynamic_stack 0
		.amdhsa_enable_private_segment 0
		.amdhsa_system_sgpr_workgroup_id_x 1
		.amdhsa_system_sgpr_workgroup_id_y 0
		.amdhsa_system_sgpr_workgroup_id_z 0
		.amdhsa_system_sgpr_workgroup_info 0
		.amdhsa_system_vgpr_workitem_id 0
		.amdhsa_next_free_vgpr 73
		.amdhsa_next_free_sgpr 18
		.amdhsa_reserve_vcc 1
		.amdhsa_float_round_mode_32 0
		.amdhsa_float_round_mode_16_64 0
		.amdhsa_float_denorm_mode_32 3
		.amdhsa_float_denorm_mode_16_64 3
		.amdhsa_fp16_overflow 0
		.amdhsa_workgroup_processor_mode 1
		.amdhsa_memory_ordered 1
		.amdhsa_forward_progress 1
		.amdhsa_inst_pref_size 39
		.amdhsa_round_robin_scheduling 0
		.amdhsa_exception_fp_ieee_invalid_op 0
		.amdhsa_exception_fp_denorm_src 0
		.amdhsa_exception_fp_ieee_div_zero 0
		.amdhsa_exception_fp_ieee_overflow 0
		.amdhsa_exception_fp_ieee_underflow 0
		.amdhsa_exception_fp_ieee_inexact 0
		.amdhsa_exception_int_div_zero 0
	.end_amdhsa_kernel
	.section	.text._Z17sort_pairs_kernelIxLj128ELj2EN10test_utils4lessELj10EEvPKT_PS2_T2_,"axG",@progbits,_Z17sort_pairs_kernelIxLj128ELj2EN10test_utils4lessELj10EEvPKT_PS2_T2_,comdat
.Lfunc_end133:
	.size	_Z17sort_pairs_kernelIxLj128ELj2EN10test_utils4lessELj10EEvPKT_PS2_T2_, .Lfunc_end133-_Z17sort_pairs_kernelIxLj128ELj2EN10test_utils4lessELj10EEvPKT_PS2_T2_
                                        ; -- End function
	.set _Z17sort_pairs_kernelIxLj128ELj2EN10test_utils4lessELj10EEvPKT_PS2_T2_.num_vgpr, 73
	.set _Z17sort_pairs_kernelIxLj128ELj2EN10test_utils4lessELj10EEvPKT_PS2_T2_.num_agpr, 0
	.set _Z17sort_pairs_kernelIxLj128ELj2EN10test_utils4lessELj10EEvPKT_PS2_T2_.numbered_sgpr, 18
	.set _Z17sort_pairs_kernelIxLj128ELj2EN10test_utils4lessELj10EEvPKT_PS2_T2_.num_named_barrier, 0
	.set _Z17sort_pairs_kernelIxLj128ELj2EN10test_utils4lessELj10EEvPKT_PS2_T2_.private_seg_size, 0
	.set _Z17sort_pairs_kernelIxLj128ELj2EN10test_utils4lessELj10EEvPKT_PS2_T2_.uses_vcc, 1
	.set _Z17sort_pairs_kernelIxLj128ELj2EN10test_utils4lessELj10EEvPKT_PS2_T2_.uses_flat_scratch, 0
	.set _Z17sort_pairs_kernelIxLj128ELj2EN10test_utils4lessELj10EEvPKT_PS2_T2_.has_dyn_sized_stack, 0
	.set _Z17sort_pairs_kernelIxLj128ELj2EN10test_utils4lessELj10EEvPKT_PS2_T2_.has_recursion, 0
	.set _Z17sort_pairs_kernelIxLj128ELj2EN10test_utils4lessELj10EEvPKT_PS2_T2_.has_indirect_call, 0
	.section	.AMDGPU.csdata,"",@progbits
; Kernel info:
; codeLenInByte = 4880
; TotalNumSgprs: 20
; NumVgprs: 73
; ScratchSize: 0
; MemoryBound: 0
; FloatMode: 240
; IeeeMode: 1
; LDSByteSize: 2056 bytes/workgroup (compile time only)
; SGPRBlocks: 0
; VGPRBlocks: 9
; NumSGPRsForWavesPerEU: 20
; NumVGPRsForWavesPerEU: 73
; Occupancy: 16
; WaveLimiterHint : 1
; COMPUTE_PGM_RSRC2:SCRATCH_EN: 0
; COMPUTE_PGM_RSRC2:USER_SGPR: 2
; COMPUTE_PGM_RSRC2:TRAP_HANDLER: 0
; COMPUTE_PGM_RSRC2:TGID_X_EN: 1
; COMPUTE_PGM_RSRC2:TGID_Y_EN: 0
; COMPUTE_PGM_RSRC2:TGID_Z_EN: 0
; COMPUTE_PGM_RSRC2:TIDIG_COMP_CNT: 0
	.section	.text._Z16sort_keys_kernelIxLj128ELj3EN10test_utils4lessELj10EEvPKT_PS2_T2_,"axG",@progbits,_Z16sort_keys_kernelIxLj128ELj3EN10test_utils4lessELj10EEvPKT_PS2_T2_,comdat
	.protected	_Z16sort_keys_kernelIxLj128ELj3EN10test_utils4lessELj10EEvPKT_PS2_T2_ ; -- Begin function _Z16sort_keys_kernelIxLj128ELj3EN10test_utils4lessELj10EEvPKT_PS2_T2_
	.globl	_Z16sort_keys_kernelIxLj128ELj3EN10test_utils4lessELj10EEvPKT_PS2_T2_
	.p2align	8
	.type	_Z16sort_keys_kernelIxLj128ELj3EN10test_utils4lessELj10EEvPKT_PS2_T2_,@function
_Z16sort_keys_kernelIxLj128ELj3EN10test_utils4lessELj10EEvPKT_PS2_T2_: ; @_Z16sort_keys_kernelIxLj128ELj3EN10test_utils4lessELj10EEvPKT_PS2_T2_
; %bb.0:
	s_load_b128 s[12:15], s[0:1], 0x0
	s_mul_i32 s10, ttmp9, 0x180
	s_mov_b32 s11, 0
	v_lshlrev_b32_e32 v1, 3, v0
	s_lshl_b64 s[16:17], s[10:11], 3
	v_and_b32_e32 v7, 0x7e, v0
	v_and_b32_e32 v10, 1, v0
	;; [unrolled: 1-line block ×5, first 2 shown]
	v_mul_u32_u24_e32 v7, 3, v7
	v_cmp_eq_u32_e32 vcc_lo, 1, v10
	v_mul_u32_u24_e32 v36, 3, v30
	v_mul_u32_u24_e32 v43, 3, v37
	;; [unrolled: 1-line block ×3, first 2 shown]
	v_min_u32_e32 v8, 0x17d, v7
	v_min_u32_e32 v9, 0x17a, v7
	;; [unrolled: 1-line block ×3, first 2 shown]
	v_cndmask_b32_e64 v10, 0, 3, vcc_lo
	v_min_u32_e32 v70, 0x168, v36
	s_wait_kmcnt 0x0
	s_add_nc_u64 s[0:1], s[12:13], s[16:17]
	v_add_nc_u32_e32 v13, 3, v8
	s_clause 0x2
	global_load_b64 v[3:4], v1, s[0:1]
	global_load_b64 v[5:6], v1, s[0:1] offset:1024
	global_load_b64 v[1:2], v1, s[0:1] offset:2048
	v_add_nc_u32_e32 v14, 6, v9
	v_and_b32_e32 v9, 0x7c, v0
	v_min_u32_e32 v34, 0x150, v36
	v_sub_nc_u32_e32 v11, v13, v15
	v_add_nc_u32_e32 v33, 24, v70
	v_sub_nc_u32_e32 v7, v14, v13
	v_mul_u32_u24_e32 v9, 3, v9
	v_add_nc_u32_e32 v34, 48, v34
	v_min_i32_e32 v21, v10, v11
	v_and_b32_e32 v11, 0x78, v0
	v_sub_nc_u32_e32 v12, v10, v7
	v_min_u32_e32 v68, 0x17a, v9
	v_min_u32_e32 v20, 0x174, v9
	v_cmp_ge_i32_e32 vcc_lo, v10, v7
	v_and_b32_e32 v7, 3, v0
	v_mul_u32_u24_e32 v11, 3, v11
	v_add_nc_u32_e32 v19, 6, v68
	v_add_nc_u32_e32 v20, 12, v20
	s_wait_alu 0xfffd
	v_dual_cndmask_b32 v18, 0, v12 :: v_dual_lshlrev_b32 v17, 3, v15
	v_mul_u32_u24_e32 v12, 3, v7
	v_min_u32_e32 v22, 0x180, v9
	v_sub_nc_u32_e32 v9, v20, v19
	v_min_u32_e32 v69, 0x174, v11
	v_min_u32_e32 v27, 0x168, v11
	;; [unrolled: 1-line block ×3, first 2 shown]
	v_sub_nc_u32_e32 v39, v34, v33
	v_sub_nc_u32_e32 v25, v12, v9
	v_cmp_ge_i32_e64 s0, v12, v9
	v_and_b32_e32 v9, 7, v0
	v_add_nc_u32_e32 v26, 12, v69
	v_add_nc_u32_e32 v27, 24, v27
	v_min_u32_e32 v71, 0x150, v43
	v_min_u32_e32 v41, 0x120, v43
	v_mul_u32_u24_e32 v61, 3, v9
	v_min_u32_e32 v73, 0x120, v48
	v_sub_nc_u32_e32 v11, v27, v26
	v_min_u32_e32 v45, 0xc0, v48
	v_and_b32_e32 v72, 31, v0
	v_add_nc_u32_e32 v41, 0x60, v41
	v_and_b32_e32 v74, 63, v0
	v_sub_nc_u32_e32 v32, v61, v11
	v_cmp_ge_i32_e64 s1, v61, v11
	v_and_b32_e32 v11, 15, v0
	v_add_nc_u32_e32 v44, 0x60, v73
	v_add_nc_u32_e32 v45, 0xc0, v45
	v_min_u32_e32 v36, 0x180, v36
	v_mul_u32_u24_e32 v63, 3, v72
	v_mul_u32_u24_e32 v62, 3, v11
	v_min_u32_e32 v43, 0x180, v43
	v_mul_u32_u24_e32 v64, 3, v74
	v_sub_nc_u32_e32 v53, v45, v44
	v_min_u32_e32 v48, 0x180, v48
	v_sub_nc_u32_e32 v40, v62, v39
	v_cmp_ge_i32_e64 s2, v62, v39
	v_sub_nc_u32_e32 v28, v19, v22
	v_sub_nc_u32_e32 v35, v26, v29
	;; [unrolled: 1-line block ×4, first 2 shown]
	v_cndmask_b32_e64 v39, 0, v40, s2
	v_add_nc_u32_e32 v40, 48, v71
	v_sub_nc_u32_e32 v55, v44, v48
	v_mul_u32_u24_e32 v51, 3, v0
	v_cmp_ge_i32_e64 s4, v64, v53
	v_cndmask_b32_e64 v25, 0, v25, s0
	v_sub_nc_u32_e32 v46, v41, v40
	v_sub_nc_u32_e32 v47, v40, v43
	v_min_i32_e32 v28, v12, v28
	v_cndmask_b32_e64 v32, 0, v32, s1
	v_min_i32_e32 v35, v61, v35
	v_sub_nc_u32_e32 v49, v63, v46
	v_cmp_ge_i32_e64 s3, v63, v46
	v_min_i32_e32 v42, v62, v42
	v_min_i32_e32 v47, v63, v47
	v_cndmask_b32_e64 v53, 0, v54, s4
	v_min_i32_e32 v54, v64, v55
	s_wait_alu 0xf1ff
	v_cndmask_b32_e64 v46, 0, v49, s3
	v_subrev_nc_u32_e64 v55, 0xc0, v51 clamp
	v_min_i32_e32 v56, 0xc0, v51
	v_lshlrev_b32_e32 v60, 3, v10
	v_lshlrev_b32_e32 v12, 3, v12
	v_lshlrev_b32_e32 v65, 3, v61
	v_lshlrev_b32_e32 v66, 3, v62
	v_lshlrev_b32_e32 v67, 3, v63
	v_lshlrev_b32_e32 v75, 3, v64
	v_mul_u32_u24_e32 v16, 24, v0
	v_add_nc_u32_e32 v23, v13, v10
	v_lshlrev_b32_e32 v24, 3, v22
	v_cmp_lt_i32_e64 s0, v25, v28
	v_mad_u32_u24 v30, v7, 3, v19
	v_lshlrev_b32_e32 v31, 3, v29
	v_cmp_lt_i32_e64 s1, v32, v35
	v_mad_u32_u24 v37, v9, 3, v26
	;; [unrolled: 3-line block ×5, first 2 shown]
	v_cmp_lt_i32_e64 s5, v55, v56
	v_mad_u32_u24 v59, v0, 3, 0xc0
	v_lshl_add_u32 v60, v8, 3, v60
	v_lshl_add_u32 v61, v68, 3, v12
	;; [unrolled: 1-line block ×6, first 2 shown]
	v_lshlrev_b32_e32 v66, 3, v51
	v_add_nc_u32_e32 v67, v8, v10
	v_mad_u32_u24 v68, v7, 3, v68
	v_mad_u32_u24 v69, v9, 3, v69
	v_mad_u32_u24 v70, v11, 3, v70
	v_mad_u32_u24 v71, v72, 3, v71
	v_mad_u32_u24 v72, v74, 3, v73
	v_cmp_lt_i32_e32 vcc_lo, v18, v21
	s_branch .LBB134_2
.LBB134_1:                              ;   in Loop: Header=BB134_2 Depth=1
	s_or_b32 exec_lo, exec_lo, s8
	s_wait_dscnt 0x0
	s_delay_alu instid0(VALU_DEP_1)
	v_cmp_lt_i64_e64 s8, v[11:12], v[9:10]
	v_cmp_le_i32_e64 s9, 0xc0, v74
	v_cmp_gt_i32_e64 s10, 0x180, v73
	v_cndmask_b32_e64 v4, v2, v4, s6
	v_cndmask_b32_e64 v3, v1, v3, s6
	;; [unrolled: 1-line block ×3, first 2 shown]
	s_or_b32 s6, s9, s8
	v_cndmask_b32_e64 v5, v5, v7, s7
	s_wait_alu 0xfffe
	s_and_b32 s6, s10, s6
	s_add_co_i32 s11, s11, 1
	s_wait_alu 0xfffe
	v_cndmask_b32_e64 v2, v10, v12, s6
	v_cndmask_b32_e64 v1, v9, v11, s6
	s_cmp_eq_u32 s11, 10
	s_cbranch_scc1 .LBB134_86
.LBB134_2:                              ; =>This Loop Header: Depth=1
                                        ;     Child Loop BB134_4 Depth 2
                                        ;     Child Loop BB134_16 Depth 2
	;; [unrolled: 1-line block ×7, first 2 shown]
	s_wait_loadcnt 0x1
	v_cmp_gt_i64_e64 s6, v[5:6], v[3:4]
	s_wait_loadcnt 0x0
	s_barrier_signal -1
	s_barrier_wait -1
	global_inv scope:SCOPE_SE
	s_wait_alu 0xf1ff
	v_cndmask_b32_e64 v8, v4, v6, s6
	v_cndmask_b32_e64 v7, v3, v5, s6
	v_cmp_lt_i64_e64 s6, v[5:6], v[3:4]
	s_delay_alu instid0(VALU_DEP_2) | instskip(SKIP_1) | instid1(VALU_DEP_2)
	v_cmp_lt_i64_e64 s7, v[1:2], v[7:8]
	s_wait_alu 0xf1ff
	v_cndmask_b32_e64 v10, v4, v6, s6
	v_cndmask_b32_e64 v9, v3, v5, s6
	v_cndmask_b32_e64 v4, v6, v4, s6
	v_cndmask_b32_e64 v5, v5, v3, s6
	v_cndmask_b32_e64 v3, v2, v8, s7
	v_cndmask_b32_e64 v6, v7, v1, s7
	v_cmp_lt_i64_e64 s6, v[1:2], v[9:10]
	v_cndmask_b32_e64 v4, v4, v2, s7
	v_cndmask_b32_e64 v5, v5, v1, s7
	;; [unrolled: 1-line block ×3, first 2 shown]
	s_wait_alu 0xf1ff
	s_delay_alu instid0(VALU_DEP_3) | instskip(NEXT) | instid1(VALU_DEP_3)
	v_cndmask_b32_e64 v12, v4, v10, s6
	v_cndmask_b32_e64 v11, v5, v9, s6
	s_delay_alu instid0(VALU_DEP_3)
	v_cndmask_b32_e64 v10, v10, v2, s6
	v_cndmask_b32_e64 v9, v9, v6, s6
	v_mov_b32_e32 v5, v18
	v_cndmask_b32_e64 v2, v1, v7, s7
	ds_store_2addr_b64 v16, v[9:10], v[11:12] offset1:1
	ds_store_b64 v16, v[2:3] offset:16
	s_wait_loadcnt_dscnt 0x0
	s_barrier_signal -1
	s_barrier_wait -1
	global_inv scope:SCOPE_SE
	s_and_saveexec_b32 s7, vcc_lo
	s_cbranch_execz .LBB134_6
; %bb.3:                                ;   in Loop: Header=BB134_2 Depth=1
	v_mov_b32_e32 v5, v18
	v_mov_b32_e32 v1, v21
	s_mov_b32 s8, 0
.LBB134_4:                              ;   Parent Loop BB134_2 Depth=1
                                        ; =>  This Inner Loop Header: Depth=2
	s_delay_alu instid0(VALU_DEP_1) | instskip(NEXT) | instid1(VALU_DEP_1)
	v_sub_nc_u32_e32 v2, v1, v5
	v_lshrrev_b32_e32 v2, 1, v2
	s_delay_alu instid0(VALU_DEP_1) | instskip(NEXT) | instid1(VALU_DEP_1)
	v_add_nc_u32_e32 v4, v2, v5
	v_not_b32_e32 v2, v4
	v_lshl_add_u32 v3, v4, 3, v17
	s_delay_alu instid0(VALU_DEP_2)
	v_lshl_add_u32 v6, v2, 3, v60
	ds_load_b64 v[2:3], v3
	ds_load_b64 v[6:7], v6 offset:24
	s_wait_dscnt 0x0
	v_cmp_lt_i64_e64 s6, v[6:7], v[2:3]
	v_add_nc_u32_e32 v2, 1, v4
	s_wait_alu 0xf1ff
	s_delay_alu instid0(VALU_DEP_2) | instskip(NEXT) | instid1(VALU_DEP_2)
	v_cndmask_b32_e64 v1, v1, v4, s6
	v_cndmask_b32_e64 v5, v2, v5, s6
	s_delay_alu instid0(VALU_DEP_1) | instskip(SKIP_1) | instid1(SALU_CYCLE_1)
	v_cmp_ge_i32_e64 s6, v5, v1
	s_or_b32 s8, s6, s8
	s_and_not1_b32 exec_lo, exec_lo, s8
	s_cbranch_execnz .LBB134_4
; %bb.5:                                ;   in Loop: Header=BB134_2 Depth=1
	s_or_b32 exec_lo, exec_lo, s8
.LBB134_6:                              ;   in Loop: Header=BB134_2 Depth=1
	s_wait_alu 0xfffe
	s_or_b32 exec_lo, exec_lo, s7
	v_sub_nc_u32_e32 v1, v67, v5
	v_lshl_add_u32 v7, v5, 3, v17
	v_add_nc_u32_e32 v9, v5, v15
	v_sub_nc_u32_e32 v10, v23, v5
                                        ; implicit-def: $vgpr5_vgpr6
	s_delay_alu instid0(VALU_DEP_4)
	v_lshlrev_b32_e32 v11, 3, v1
	ds_load_b64 v[1:2], v7
	ds_load_b64 v[3:4], v11 offset:24
	v_cmp_le_i32_e64 s7, v13, v9
	v_cmp_gt_i32_e64 s8, v14, v10
	s_wait_dscnt 0x0
	v_cmp_lt_i64_e64 s6, v[3:4], v[1:2]
	s_or_b32 s6, s7, s6
	s_wait_alu 0xfffe
	s_and_b32 s6, s8, s6
	s_wait_alu 0xfffe
	s_xor_b32 s7, s6, -1
	s_wait_alu 0xfffe
	s_and_saveexec_b32 s8, s7
	s_delay_alu instid0(SALU_CYCLE_1)
	s_xor_b32 s7, exec_lo, s8
; %bb.7:                                ;   in Loop: Header=BB134_2 Depth=1
	ds_load_b64 v[5:6], v7 offset:8
                                        ; implicit-def: $vgpr11
; %bb.8:                                ;   in Loop: Header=BB134_2 Depth=1
	s_wait_alu 0xfffe
	s_or_saveexec_b32 s7, s7
	v_dual_mov_b32 v8, v4 :: v_dual_mov_b32 v7, v3
	s_wait_alu 0xfffe
	s_xor_b32 exec_lo, exec_lo, s7
	s_cbranch_execz .LBB134_10
; %bb.9:                                ;   in Loop: Header=BB134_2 Depth=1
	ds_load_b64 v[7:8], v11 offset:32
	s_wait_dscnt 0x1
	v_dual_mov_b32 v6, v2 :: v_dual_mov_b32 v5, v1
.LBB134_10:                             ;   in Loop: Header=BB134_2 Depth=1
	s_or_b32 exec_lo, exec_lo, s7
	v_add_nc_u32_e32 v11, 1, v9
	v_add_nc_u32_e32 v12, 1, v10
	s_wait_dscnt 0x0
	v_cmp_lt_i64_e64 s7, v[7:8], v[5:6]
	s_delay_alu instid0(VALU_DEP_3) | instskip(NEXT) | instid1(VALU_DEP_3)
	v_cndmask_b32_e64 v74, v11, v9, s6
	v_cndmask_b32_e64 v73, v10, v12, s6
                                        ; implicit-def: $vgpr9_vgpr10
	s_delay_alu instid0(VALU_DEP_2) | instskip(NEXT) | instid1(VALU_DEP_2)
	v_cmp_ge_i32_e64 s8, v74, v13
	v_cmp_lt_i32_e64 s9, v73, v14
	s_or_b32 s7, s8, s7
	s_wait_alu 0xfffe
	s_and_b32 s7, s9, s7
	s_wait_alu 0xfffe
	s_xor_b32 s8, s7, -1
	s_delay_alu instid0(SALU_CYCLE_1) | instskip(NEXT) | instid1(SALU_CYCLE_1)
	s_and_saveexec_b32 s9, s8
	s_xor_b32 s8, exec_lo, s9
; %bb.11:                               ;   in Loop: Header=BB134_2 Depth=1
	v_lshlrev_b32_e32 v9, 3, v74
	ds_load_b64 v[9:10], v9 offset:8
; %bb.12:                               ;   in Loop: Header=BB134_2 Depth=1
	s_or_saveexec_b32 s8, s8
	v_dual_mov_b32 v12, v8 :: v_dual_mov_b32 v11, v7
	s_xor_b32 exec_lo, exec_lo, s8
	s_cbranch_execz .LBB134_14
; %bb.13:                               ;   in Loop: Header=BB134_2 Depth=1
	s_wait_dscnt 0x0
	v_lshlrev_b32_e32 v9, 3, v73
	ds_load_b64 v[11:12], v9 offset:8
	v_dual_mov_b32 v10, v6 :: v_dual_mov_b32 v9, v5
.LBB134_14:                             ;   in Loop: Header=BB134_2 Depth=1
	s_or_b32 exec_lo, exec_lo, s8
	v_add_nc_u32_e32 v75, 1, v74
	v_add_nc_u32_e32 v76, 1, v73
	v_cndmask_b32_e64 v8, v6, v8, s7
	v_cndmask_b32_e64 v7, v5, v7, s7
	v_mov_b32_e32 v5, v25
	v_cndmask_b32_e64 v74, v75, v74, s7
	v_cndmask_b32_e64 v6, v73, v76, s7
	s_wait_dscnt 0x0
	v_cmp_lt_i64_e64 s7, v[11:12], v[9:10]
	v_cndmask_b32_e64 v2, v2, v4, s6
	v_cndmask_b32_e64 v1, v1, v3, s6
	v_cmp_ge_i32_e64 s8, v74, v13
	v_cmp_lt_i32_e64 s9, v6, v14
	s_wait_loadcnt 0x0
	s_barrier_signal -1
	s_barrier_wait -1
	s_or_b32 s6, s8, s7
	global_inv scope:SCOPE_SE
	s_wait_alu 0xfffe
	s_and_b32 s6, s9, s6
	s_wait_alu 0xfffe
	v_cndmask_b32_e64 v4, v10, v12, s6
	v_cndmask_b32_e64 v3, v9, v11, s6
	ds_store_2addr_b64 v16, v[1:2], v[7:8] offset1:1
	ds_store_b64 v16, v[3:4] offset:16
	s_wait_loadcnt_dscnt 0x0
	s_barrier_signal -1
	s_barrier_wait -1
	global_inv scope:SCOPE_SE
	s_and_saveexec_b32 s7, s0
	s_cbranch_execz .LBB134_18
; %bb.15:                               ;   in Loop: Header=BB134_2 Depth=1
	v_mov_b32_e32 v5, v25
	v_mov_b32_e32 v1, v28
	s_mov_b32 s8, 0
.LBB134_16:                             ;   Parent Loop BB134_2 Depth=1
                                        ; =>  This Inner Loop Header: Depth=2
	s_delay_alu instid0(VALU_DEP_1) | instskip(NEXT) | instid1(VALU_DEP_1)
	v_sub_nc_u32_e32 v2, v1, v5
	v_lshrrev_b32_e32 v2, 1, v2
	s_delay_alu instid0(VALU_DEP_1) | instskip(NEXT) | instid1(VALU_DEP_1)
	v_add_nc_u32_e32 v4, v2, v5
	v_not_b32_e32 v2, v4
	v_lshl_add_u32 v3, v4, 3, v24
	s_delay_alu instid0(VALU_DEP_2)
	v_lshl_add_u32 v6, v2, 3, v61
	ds_load_b64 v[2:3], v3
	ds_load_b64 v[6:7], v6 offset:48
	s_wait_dscnt 0x0
	v_cmp_lt_i64_e64 s6, v[6:7], v[2:3]
	v_add_nc_u32_e32 v2, 1, v4
	s_wait_alu 0xf1ff
	s_delay_alu instid0(VALU_DEP_2) | instskip(NEXT) | instid1(VALU_DEP_2)
	v_cndmask_b32_e64 v1, v1, v4, s6
	v_cndmask_b32_e64 v5, v2, v5, s6
	s_delay_alu instid0(VALU_DEP_1) | instskip(SKIP_1) | instid1(SALU_CYCLE_1)
	v_cmp_ge_i32_e64 s6, v5, v1
	s_or_b32 s8, s6, s8
	s_and_not1_b32 exec_lo, exec_lo, s8
	s_cbranch_execnz .LBB134_16
; %bb.17:                               ;   in Loop: Header=BB134_2 Depth=1
	s_or_b32 exec_lo, exec_lo, s8
.LBB134_18:                             ;   in Loop: Header=BB134_2 Depth=1
	s_wait_alu 0xfffe
	s_or_b32 exec_lo, exec_lo, s7
	v_sub_nc_u32_e32 v1, v68, v5
	v_lshl_add_u32 v7, v5, 3, v24
	v_add_nc_u32_e32 v9, v5, v22
	v_sub_nc_u32_e32 v10, v30, v5
                                        ; implicit-def: $vgpr5_vgpr6
	s_delay_alu instid0(VALU_DEP_4)
	v_lshlrev_b32_e32 v11, 3, v1
	ds_load_b64 v[1:2], v7
	ds_load_b64 v[3:4], v11 offset:48
	v_cmp_le_i32_e64 s7, v19, v9
	v_cmp_gt_i32_e64 s8, v20, v10
	s_wait_dscnt 0x0
	v_cmp_lt_i64_e64 s6, v[3:4], v[1:2]
	s_or_b32 s6, s7, s6
	s_wait_alu 0xfffe
	s_and_b32 s6, s8, s6
	s_wait_alu 0xfffe
	s_xor_b32 s7, s6, -1
	s_wait_alu 0xfffe
	s_and_saveexec_b32 s8, s7
	s_delay_alu instid0(SALU_CYCLE_1)
	s_xor_b32 s7, exec_lo, s8
; %bb.19:                               ;   in Loop: Header=BB134_2 Depth=1
	ds_load_b64 v[5:6], v7 offset:8
                                        ; implicit-def: $vgpr11
; %bb.20:                               ;   in Loop: Header=BB134_2 Depth=1
	s_wait_alu 0xfffe
	s_or_saveexec_b32 s7, s7
	v_dual_mov_b32 v8, v4 :: v_dual_mov_b32 v7, v3
	s_wait_alu 0xfffe
	s_xor_b32 exec_lo, exec_lo, s7
	s_cbranch_execz .LBB134_22
; %bb.21:                               ;   in Loop: Header=BB134_2 Depth=1
	ds_load_b64 v[7:8], v11 offset:56
	s_wait_dscnt 0x1
	v_dual_mov_b32 v6, v2 :: v_dual_mov_b32 v5, v1
.LBB134_22:                             ;   in Loop: Header=BB134_2 Depth=1
	s_or_b32 exec_lo, exec_lo, s7
	v_add_nc_u32_e32 v11, 1, v9
	v_add_nc_u32_e32 v12, 1, v10
	s_wait_dscnt 0x0
	v_cmp_lt_i64_e64 s7, v[7:8], v[5:6]
	s_delay_alu instid0(VALU_DEP_3) | instskip(NEXT) | instid1(VALU_DEP_3)
	v_cndmask_b32_e64 v74, v11, v9, s6
	v_cndmask_b32_e64 v73, v10, v12, s6
                                        ; implicit-def: $vgpr9_vgpr10
	s_delay_alu instid0(VALU_DEP_2) | instskip(NEXT) | instid1(VALU_DEP_2)
	v_cmp_ge_i32_e64 s8, v74, v19
	v_cmp_lt_i32_e64 s9, v73, v20
	s_or_b32 s7, s8, s7
	s_wait_alu 0xfffe
	s_and_b32 s7, s9, s7
	s_wait_alu 0xfffe
	s_xor_b32 s8, s7, -1
	s_delay_alu instid0(SALU_CYCLE_1) | instskip(NEXT) | instid1(SALU_CYCLE_1)
	s_and_saveexec_b32 s9, s8
	s_xor_b32 s8, exec_lo, s9
; %bb.23:                               ;   in Loop: Header=BB134_2 Depth=1
	v_lshlrev_b32_e32 v9, 3, v74
	ds_load_b64 v[9:10], v9 offset:8
; %bb.24:                               ;   in Loop: Header=BB134_2 Depth=1
	s_or_saveexec_b32 s8, s8
	v_dual_mov_b32 v12, v8 :: v_dual_mov_b32 v11, v7
	s_xor_b32 exec_lo, exec_lo, s8
	s_cbranch_execz .LBB134_26
; %bb.25:                               ;   in Loop: Header=BB134_2 Depth=1
	s_wait_dscnt 0x0
	v_lshlrev_b32_e32 v9, 3, v73
	ds_load_b64 v[11:12], v9 offset:8
	v_dual_mov_b32 v10, v6 :: v_dual_mov_b32 v9, v5
.LBB134_26:                             ;   in Loop: Header=BB134_2 Depth=1
	s_or_b32 exec_lo, exec_lo, s8
	v_add_nc_u32_e32 v75, 1, v74
	v_add_nc_u32_e32 v76, 1, v73
	v_cndmask_b32_e64 v8, v6, v8, s7
	v_cndmask_b32_e64 v7, v5, v7, s7
	v_mov_b32_e32 v5, v32
	v_cndmask_b32_e64 v74, v75, v74, s7
	v_cndmask_b32_e64 v6, v73, v76, s7
	s_wait_dscnt 0x0
	v_cmp_lt_i64_e64 s7, v[11:12], v[9:10]
	v_cndmask_b32_e64 v2, v2, v4, s6
	v_cndmask_b32_e64 v1, v1, v3, s6
	v_cmp_ge_i32_e64 s8, v74, v19
	v_cmp_lt_i32_e64 s9, v6, v20
	s_wait_loadcnt 0x0
	s_barrier_signal -1
	s_barrier_wait -1
	s_or_b32 s6, s8, s7
	global_inv scope:SCOPE_SE
	s_wait_alu 0xfffe
	s_and_b32 s6, s9, s6
	s_wait_alu 0xfffe
	v_cndmask_b32_e64 v4, v10, v12, s6
	v_cndmask_b32_e64 v3, v9, v11, s6
	ds_store_2addr_b64 v16, v[1:2], v[7:8] offset1:1
	ds_store_b64 v16, v[3:4] offset:16
	s_wait_loadcnt_dscnt 0x0
	s_barrier_signal -1
	s_barrier_wait -1
	global_inv scope:SCOPE_SE
	s_and_saveexec_b32 s7, s1
	s_cbranch_execz .LBB134_30
; %bb.27:                               ;   in Loop: Header=BB134_2 Depth=1
	v_mov_b32_e32 v5, v32
	v_mov_b32_e32 v1, v35
	s_mov_b32 s8, 0
.LBB134_28:                             ;   Parent Loop BB134_2 Depth=1
                                        ; =>  This Inner Loop Header: Depth=2
	s_delay_alu instid0(VALU_DEP_1) | instskip(NEXT) | instid1(VALU_DEP_1)
	v_sub_nc_u32_e32 v2, v1, v5
	v_lshrrev_b32_e32 v2, 1, v2
	s_delay_alu instid0(VALU_DEP_1) | instskip(NEXT) | instid1(VALU_DEP_1)
	v_add_nc_u32_e32 v4, v2, v5
	v_not_b32_e32 v2, v4
	v_lshl_add_u32 v3, v4, 3, v31
	s_delay_alu instid0(VALU_DEP_2)
	v_lshl_add_u32 v6, v2, 3, v62
	ds_load_b64 v[2:3], v3
	ds_load_b64 v[6:7], v6 offset:96
	s_wait_dscnt 0x0
	v_cmp_lt_i64_e64 s6, v[6:7], v[2:3]
	v_add_nc_u32_e32 v2, 1, v4
	s_wait_alu 0xf1ff
	s_delay_alu instid0(VALU_DEP_2) | instskip(NEXT) | instid1(VALU_DEP_2)
	v_cndmask_b32_e64 v1, v1, v4, s6
	v_cndmask_b32_e64 v5, v2, v5, s6
	s_delay_alu instid0(VALU_DEP_1) | instskip(SKIP_1) | instid1(SALU_CYCLE_1)
	v_cmp_ge_i32_e64 s6, v5, v1
	s_or_b32 s8, s6, s8
	s_and_not1_b32 exec_lo, exec_lo, s8
	s_cbranch_execnz .LBB134_28
; %bb.29:                               ;   in Loop: Header=BB134_2 Depth=1
	s_or_b32 exec_lo, exec_lo, s8
.LBB134_30:                             ;   in Loop: Header=BB134_2 Depth=1
	s_wait_alu 0xfffe
	s_or_b32 exec_lo, exec_lo, s7
	v_sub_nc_u32_e32 v1, v69, v5
	v_lshl_add_u32 v7, v5, 3, v31
	v_add_nc_u32_e32 v9, v5, v29
	v_sub_nc_u32_e32 v10, v37, v5
                                        ; implicit-def: $vgpr5_vgpr6
	s_delay_alu instid0(VALU_DEP_4)
	v_lshlrev_b32_e32 v11, 3, v1
	ds_load_b64 v[1:2], v7
	ds_load_b64 v[3:4], v11 offset:96
	v_cmp_le_i32_e64 s7, v26, v9
	v_cmp_gt_i32_e64 s8, v27, v10
	s_wait_dscnt 0x0
	v_cmp_lt_i64_e64 s6, v[3:4], v[1:2]
	s_or_b32 s6, s7, s6
	s_wait_alu 0xfffe
	s_and_b32 s6, s8, s6
	s_wait_alu 0xfffe
	s_xor_b32 s7, s6, -1
	s_wait_alu 0xfffe
	s_and_saveexec_b32 s8, s7
	s_delay_alu instid0(SALU_CYCLE_1)
	s_xor_b32 s7, exec_lo, s8
; %bb.31:                               ;   in Loop: Header=BB134_2 Depth=1
	ds_load_b64 v[5:6], v7 offset:8
                                        ; implicit-def: $vgpr11
; %bb.32:                               ;   in Loop: Header=BB134_2 Depth=1
	s_wait_alu 0xfffe
	s_or_saveexec_b32 s7, s7
	v_dual_mov_b32 v8, v4 :: v_dual_mov_b32 v7, v3
	s_wait_alu 0xfffe
	s_xor_b32 exec_lo, exec_lo, s7
	s_cbranch_execz .LBB134_34
; %bb.33:                               ;   in Loop: Header=BB134_2 Depth=1
	ds_load_b64 v[7:8], v11 offset:104
	s_wait_dscnt 0x1
	v_dual_mov_b32 v6, v2 :: v_dual_mov_b32 v5, v1
.LBB134_34:                             ;   in Loop: Header=BB134_2 Depth=1
	s_or_b32 exec_lo, exec_lo, s7
	v_add_nc_u32_e32 v11, 1, v9
	v_add_nc_u32_e32 v12, 1, v10
	s_wait_dscnt 0x0
	v_cmp_lt_i64_e64 s7, v[7:8], v[5:6]
	s_delay_alu instid0(VALU_DEP_3) | instskip(NEXT) | instid1(VALU_DEP_3)
	v_cndmask_b32_e64 v74, v11, v9, s6
	v_cndmask_b32_e64 v73, v10, v12, s6
                                        ; implicit-def: $vgpr9_vgpr10
	s_delay_alu instid0(VALU_DEP_2) | instskip(NEXT) | instid1(VALU_DEP_2)
	v_cmp_ge_i32_e64 s8, v74, v26
	v_cmp_lt_i32_e64 s9, v73, v27
	s_or_b32 s7, s8, s7
	s_wait_alu 0xfffe
	s_and_b32 s7, s9, s7
	s_wait_alu 0xfffe
	s_xor_b32 s8, s7, -1
	s_delay_alu instid0(SALU_CYCLE_1) | instskip(NEXT) | instid1(SALU_CYCLE_1)
	s_and_saveexec_b32 s9, s8
	s_xor_b32 s8, exec_lo, s9
; %bb.35:                               ;   in Loop: Header=BB134_2 Depth=1
	v_lshlrev_b32_e32 v9, 3, v74
	ds_load_b64 v[9:10], v9 offset:8
; %bb.36:                               ;   in Loop: Header=BB134_2 Depth=1
	s_or_saveexec_b32 s8, s8
	v_dual_mov_b32 v12, v8 :: v_dual_mov_b32 v11, v7
	s_xor_b32 exec_lo, exec_lo, s8
	s_cbranch_execz .LBB134_38
; %bb.37:                               ;   in Loop: Header=BB134_2 Depth=1
	s_wait_dscnt 0x0
	v_lshlrev_b32_e32 v9, 3, v73
	ds_load_b64 v[11:12], v9 offset:8
	v_dual_mov_b32 v10, v6 :: v_dual_mov_b32 v9, v5
.LBB134_38:                             ;   in Loop: Header=BB134_2 Depth=1
	s_or_b32 exec_lo, exec_lo, s8
	v_add_nc_u32_e32 v75, 1, v74
	v_add_nc_u32_e32 v76, 1, v73
	v_cndmask_b32_e64 v8, v6, v8, s7
	v_cndmask_b32_e64 v7, v5, v7, s7
	v_mov_b32_e32 v5, v39
	v_cndmask_b32_e64 v74, v75, v74, s7
	v_cndmask_b32_e64 v6, v73, v76, s7
	s_wait_dscnt 0x0
	v_cmp_lt_i64_e64 s7, v[11:12], v[9:10]
	v_cndmask_b32_e64 v2, v2, v4, s6
	v_cndmask_b32_e64 v1, v1, v3, s6
	v_cmp_ge_i32_e64 s8, v74, v26
	v_cmp_lt_i32_e64 s9, v6, v27
	s_wait_loadcnt 0x0
	s_barrier_signal -1
	s_barrier_wait -1
	s_or_b32 s6, s8, s7
	global_inv scope:SCOPE_SE
	s_wait_alu 0xfffe
	s_and_b32 s6, s9, s6
	s_wait_alu 0xfffe
	v_cndmask_b32_e64 v4, v10, v12, s6
	v_cndmask_b32_e64 v3, v9, v11, s6
	ds_store_2addr_b64 v16, v[1:2], v[7:8] offset1:1
	ds_store_b64 v16, v[3:4] offset:16
	s_wait_loadcnt_dscnt 0x0
	s_barrier_signal -1
	s_barrier_wait -1
	global_inv scope:SCOPE_SE
	s_and_saveexec_b32 s7, s2
	s_cbranch_execz .LBB134_42
; %bb.39:                               ;   in Loop: Header=BB134_2 Depth=1
	v_mov_b32_e32 v5, v39
	v_mov_b32_e32 v1, v42
	s_mov_b32 s8, 0
.LBB134_40:                             ;   Parent Loop BB134_2 Depth=1
                                        ; =>  This Inner Loop Header: Depth=2
	s_delay_alu instid0(VALU_DEP_1) | instskip(NEXT) | instid1(VALU_DEP_1)
	v_sub_nc_u32_e32 v2, v1, v5
	v_lshrrev_b32_e32 v2, 1, v2
	s_delay_alu instid0(VALU_DEP_1) | instskip(NEXT) | instid1(VALU_DEP_1)
	v_add_nc_u32_e32 v4, v2, v5
	v_not_b32_e32 v2, v4
	v_lshl_add_u32 v3, v4, 3, v38
	s_delay_alu instid0(VALU_DEP_2)
	v_lshl_add_u32 v6, v2, 3, v63
	ds_load_b64 v[2:3], v3
	ds_load_b64 v[6:7], v6 offset:192
	s_wait_dscnt 0x0
	v_cmp_lt_i64_e64 s6, v[6:7], v[2:3]
	v_add_nc_u32_e32 v2, 1, v4
	s_wait_alu 0xf1ff
	s_delay_alu instid0(VALU_DEP_2) | instskip(NEXT) | instid1(VALU_DEP_2)
	v_cndmask_b32_e64 v1, v1, v4, s6
	v_cndmask_b32_e64 v5, v2, v5, s6
	s_delay_alu instid0(VALU_DEP_1) | instskip(SKIP_1) | instid1(SALU_CYCLE_1)
	v_cmp_ge_i32_e64 s6, v5, v1
	s_or_b32 s8, s6, s8
	s_and_not1_b32 exec_lo, exec_lo, s8
	s_cbranch_execnz .LBB134_40
; %bb.41:                               ;   in Loop: Header=BB134_2 Depth=1
	s_or_b32 exec_lo, exec_lo, s8
.LBB134_42:                             ;   in Loop: Header=BB134_2 Depth=1
	s_wait_alu 0xfffe
	s_or_b32 exec_lo, exec_lo, s7
	v_sub_nc_u32_e32 v1, v70, v5
	v_lshl_add_u32 v7, v5, 3, v38
	v_add_nc_u32_e32 v9, v5, v36
	v_sub_nc_u32_e32 v10, v49, v5
                                        ; implicit-def: $vgpr5_vgpr6
	s_delay_alu instid0(VALU_DEP_4)
	v_lshlrev_b32_e32 v11, 3, v1
	ds_load_b64 v[1:2], v7
	ds_load_b64 v[3:4], v11 offset:192
	v_cmp_le_i32_e64 s7, v33, v9
	v_cmp_gt_i32_e64 s8, v34, v10
	s_wait_dscnt 0x0
	v_cmp_lt_i64_e64 s6, v[3:4], v[1:2]
	s_or_b32 s6, s7, s6
	s_wait_alu 0xfffe
	s_and_b32 s6, s8, s6
	s_wait_alu 0xfffe
	s_xor_b32 s7, s6, -1
	s_wait_alu 0xfffe
	s_and_saveexec_b32 s8, s7
	s_delay_alu instid0(SALU_CYCLE_1)
	s_xor_b32 s7, exec_lo, s8
; %bb.43:                               ;   in Loop: Header=BB134_2 Depth=1
	ds_load_b64 v[5:6], v7 offset:8
                                        ; implicit-def: $vgpr11
; %bb.44:                               ;   in Loop: Header=BB134_2 Depth=1
	s_wait_alu 0xfffe
	s_or_saveexec_b32 s7, s7
	v_dual_mov_b32 v8, v4 :: v_dual_mov_b32 v7, v3
	s_wait_alu 0xfffe
	s_xor_b32 exec_lo, exec_lo, s7
	s_cbranch_execz .LBB134_46
; %bb.45:                               ;   in Loop: Header=BB134_2 Depth=1
	ds_load_b64 v[7:8], v11 offset:200
	s_wait_dscnt 0x1
	v_dual_mov_b32 v6, v2 :: v_dual_mov_b32 v5, v1
.LBB134_46:                             ;   in Loop: Header=BB134_2 Depth=1
	s_or_b32 exec_lo, exec_lo, s7
	v_add_nc_u32_e32 v11, 1, v9
	v_add_nc_u32_e32 v12, 1, v10
	s_wait_dscnt 0x0
	v_cmp_lt_i64_e64 s7, v[7:8], v[5:6]
	s_delay_alu instid0(VALU_DEP_3) | instskip(NEXT) | instid1(VALU_DEP_3)
	v_cndmask_b32_e64 v74, v11, v9, s6
	v_cndmask_b32_e64 v73, v10, v12, s6
                                        ; implicit-def: $vgpr9_vgpr10
	s_delay_alu instid0(VALU_DEP_2) | instskip(NEXT) | instid1(VALU_DEP_2)
	v_cmp_ge_i32_e64 s8, v74, v33
	v_cmp_lt_i32_e64 s9, v73, v34
	s_or_b32 s7, s8, s7
	s_wait_alu 0xfffe
	s_and_b32 s7, s9, s7
	s_wait_alu 0xfffe
	s_xor_b32 s8, s7, -1
	s_delay_alu instid0(SALU_CYCLE_1) | instskip(NEXT) | instid1(SALU_CYCLE_1)
	s_and_saveexec_b32 s9, s8
	s_xor_b32 s8, exec_lo, s9
; %bb.47:                               ;   in Loop: Header=BB134_2 Depth=1
	v_lshlrev_b32_e32 v9, 3, v74
	ds_load_b64 v[9:10], v9 offset:8
; %bb.48:                               ;   in Loop: Header=BB134_2 Depth=1
	s_or_saveexec_b32 s8, s8
	v_dual_mov_b32 v12, v8 :: v_dual_mov_b32 v11, v7
	s_xor_b32 exec_lo, exec_lo, s8
	s_cbranch_execz .LBB134_50
; %bb.49:                               ;   in Loop: Header=BB134_2 Depth=1
	s_wait_dscnt 0x0
	v_lshlrev_b32_e32 v9, 3, v73
	ds_load_b64 v[11:12], v9 offset:8
	v_dual_mov_b32 v10, v6 :: v_dual_mov_b32 v9, v5
.LBB134_50:                             ;   in Loop: Header=BB134_2 Depth=1
	s_or_b32 exec_lo, exec_lo, s8
	v_add_nc_u32_e32 v75, 1, v74
	v_add_nc_u32_e32 v76, 1, v73
	v_cndmask_b32_e64 v8, v6, v8, s7
	v_cndmask_b32_e64 v7, v5, v7, s7
	v_mov_b32_e32 v5, v46
	v_cndmask_b32_e64 v74, v75, v74, s7
	v_cndmask_b32_e64 v6, v73, v76, s7
	s_wait_dscnt 0x0
	v_cmp_lt_i64_e64 s7, v[11:12], v[9:10]
	v_cndmask_b32_e64 v2, v2, v4, s6
	v_cndmask_b32_e64 v1, v1, v3, s6
	v_cmp_ge_i32_e64 s8, v74, v33
	v_cmp_lt_i32_e64 s9, v6, v34
	s_wait_loadcnt 0x0
	s_barrier_signal -1
	s_barrier_wait -1
	s_or_b32 s6, s8, s7
	global_inv scope:SCOPE_SE
	s_wait_alu 0xfffe
	s_and_b32 s6, s9, s6
	s_wait_alu 0xfffe
	v_cndmask_b32_e64 v4, v10, v12, s6
	v_cndmask_b32_e64 v3, v9, v11, s6
	ds_store_2addr_b64 v16, v[1:2], v[7:8] offset1:1
	ds_store_b64 v16, v[3:4] offset:16
	s_wait_loadcnt_dscnt 0x0
	s_barrier_signal -1
	s_barrier_wait -1
	global_inv scope:SCOPE_SE
	s_and_saveexec_b32 s7, s3
	s_cbranch_execz .LBB134_54
; %bb.51:                               ;   in Loop: Header=BB134_2 Depth=1
	v_mov_b32_e32 v5, v46
	v_mov_b32_e32 v1, v47
	s_mov_b32 s8, 0
.LBB134_52:                             ;   Parent Loop BB134_2 Depth=1
                                        ; =>  This Inner Loop Header: Depth=2
	s_delay_alu instid0(VALU_DEP_1) | instskip(NEXT) | instid1(VALU_DEP_1)
	v_sub_nc_u32_e32 v2, v1, v5
	v_lshrrev_b32_e32 v2, 1, v2
	s_delay_alu instid0(VALU_DEP_1) | instskip(NEXT) | instid1(VALU_DEP_1)
	v_add_nc_u32_e32 v4, v2, v5
	v_not_b32_e32 v2, v4
	v_lshl_add_u32 v3, v4, 3, v50
	s_delay_alu instid0(VALU_DEP_2)
	v_lshl_add_u32 v6, v2, 3, v64
	ds_load_b64 v[2:3], v3
	ds_load_b64 v[6:7], v6 offset:384
	s_wait_dscnt 0x0
	v_cmp_lt_i64_e64 s6, v[6:7], v[2:3]
	v_add_nc_u32_e32 v2, 1, v4
	s_wait_alu 0xf1ff
	s_delay_alu instid0(VALU_DEP_2) | instskip(NEXT) | instid1(VALU_DEP_2)
	v_cndmask_b32_e64 v1, v1, v4, s6
	v_cndmask_b32_e64 v5, v2, v5, s6
	s_delay_alu instid0(VALU_DEP_1) | instskip(SKIP_1) | instid1(SALU_CYCLE_1)
	v_cmp_ge_i32_e64 s6, v5, v1
	s_or_b32 s8, s6, s8
	s_and_not1_b32 exec_lo, exec_lo, s8
	s_cbranch_execnz .LBB134_52
; %bb.53:                               ;   in Loop: Header=BB134_2 Depth=1
	s_or_b32 exec_lo, exec_lo, s8
.LBB134_54:                             ;   in Loop: Header=BB134_2 Depth=1
	s_wait_alu 0xfffe
	s_or_b32 exec_lo, exec_lo, s7
	v_sub_nc_u32_e32 v1, v71, v5
	v_lshl_add_u32 v7, v5, 3, v50
	v_add_nc_u32_e32 v9, v5, v43
	v_sub_nc_u32_e32 v10, v52, v5
                                        ; implicit-def: $vgpr5_vgpr6
	s_delay_alu instid0(VALU_DEP_4)
	v_lshlrev_b32_e32 v11, 3, v1
	ds_load_b64 v[1:2], v7
	ds_load_b64 v[3:4], v11 offset:384
	v_cmp_le_i32_e64 s7, v40, v9
	v_cmp_gt_i32_e64 s8, v41, v10
	s_wait_dscnt 0x0
	v_cmp_lt_i64_e64 s6, v[3:4], v[1:2]
	s_or_b32 s6, s7, s6
	s_wait_alu 0xfffe
	s_and_b32 s6, s8, s6
	s_wait_alu 0xfffe
	s_xor_b32 s7, s6, -1
	s_wait_alu 0xfffe
	s_and_saveexec_b32 s8, s7
	s_delay_alu instid0(SALU_CYCLE_1)
	s_xor_b32 s7, exec_lo, s8
; %bb.55:                               ;   in Loop: Header=BB134_2 Depth=1
	ds_load_b64 v[5:6], v7 offset:8
                                        ; implicit-def: $vgpr11
; %bb.56:                               ;   in Loop: Header=BB134_2 Depth=1
	s_wait_alu 0xfffe
	s_or_saveexec_b32 s7, s7
	v_dual_mov_b32 v8, v4 :: v_dual_mov_b32 v7, v3
	s_wait_alu 0xfffe
	s_xor_b32 exec_lo, exec_lo, s7
	s_cbranch_execz .LBB134_58
; %bb.57:                               ;   in Loop: Header=BB134_2 Depth=1
	ds_load_b64 v[7:8], v11 offset:392
	s_wait_dscnt 0x1
	v_dual_mov_b32 v6, v2 :: v_dual_mov_b32 v5, v1
.LBB134_58:                             ;   in Loop: Header=BB134_2 Depth=1
	s_or_b32 exec_lo, exec_lo, s7
	v_add_nc_u32_e32 v11, 1, v9
	v_add_nc_u32_e32 v12, 1, v10
	s_wait_dscnt 0x0
	v_cmp_lt_i64_e64 s7, v[7:8], v[5:6]
	s_delay_alu instid0(VALU_DEP_3) | instskip(NEXT) | instid1(VALU_DEP_3)
	v_cndmask_b32_e64 v74, v11, v9, s6
	v_cndmask_b32_e64 v73, v10, v12, s6
                                        ; implicit-def: $vgpr9_vgpr10
	s_delay_alu instid0(VALU_DEP_2) | instskip(NEXT) | instid1(VALU_DEP_2)
	v_cmp_ge_i32_e64 s8, v74, v40
	v_cmp_lt_i32_e64 s9, v73, v41
	s_or_b32 s7, s8, s7
	s_wait_alu 0xfffe
	s_and_b32 s7, s9, s7
	s_wait_alu 0xfffe
	s_xor_b32 s8, s7, -1
	s_delay_alu instid0(SALU_CYCLE_1) | instskip(NEXT) | instid1(SALU_CYCLE_1)
	s_and_saveexec_b32 s9, s8
	s_xor_b32 s8, exec_lo, s9
; %bb.59:                               ;   in Loop: Header=BB134_2 Depth=1
	v_lshlrev_b32_e32 v9, 3, v74
	ds_load_b64 v[9:10], v9 offset:8
; %bb.60:                               ;   in Loop: Header=BB134_2 Depth=1
	s_or_saveexec_b32 s8, s8
	v_dual_mov_b32 v12, v8 :: v_dual_mov_b32 v11, v7
	s_xor_b32 exec_lo, exec_lo, s8
	s_cbranch_execz .LBB134_62
; %bb.61:                               ;   in Loop: Header=BB134_2 Depth=1
	s_wait_dscnt 0x0
	v_lshlrev_b32_e32 v9, 3, v73
	ds_load_b64 v[11:12], v9 offset:8
	v_dual_mov_b32 v10, v6 :: v_dual_mov_b32 v9, v5
.LBB134_62:                             ;   in Loop: Header=BB134_2 Depth=1
	s_or_b32 exec_lo, exec_lo, s8
	v_add_nc_u32_e32 v75, 1, v74
	v_add_nc_u32_e32 v76, 1, v73
	v_cndmask_b32_e64 v8, v6, v8, s7
	v_cndmask_b32_e64 v7, v5, v7, s7
	v_mov_b32_e32 v5, v53
	v_cndmask_b32_e64 v74, v75, v74, s7
	v_cndmask_b32_e64 v6, v73, v76, s7
	s_wait_dscnt 0x0
	v_cmp_lt_i64_e64 s7, v[11:12], v[9:10]
	v_cndmask_b32_e64 v2, v2, v4, s6
	v_cndmask_b32_e64 v1, v1, v3, s6
	v_cmp_ge_i32_e64 s8, v74, v40
	v_cmp_lt_i32_e64 s9, v6, v41
	s_wait_loadcnt 0x0
	s_barrier_signal -1
	s_barrier_wait -1
	s_or_b32 s6, s8, s7
	global_inv scope:SCOPE_SE
	s_wait_alu 0xfffe
	s_and_b32 s6, s9, s6
	s_wait_alu 0xfffe
	v_cndmask_b32_e64 v4, v10, v12, s6
	v_cndmask_b32_e64 v3, v9, v11, s6
	ds_store_2addr_b64 v16, v[1:2], v[7:8] offset1:1
	ds_store_b64 v16, v[3:4] offset:16
	s_wait_loadcnt_dscnt 0x0
	s_barrier_signal -1
	s_barrier_wait -1
	global_inv scope:SCOPE_SE
	s_and_saveexec_b32 s7, s4
	s_cbranch_execz .LBB134_66
; %bb.63:                               ;   in Loop: Header=BB134_2 Depth=1
	v_mov_b32_e32 v5, v53
	v_mov_b32_e32 v1, v54
	s_mov_b32 s8, 0
.LBB134_64:                             ;   Parent Loop BB134_2 Depth=1
                                        ; =>  This Inner Loop Header: Depth=2
	s_delay_alu instid0(VALU_DEP_1) | instskip(NEXT) | instid1(VALU_DEP_1)
	v_sub_nc_u32_e32 v2, v1, v5
	v_lshrrev_b32_e32 v2, 1, v2
	s_delay_alu instid0(VALU_DEP_1) | instskip(NEXT) | instid1(VALU_DEP_1)
	v_add_nc_u32_e32 v4, v2, v5
	v_not_b32_e32 v2, v4
	v_lshl_add_u32 v3, v4, 3, v57
	s_delay_alu instid0(VALU_DEP_2)
	v_lshl_add_u32 v6, v2, 3, v65
	ds_load_b64 v[2:3], v3
	ds_load_b64 v[6:7], v6 offset:768
	s_wait_dscnt 0x0
	v_cmp_lt_i64_e64 s6, v[6:7], v[2:3]
	v_add_nc_u32_e32 v2, 1, v4
	s_wait_alu 0xf1ff
	s_delay_alu instid0(VALU_DEP_2) | instskip(NEXT) | instid1(VALU_DEP_2)
	v_cndmask_b32_e64 v1, v1, v4, s6
	v_cndmask_b32_e64 v5, v2, v5, s6
	s_delay_alu instid0(VALU_DEP_1) | instskip(SKIP_1) | instid1(SALU_CYCLE_1)
	v_cmp_ge_i32_e64 s6, v5, v1
	s_or_b32 s8, s6, s8
	s_and_not1_b32 exec_lo, exec_lo, s8
	s_cbranch_execnz .LBB134_64
; %bb.65:                               ;   in Loop: Header=BB134_2 Depth=1
	s_or_b32 exec_lo, exec_lo, s8
.LBB134_66:                             ;   in Loop: Header=BB134_2 Depth=1
	s_wait_alu 0xfffe
	s_or_b32 exec_lo, exec_lo, s7
	v_sub_nc_u32_e32 v1, v72, v5
	v_lshl_add_u32 v7, v5, 3, v57
	v_add_nc_u32_e32 v9, v5, v48
	v_sub_nc_u32_e32 v10, v58, v5
                                        ; implicit-def: $vgpr5_vgpr6
	s_delay_alu instid0(VALU_DEP_4)
	v_lshlrev_b32_e32 v11, 3, v1
	ds_load_b64 v[1:2], v7
	ds_load_b64 v[3:4], v11 offset:768
	v_cmp_le_i32_e64 s7, v44, v9
	v_cmp_gt_i32_e64 s8, v45, v10
	s_wait_dscnt 0x0
	v_cmp_lt_i64_e64 s6, v[3:4], v[1:2]
	s_or_b32 s6, s7, s6
	s_wait_alu 0xfffe
	s_and_b32 s6, s8, s6
	s_wait_alu 0xfffe
	s_xor_b32 s7, s6, -1
	s_wait_alu 0xfffe
	s_and_saveexec_b32 s8, s7
	s_delay_alu instid0(SALU_CYCLE_1)
	s_xor_b32 s7, exec_lo, s8
; %bb.67:                               ;   in Loop: Header=BB134_2 Depth=1
	ds_load_b64 v[5:6], v7 offset:8
                                        ; implicit-def: $vgpr11
; %bb.68:                               ;   in Loop: Header=BB134_2 Depth=1
	s_wait_alu 0xfffe
	s_or_saveexec_b32 s7, s7
	v_dual_mov_b32 v8, v4 :: v_dual_mov_b32 v7, v3
	s_wait_alu 0xfffe
	s_xor_b32 exec_lo, exec_lo, s7
	s_cbranch_execz .LBB134_70
; %bb.69:                               ;   in Loop: Header=BB134_2 Depth=1
	ds_load_b64 v[7:8], v11 offset:776
	s_wait_dscnt 0x1
	v_dual_mov_b32 v6, v2 :: v_dual_mov_b32 v5, v1
.LBB134_70:                             ;   in Loop: Header=BB134_2 Depth=1
	s_or_b32 exec_lo, exec_lo, s7
	v_add_nc_u32_e32 v11, 1, v9
	v_add_nc_u32_e32 v12, 1, v10
	s_wait_dscnt 0x0
	v_cmp_lt_i64_e64 s7, v[7:8], v[5:6]
	s_delay_alu instid0(VALU_DEP_3) | instskip(NEXT) | instid1(VALU_DEP_3)
	v_cndmask_b32_e64 v74, v11, v9, s6
	v_cndmask_b32_e64 v73, v10, v12, s6
                                        ; implicit-def: $vgpr9_vgpr10
	s_delay_alu instid0(VALU_DEP_2) | instskip(NEXT) | instid1(VALU_DEP_2)
	v_cmp_ge_i32_e64 s8, v74, v44
	v_cmp_lt_i32_e64 s9, v73, v45
	s_or_b32 s7, s8, s7
	s_wait_alu 0xfffe
	s_and_b32 s7, s9, s7
	s_wait_alu 0xfffe
	s_xor_b32 s8, s7, -1
	s_delay_alu instid0(SALU_CYCLE_1) | instskip(NEXT) | instid1(SALU_CYCLE_1)
	s_and_saveexec_b32 s9, s8
	s_xor_b32 s8, exec_lo, s9
; %bb.71:                               ;   in Loop: Header=BB134_2 Depth=1
	v_lshlrev_b32_e32 v9, 3, v74
	ds_load_b64 v[9:10], v9 offset:8
; %bb.72:                               ;   in Loop: Header=BB134_2 Depth=1
	s_or_saveexec_b32 s8, s8
	v_dual_mov_b32 v12, v8 :: v_dual_mov_b32 v11, v7
	s_xor_b32 exec_lo, exec_lo, s8
	s_cbranch_execz .LBB134_74
; %bb.73:                               ;   in Loop: Header=BB134_2 Depth=1
	s_wait_dscnt 0x0
	v_lshlrev_b32_e32 v9, 3, v73
	ds_load_b64 v[11:12], v9 offset:8
	v_dual_mov_b32 v10, v6 :: v_dual_mov_b32 v9, v5
.LBB134_74:                             ;   in Loop: Header=BB134_2 Depth=1
	s_or_b32 exec_lo, exec_lo, s8
	v_add_nc_u32_e32 v75, 1, v74
	v_add_nc_u32_e32 v76, 1, v73
	v_cndmask_b32_e64 v6, v6, v8, s7
	v_cndmask_b32_e64 v5, v5, v7, s7
	;; [unrolled: 1-line block ×5, first 2 shown]
	s_wait_dscnt 0x0
	v_cmp_lt_i64_e64 s7, v[11:12], v[9:10]
	v_cndmask_b32_e64 v1, v1, v3, s6
	s_wait_loadcnt 0x0
	v_cmp_ge_i32_e64 s8, v74, v44
	v_cmp_lt_i32_e64 s9, v8, v45
	s_barrier_signal -1
	s_barrier_wait -1
	global_inv scope:SCOPE_SE
	s_or_b32 s6, s8, s7
	s_wait_alu 0xfffe
	s_and_b32 s6, s9, s6
	s_wait_alu 0xfffe
	v_cndmask_b32_e64 v3, v9, v11, s6
	v_mov_b32_e32 v9, v55
	v_cndmask_b32_e64 v4, v10, v12, s6
	ds_store_2addr_b64 v16, v[1:2], v[5:6] offset1:1
	ds_store_b64 v16, v[3:4] offset:16
	s_wait_loadcnt_dscnt 0x0
	s_barrier_signal -1
	s_barrier_wait -1
	global_inv scope:SCOPE_SE
	s_and_saveexec_b32 s7, s5
	s_cbranch_execz .LBB134_78
; %bb.75:                               ;   in Loop: Header=BB134_2 Depth=1
	v_mov_b32_e32 v9, v55
	v_mov_b32_e32 v1, v56
	s_mov_b32 s8, 0
.LBB134_76:                             ;   Parent Loop BB134_2 Depth=1
                                        ; =>  This Inner Loop Header: Depth=2
	s_delay_alu instid0(VALU_DEP_1) | instskip(NEXT) | instid1(VALU_DEP_1)
	v_sub_nc_u32_e32 v2, v1, v9
	v_lshrrev_b32_e32 v2, 1, v2
	s_delay_alu instid0(VALU_DEP_1) | instskip(NEXT) | instid1(VALU_DEP_1)
	v_add_nc_u32_e32 v6, v2, v9
	v_not_b32_e32 v2, v6
	v_lshlrev_b32_e32 v3, 3, v6
	s_delay_alu instid0(VALU_DEP_2)
	v_lshl_add_u32 v4, v2, 3, v66
	ds_load_b64 v[2:3], v3
	ds_load_b64 v[4:5], v4 offset:1536
	s_wait_dscnt 0x0
	v_cmp_lt_i64_e64 s6, v[4:5], v[2:3]
	v_add_nc_u32_e32 v2, 1, v6
	s_wait_alu 0xf1ff
	s_delay_alu instid0(VALU_DEP_2) | instskip(NEXT) | instid1(VALU_DEP_2)
	v_cndmask_b32_e64 v1, v1, v6, s6
	v_cndmask_b32_e64 v9, v2, v9, s6
	s_delay_alu instid0(VALU_DEP_1) | instskip(SKIP_1) | instid1(SALU_CYCLE_1)
	v_cmp_ge_i32_e64 s6, v9, v1
	s_or_b32 s8, s6, s8
	s_and_not1_b32 exec_lo, exec_lo, s8
	s_cbranch_execnz .LBB134_76
; %bb.77:                               ;   in Loop: Header=BB134_2 Depth=1
	s_or_b32 exec_lo, exec_lo, s8
.LBB134_78:                             ;   in Loop: Header=BB134_2 Depth=1
	s_wait_alu 0xfffe
	s_or_b32 exec_lo, exec_lo, s7
	v_sub_nc_u32_e32 v1, v51, v9
	v_lshlrev_b32_e32 v7, 3, v9
	v_sub_nc_u32_e32 v10, v59, v9
	v_cmp_le_i32_e64 s7, 0xc0, v9
                                        ; implicit-def: $vgpr5_vgpr6
	s_delay_alu instid0(VALU_DEP_4)
	v_lshlrev_b32_e32 v11, 3, v1
	ds_load_b64 v[1:2], v7
	ds_load_b64 v[3:4], v11 offset:1536
	v_cmp_gt_i32_e64 s8, 0x180, v10
	s_wait_dscnt 0x0
	v_cmp_lt_i64_e64 s6, v[3:4], v[1:2]
	s_or_b32 s6, s7, s6
	s_wait_alu 0xfffe
	s_and_b32 s6, s8, s6
	s_wait_alu 0xfffe
	s_xor_b32 s7, s6, -1
	s_wait_alu 0xfffe
	s_and_saveexec_b32 s8, s7
	s_delay_alu instid0(SALU_CYCLE_1)
	s_xor_b32 s7, exec_lo, s8
; %bb.79:                               ;   in Loop: Header=BB134_2 Depth=1
	ds_load_b64 v[5:6], v7 offset:8
                                        ; implicit-def: $vgpr11
; %bb.80:                               ;   in Loop: Header=BB134_2 Depth=1
	s_wait_alu 0xfffe
	s_or_saveexec_b32 s7, s7
	v_dual_mov_b32 v8, v4 :: v_dual_mov_b32 v7, v3
	s_wait_alu 0xfffe
	s_xor_b32 exec_lo, exec_lo, s7
	s_cbranch_execz .LBB134_82
; %bb.81:                               ;   in Loop: Header=BB134_2 Depth=1
	ds_load_b64 v[7:8], v11 offset:1544
	s_wait_dscnt 0x1
	v_dual_mov_b32 v6, v2 :: v_dual_mov_b32 v5, v1
.LBB134_82:                             ;   in Loop: Header=BB134_2 Depth=1
	s_or_b32 exec_lo, exec_lo, s7
	v_add_nc_u32_e32 v11, 1, v9
	v_add_nc_u32_e32 v12, 1, v10
	s_wait_dscnt 0x0
	v_cmp_lt_i64_e64 s7, v[7:8], v[5:6]
                                        ; implicit-def: $vgpr74
	s_delay_alu instid0(VALU_DEP_3) | instskip(NEXT) | instid1(VALU_DEP_3)
	v_cndmask_b32_e64 v75, v11, v9, s6
	v_cndmask_b32_e64 v73, v10, v12, s6
                                        ; implicit-def: $vgpr9_vgpr10
	s_delay_alu instid0(VALU_DEP_2) | instskip(NEXT) | instid1(VALU_DEP_2)
	v_cmp_le_i32_e64 s8, 0xc0, v75
	v_cmp_gt_i32_e64 s9, 0x180, v73
	s_or_b32 s7, s8, s7
	s_wait_alu 0xfffe
	s_and_b32 s7, s9, s7
	s_wait_alu 0xfffe
	s_xor_b32 s8, s7, -1
	s_delay_alu instid0(SALU_CYCLE_1) | instskip(NEXT) | instid1(SALU_CYCLE_1)
	s_and_saveexec_b32 s9, s8
	s_xor_b32 s8, exec_lo, s9
; %bb.83:                               ;   in Loop: Header=BB134_2 Depth=1
	v_lshlrev_b32_e32 v9, 3, v75
	v_add_nc_u32_e32 v74, 1, v75
                                        ; implicit-def: $vgpr75
	ds_load_b64 v[9:10], v9 offset:8
; %bb.84:                               ;   in Loop: Header=BB134_2 Depth=1
	s_or_saveexec_b32 s8, s8
	v_dual_mov_b32 v12, v8 :: v_dual_mov_b32 v11, v7
	s_xor_b32 exec_lo, exec_lo, s8
	s_cbranch_execz .LBB134_1
; %bb.85:                               ;   in Loop: Header=BB134_2 Depth=1
	s_wait_dscnt 0x0
	v_dual_mov_b32 v74, v75 :: v_dual_lshlrev_b32 v9, 3, v73
	v_add_nc_u32_e32 v73, 1, v73
	ds_load_b64 v[11:12], v9 offset:8
	v_dual_mov_b32 v10, v6 :: v_dual_mov_b32 v9, v5
	s_branch .LBB134_1
.LBB134_86:
	v_lshlrev_b32_e32 v0, 3, v0
	s_add_nc_u64 s[0:1], s[14:15], s[16:17]
	s_clause 0x2
	global_store_b64 v0, v[3:4], s[0:1]
	global_store_b64 v0, v[5:6], s[0:1] offset:1024
	global_store_b64 v0, v[1:2], s[0:1] offset:2048
	s_endpgm
	.section	.rodata,"a",@progbits
	.p2align	6, 0x0
	.amdhsa_kernel _Z16sort_keys_kernelIxLj128ELj3EN10test_utils4lessELj10EEvPKT_PS2_T2_
		.amdhsa_group_segment_fixed_size 3080
		.amdhsa_private_segment_fixed_size 0
		.amdhsa_kernarg_size 20
		.amdhsa_user_sgpr_count 2
		.amdhsa_user_sgpr_dispatch_ptr 0
		.amdhsa_user_sgpr_queue_ptr 0
		.amdhsa_user_sgpr_kernarg_segment_ptr 1
		.amdhsa_user_sgpr_dispatch_id 0
		.amdhsa_user_sgpr_private_segment_size 0
		.amdhsa_wavefront_size32 1
		.amdhsa_uses_dynamic_stack 0
		.amdhsa_enable_private_segment 0
		.amdhsa_system_sgpr_workgroup_id_x 1
		.amdhsa_system_sgpr_workgroup_id_y 0
		.amdhsa_system_sgpr_workgroup_id_z 0
		.amdhsa_system_sgpr_workgroup_info 0
		.amdhsa_system_vgpr_workitem_id 0
		.amdhsa_next_free_vgpr 77
		.amdhsa_next_free_sgpr 18
		.amdhsa_reserve_vcc 1
		.amdhsa_float_round_mode_32 0
		.amdhsa_float_round_mode_16_64 0
		.amdhsa_float_denorm_mode_32 3
		.amdhsa_float_denorm_mode_16_64 3
		.amdhsa_fp16_overflow 0
		.amdhsa_workgroup_processor_mode 1
		.amdhsa_memory_ordered 1
		.amdhsa_forward_progress 1
		.amdhsa_inst_pref_size 45
		.amdhsa_round_robin_scheduling 0
		.amdhsa_exception_fp_ieee_invalid_op 0
		.amdhsa_exception_fp_denorm_src 0
		.amdhsa_exception_fp_ieee_div_zero 0
		.amdhsa_exception_fp_ieee_overflow 0
		.amdhsa_exception_fp_ieee_underflow 0
		.amdhsa_exception_fp_ieee_inexact 0
		.amdhsa_exception_int_div_zero 0
	.end_amdhsa_kernel
	.section	.text._Z16sort_keys_kernelIxLj128ELj3EN10test_utils4lessELj10EEvPKT_PS2_T2_,"axG",@progbits,_Z16sort_keys_kernelIxLj128ELj3EN10test_utils4lessELj10EEvPKT_PS2_T2_,comdat
.Lfunc_end134:
	.size	_Z16sort_keys_kernelIxLj128ELj3EN10test_utils4lessELj10EEvPKT_PS2_T2_, .Lfunc_end134-_Z16sort_keys_kernelIxLj128ELj3EN10test_utils4lessELj10EEvPKT_PS2_T2_
                                        ; -- End function
	.set _Z16sort_keys_kernelIxLj128ELj3EN10test_utils4lessELj10EEvPKT_PS2_T2_.num_vgpr, 77
	.set _Z16sort_keys_kernelIxLj128ELj3EN10test_utils4lessELj10EEvPKT_PS2_T2_.num_agpr, 0
	.set _Z16sort_keys_kernelIxLj128ELj3EN10test_utils4lessELj10EEvPKT_PS2_T2_.numbered_sgpr, 18
	.set _Z16sort_keys_kernelIxLj128ELj3EN10test_utils4lessELj10EEvPKT_PS2_T2_.num_named_barrier, 0
	.set _Z16sort_keys_kernelIxLj128ELj3EN10test_utils4lessELj10EEvPKT_PS2_T2_.private_seg_size, 0
	.set _Z16sort_keys_kernelIxLj128ELj3EN10test_utils4lessELj10EEvPKT_PS2_T2_.uses_vcc, 1
	.set _Z16sort_keys_kernelIxLj128ELj3EN10test_utils4lessELj10EEvPKT_PS2_T2_.uses_flat_scratch, 0
	.set _Z16sort_keys_kernelIxLj128ELj3EN10test_utils4lessELj10EEvPKT_PS2_T2_.has_dyn_sized_stack, 0
	.set _Z16sort_keys_kernelIxLj128ELj3EN10test_utils4lessELj10EEvPKT_PS2_T2_.has_recursion, 0
	.set _Z16sort_keys_kernelIxLj128ELj3EN10test_utils4lessELj10EEvPKT_PS2_T2_.has_indirect_call, 0
	.section	.AMDGPU.csdata,"",@progbits
; Kernel info:
; codeLenInByte = 5760
; TotalNumSgprs: 20
; NumVgprs: 77
; ScratchSize: 0
; MemoryBound: 0
; FloatMode: 240
; IeeeMode: 1
; LDSByteSize: 3080 bytes/workgroup (compile time only)
; SGPRBlocks: 0
; VGPRBlocks: 9
; NumSGPRsForWavesPerEU: 20
; NumVGPRsForWavesPerEU: 77
; Occupancy: 16
; WaveLimiterHint : 1
; COMPUTE_PGM_RSRC2:SCRATCH_EN: 0
; COMPUTE_PGM_RSRC2:USER_SGPR: 2
; COMPUTE_PGM_RSRC2:TRAP_HANDLER: 0
; COMPUTE_PGM_RSRC2:TGID_X_EN: 1
; COMPUTE_PGM_RSRC2:TGID_Y_EN: 0
; COMPUTE_PGM_RSRC2:TGID_Z_EN: 0
; COMPUTE_PGM_RSRC2:TIDIG_COMP_CNT: 0
	.section	.text._Z17sort_pairs_kernelIxLj128ELj3EN10test_utils4lessELj10EEvPKT_PS2_T2_,"axG",@progbits,_Z17sort_pairs_kernelIxLj128ELj3EN10test_utils4lessELj10EEvPKT_PS2_T2_,comdat
	.protected	_Z17sort_pairs_kernelIxLj128ELj3EN10test_utils4lessELj10EEvPKT_PS2_T2_ ; -- Begin function _Z17sort_pairs_kernelIxLj128ELj3EN10test_utils4lessELj10EEvPKT_PS2_T2_
	.globl	_Z17sort_pairs_kernelIxLj128ELj3EN10test_utils4lessELj10EEvPKT_PS2_T2_
	.p2align	8
	.type	_Z17sort_pairs_kernelIxLj128ELj3EN10test_utils4lessELj10EEvPKT_PS2_T2_,@function
_Z17sort_pairs_kernelIxLj128ELj3EN10test_utils4lessELj10EEvPKT_PS2_T2_: ; @_Z17sort_pairs_kernelIxLj128ELj3EN10test_utils4lessELj10EEvPKT_PS2_T2_
; %bb.0:
	s_load_b128 s[12:15], s[0:1], 0x0
	s_mul_i32 s18, ttmp9, 0x180
	s_mov_b32 s19, 0
	v_lshlrev_b32_e32 v1, 3, v0
	s_lshl_b64 s[16:17], s[18:19], 3
	v_and_b32_e32 v7, 0x7e, v0
	v_and_b32_e32 v9, 0x7c, v0
	;; [unrolled: 1-line block ×5, first 2 shown]
	v_mul_u32_u24_e32 v7, 3, v7
	v_mul_u32_u24_e32 v9, 3, v9
	v_and_b32_e32 v15, 0x60, v0
	v_cmp_eq_u32_e32 vcc_lo, 1, v8
	v_mul_u32_u24_e32 v11, 3, v11
	v_min_u32_e32 v31, 0x180, v7
	v_min_u32_e32 v24, 0x17d, v7
	;; [unrolled: 1-line block ×3, first 2 shown]
	v_mul_u32_u24_e32 v13, 3, v13
	v_min_u32_e32 v32, 0x180, v9
	s_wait_kmcnt 0x0
	s_add_nc_u64 s[0:1], s[12:13], s[16:17]
	v_min_u32_e32 v62, 0x17a, v9
	s_clause 0x2
	global_load_b64 v[5:6], v1, s[0:1]
	global_load_b64 v[3:4], v1, s[0:1] offset:1024
	global_load_b64 v[1:2], v1, s[0:1] offset:2048
	v_min_u32_e32 v9, 0x174, v9
	v_add_nc_u32_e32 v37, 3, v24
	v_add_nc_u32_e32 v38, 6, v7
	v_and_b32_e32 v10, 3, v0
	v_and_b32_e32 v17, 64, v0
	v_cndmask_b32_e64 v8, 0, 3, vcc_lo
	v_mul_u32_u24_e32 v15, 3, v15
	v_min_u32_e32 v33, 0x180, v11
	v_min_u32_e32 v63, 0x174, v11
	;; [unrolled: 1-line block ×6, first 2 shown]
	v_add_nc_u32_e32 v40, 6, v62
	v_add_nc_u32_e32 v41, 12, v9
	v_sub_nc_u32_e32 v9, v38, v37
	v_and_b32_e32 v12, 7, v0
	v_mul_u32_u24_e32 v19, 3, v10
	v_mul_u32_u24_e32 v17, 3, v17
	v_min_u32_e32 v35, 0x180, v15
	v_min_u32_e32 v65, 0x150, v15
	;; [unrolled: 1-line block ×3, first 2 shown]
	v_add_nc_u32_e32 v43, 12, v63
	v_add_nc_u32_e32 v44, 24, v11
	;; [unrolled: 1-line block ×3, first 2 shown]
	v_sub_nc_u32_e32 v7, v37, v31
	v_sub_nc_u32_e32 v13, v41, v40
	;; [unrolled: 1-line block ×3, first 2 shown]
	v_cmp_ge_i32_e64 s0, v8, v9
	v_and_b32_e32 v14, 15, v0
	v_mul_u32_u24_e32 v20, 3, v12
	v_min_u32_e32 v36, 0x180, v17
	v_min_u32_e32 v84, 0x120, v17
	;; [unrolled: 1-line block ×3, first 2 shown]
	v_lshlrev_b32_e32 v56, 3, v19
	v_add_nc_u32_e32 v46, 24, v64
	v_add_nc_u32_e32 v50, 0x60, v15
	v_sub_nc_u32_e32 v11, v40, v32
	v_sub_nc_u32_e32 v15, v44, v43
	v_min_i32_e32 v72, v8, v7
	v_sub_nc_u32_e32 v7, v19, v13
	v_cndmask_b32_e64 v78, 0, v78, s0
	v_cmp_ge_i32_e64 s0, v19, v13
	v_and_b32_e32 v16, 31, v0
	v_mul_u32_u24_e32 v21, 3, v14
	v_lshlrev_b32_e32 v55, 3, v8
	v_lshlrev_b32_e32 v57, 3, v20
	v_add_nc_u32_e32 v49, 48, v65
	v_add_nc_u32_e32 v53, 0xc0, v17
	v_lshl_add_u32 v56, v62, 3, v56
	v_mad_u32_u24 v62, v10, 3, v62
	v_mad_u32_u24 v67, v10, 3, v40
	v_sub_nc_u32_e32 v10, v43, v33
	v_sub_nc_u32_e32 v17, v47, v46
	v_min_i32_e32 v73, v19, v11
	v_sub_nc_u32_e32 v11, v20, v15
	s_wait_alu 0xf1ff
	v_cndmask_b32_e64 v79, 0, v7, s0
	v_cmp_ge_i32_e64 s0, v20, v15
	v_and_b32_e32 v18, 63, v0
	v_mul_u32_u24_e32 v22, 3, v16
	v_lshlrev_b32_e32 v58, 3, v21
	v_add_nc_u32_e32 v52, 0x60, v84
	v_lshl_add_u32 v55, v24, 3, v55
	v_lshl_add_u32 v57, v63, 3, v57
	v_add_nc_u32_e32 v61, v24, v8
	v_mad_u32_u24 v63, v12, 3, v63
	v_mad_u32_u24 v68, v12, 3, v43
	v_sub_nc_u32_e32 v12, v46, v34
	v_sub_nc_u32_e32 v24, v50, v49
	v_min_i32_e32 v74, v20, v10
	v_sub_nc_u32_e32 v10, v21, v17
	s_wait_alu 0xf1ff
	v_cndmask_b32_e64 v80, 0, v11, s0
	v_cmp_ge_i32_e64 s0, v21, v17
	v_mul_u32_u24_e32 v23, 3, v18
	v_lshlrev_b32_e32 v59, 3, v22
	v_lshl_add_u32 v58, v64, 3, v58
	v_mad_u32_u24 v64, v14, 3, v64
	v_mad_u32_u24 v69, v14, 3, v46
	v_sub_nc_u32_e32 v14, v49, v35
	v_sub_nc_u32_e32 v83, v53, v52
	v_min_i32_e32 v75, v21, v12
	v_sub_nc_u32_e32 v12, v22, v24
	s_wait_alu 0xf1ff
	v_cndmask_b32_e64 v81, 0, v10, s0
	v_cmp_ge_i32_e64 s0, v22, v24
	v_lshl_add_u32 v59, v65, 3, v59
	v_mad_u32_u24 v65, v16, 3, v65
	v_mad_u32_u24 v70, v16, 3, v49
	v_sub_nc_u32_e32 v16, v52, v36
	v_min_i32_e32 v76, v22, v14
	v_sub_nc_u32_e32 v14, v23, v83
	s_wait_alu 0xf1ff
	v_cndmask_b32_e64 v82, 0, v12, s0
	v_cmp_ge_i32_e64 s0, v23, v83
	v_mul_u32_u24_e32 v26, 3, v0
	v_lshlrev_b32_e32 v60, 3, v23
	v_min_i32_e32 v77, v23, v16
	v_mul_u32_u24_e32 v25, 24, v0
	s_wait_alu 0xf1ff
	v_cndmask_b32_e64 v83, 0, v14, s0
	v_mad_u32_u24 v27, v0, 3, 0xc0
	v_subrev_nc_u32_e64 v28, 0xc0, v26 clamp
	v_min_i32_e32 v29, 0xc0, v26
	v_lshlrev_b32_e32 v30, 3, v26
	v_lshlrev_b32_e32 v39, 3, v31
	;; [unrolled: 1-line block ×7, first 2 shown]
	v_lshl_add_u32 v60, v84, 3, v60
	v_add_nc_u32_e32 v66, v37, v8
	v_mad_u32_u24 v71, v18, 3, v52
	v_cmp_lt_i32_e64 s0, v78, v72
	v_cmp_lt_i32_e64 s1, v79, v73
	;; [unrolled: 1-line block ×6, first 2 shown]
	v_mad_u32_u24 v84, v18, 3, v84
	v_cmp_lt_i32_e32 vcc_lo, v28, v29
	s_wait_loadcnt 0x2
	v_add_co_u32 v11, s6, v5, 1
	s_delay_alu instid0(VALU_DEP_1)
	v_add_co_ci_u32_e64 v12, null, 0, v6, s6
	s_wait_loadcnt 0x1
	v_add_co_u32 v9, s6, v3, 1
	s_wait_alu 0xf1ff
	v_add_co_ci_u32_e64 v10, null, 0, v4, s6
	s_wait_loadcnt 0x0
	v_add_co_u32 v7, s6, v1, 1
	s_wait_alu 0xf1ff
	v_add_co_ci_u32_e64 v8, null, 0, v2, s6
	s_branch .LBB135_2
.LBB135_1:                              ;   in Loop: Header=BB135_2 Depth=1
	s_or_b32 exec_lo, exec_lo, s8
	s_wait_dscnt 0x0
	s_delay_alu instid0(VALU_DEP_1)
	v_cmp_lt_i64_e64 s8, v[21:22], v[1:2]
	v_cmp_le_i32_e64 s9, 0xc0, v23
	v_cmp_gt_i32_e64 s10, 0x180, v11
	v_cndmask_b32_e64 v9, v9, v10, s6
	s_wait_loadcnt 0x0
	s_barrier_signal -1
	s_or_b32 s8, s9, s8
	s_barrier_wait -1
	s_wait_alu 0xfffe
	s_and_b32 s8, s10, s8
	global_inv scope:SCOPE_SE
	s_wait_alu 0xfffe
	v_cndmask_b32_e64 v10, v23, v11, s8
	ds_store_2addr_b64 v25, v[3:4], v[7:8] offset1:1
	ds_store_b64 v25, v[5:6] offset:16
	v_lshlrev_b32_e32 v3, 3, v9
	v_lshlrev_b32_e32 v4, 3, v12
	s_wait_loadcnt_dscnt 0x0
	v_lshlrev_b32_e32 v5, 3, v10
	s_barrier_signal -1
	s_barrier_wait -1
	global_inv scope:SCOPE_SE
	ds_load_b64 v[11:12], v3
	ds_load_b64 v[9:10], v4
	;; [unrolled: 1-line block ×3, first 2 shown]
	v_cndmask_b32_e64 v2, v2, v22, s8
	v_cndmask_b32_e64 v6, v14, v16, s6
	;; [unrolled: 1-line block ×6, first 2 shown]
	s_add_co_i32 s19, s19, 1
	s_delay_alu instid0(SALU_CYCLE_1)
	s_cmp_eq_u32 s19, 10
	s_cbranch_scc1 .LBB135_86
.LBB135_2:                              ; =>This Loop Header: Depth=1
                                        ;     Child Loop BB135_4 Depth 2
                                        ;     Child Loop BB135_16 Depth 2
	;; [unrolled: 1-line block ×7, first 2 shown]
	v_cmp_gt_i64_e64 s6, v[3:4], v[5:6]
	v_cmp_lt_i64_e64 s8, v[3:4], v[5:6]
	s_barrier_signal -1
	s_barrier_wait -1
	global_inv scope:SCOPE_SE
	s_wait_alu 0xf1ff
	v_cndmask_b32_e64 v14, v6, v4, s6
	v_cndmask_b32_e64 v13, v5, v3, s6
	;; [unrolled: 1-line block ×6, first 2 shown]
	v_cmp_lt_i64_e64 s6, v[1:2], v[13:14]
	s_wait_alu 0xf1ff
	s_delay_alu instid0(VALU_DEP_1) | instskip(SKIP_4) | instid1(VALU_DEP_4)
	v_cndmask_b32_e64 v18, v14, v2, s6
	v_cndmask_b32_e64 v17, v13, v1, s6
	;; [unrolled: 1-line block ×5, first 2 shown]
	v_cmp_lt_i64_e64 s7, v[17:18], v[15:16]
	s_wait_alu 0xf1ff
	s_delay_alu instid0(VALU_DEP_1) | instskip(NEXT) | instid1(VALU_DEP_3)
	v_cndmask_b32_e64 v6, v2, v16, s7
	v_cndmask_b32_e64 v5, v3, v15, s7
	;; [unrolled: 1-line block ×4, first 2 shown]
	v_mov_b32_e32 v2, v78
	v_cndmask_b32_e64 v3, v1, v13, s6
	ds_store_2addr_b64 v25, v[15:16], v[5:6] offset1:1
	ds_store_b64 v25, v[3:4] offset:16
	s_wait_loadcnt_dscnt 0x0
	s_barrier_signal -1
	s_barrier_wait -1
	global_inv scope:SCOPE_SE
	s_and_saveexec_b32 s10, s0
	s_cbranch_execz .LBB135_6
; %bb.3:                                ;   in Loop: Header=BB135_2 Depth=1
	v_dual_mov_b32 v2, v78 :: v_dual_mov_b32 v1, v72
	s_mov_b32 s11, 0
.LBB135_4:                              ;   Parent Loop BB135_2 Depth=1
                                        ; =>  This Inner Loop Header: Depth=2
	s_delay_alu instid0(VALU_DEP_1) | instskip(NEXT) | instid1(VALU_DEP_1)
	v_sub_nc_u32_e32 v3, v1, v2
	v_lshrrev_b32_e32 v3, 1, v3
	s_delay_alu instid0(VALU_DEP_1) | instskip(NEXT) | instid1(VALU_DEP_1)
	v_add_nc_u32_e32 v13, v3, v2
	v_not_b32_e32 v3, v13
	v_lshl_add_u32 v4, v13, 3, v39
	s_delay_alu instid0(VALU_DEP_2)
	v_lshl_add_u32 v5, v3, 3, v55
	ds_load_b64 v[3:4], v4
	ds_load_b64 v[5:6], v5 offset:24
	s_wait_dscnt 0x0
	v_cmp_lt_i64_e64 s9, v[5:6], v[3:4]
	v_add_nc_u32_e32 v3, 1, v13
	s_wait_alu 0xf1ff
	s_delay_alu instid0(VALU_DEP_2) | instskip(NEXT) | instid1(VALU_DEP_2)
	v_cndmask_b32_e64 v1, v1, v13, s9
	v_cndmask_b32_e64 v2, v3, v2, s9
	s_delay_alu instid0(VALU_DEP_1)
	v_cmp_ge_i32_e64 s9, v2, v1
	s_wait_alu 0xfffe
	s_or_b32 s11, s9, s11
	s_wait_alu 0xfffe
	s_and_not1_b32 exec_lo, exec_lo, s11
	s_cbranch_execnz .LBB135_4
; %bb.5:                                ;   in Loop: Header=BB135_2 Depth=1
	s_or_b32 exec_lo, exec_lo, s11
.LBB135_6:                              ;   in Loop: Header=BB135_2 Depth=1
	s_wait_alu 0xfffe
	s_or_b32 exec_lo, exec_lo, s10
	v_sub_nc_u32_e32 v1, v61, v2
	v_lshl_add_u32 v4, v2, 3, v39
                                        ; implicit-def: $vgpr17_vgpr18
	s_delay_alu instid0(VALU_DEP_2)
	v_lshlrev_b32_e32 v3, 3, v1
	v_add_nc_u32_e32 v1, v2, v31
	v_sub_nc_u32_e32 v2, v66, v2
	ds_load_b64 v[13:14], v4
	ds_load_b64 v[15:16], v3 offset:24
	v_cmp_le_i32_e64 s10, v37, v1
	v_cmp_gt_i32_e64 s11, v38, v2
	s_wait_dscnt 0x0
	v_cmp_lt_i64_e64 s9, v[15:16], v[13:14]
	s_or_b32 s9, s10, s9
	s_wait_alu 0xfffe
	s_and_b32 s9, s11, s9
	s_wait_alu 0xfffe
	s_xor_b32 s10, s9, -1
	s_wait_alu 0xfffe
	s_and_saveexec_b32 s11, s10
	s_wait_alu 0xfffe
	s_xor_b32 s10, exec_lo, s11
; %bb.7:                                ;   in Loop: Header=BB135_2 Depth=1
	ds_load_b64 v[17:18], v4 offset:8
                                        ; implicit-def: $vgpr3
; %bb.8:                                ;   in Loop: Header=BB135_2 Depth=1
	s_wait_alu 0xfffe
	s_or_saveexec_b32 s10, s10
	v_dual_mov_b32 v20, v16 :: v_dual_mov_b32 v19, v15
	s_wait_alu 0xfffe
	s_xor_b32 exec_lo, exec_lo, s10
	s_cbranch_execz .LBB135_10
; %bb.9:                                ;   in Loop: Header=BB135_2 Depth=1
	ds_load_b64 v[19:20], v3 offset:32
	s_wait_dscnt 0x1
	v_dual_mov_b32 v18, v14 :: v_dual_mov_b32 v17, v13
.LBB135_10:                             ;   in Loop: Header=BB135_2 Depth=1
	s_or_b32 exec_lo, exec_lo, s10
	v_add_nc_u32_e32 v3, 1, v1
	v_add_nc_u32_e32 v4, 1, v2
	s_wait_dscnt 0x0
	v_cmp_lt_i64_e64 s10, v[19:20], v[17:18]
                                        ; implicit-def: $vgpr21_vgpr22
	s_delay_alu instid0(VALU_DEP_3) | instskip(NEXT) | instid1(VALU_DEP_3)
	v_cndmask_b32_e64 v3, v3, v1, s9
	v_cndmask_b32_e64 v4, v2, v4, s9
	s_delay_alu instid0(VALU_DEP_2) | instskip(NEXT) | instid1(VALU_DEP_2)
	v_cmp_ge_i32_e64 s11, v3, v37
	v_cmp_lt_i32_e64 s12, v4, v38
	s_or_b32 s10, s11, s10
	s_wait_alu 0xfffe
	s_and_b32 s10, s12, s10
	s_wait_alu 0xfffe
	s_xor_b32 s11, s10, -1
	s_wait_alu 0xfffe
	s_and_saveexec_b32 s12, s11
	s_delay_alu instid0(SALU_CYCLE_1)
	s_xor_b32 s11, exec_lo, s12
; %bb.11:                               ;   in Loop: Header=BB135_2 Depth=1
	v_lshlrev_b32_e32 v5, 3, v3
	ds_load_b64 v[21:22], v5 offset:8
; %bb.12:                               ;   in Loop: Header=BB135_2 Depth=1
	s_wait_alu 0xfffe
	s_or_saveexec_b32 s11, s11
	v_dual_mov_b32 v24, v20 :: v_dual_mov_b32 v23, v19
	s_wait_alu 0xfffe
	s_xor_b32 exec_lo, exec_lo, s11
	s_cbranch_execz .LBB135_14
; %bb.13:                               ;   in Loop: Header=BB135_2 Depth=1
	s_wait_dscnt 0x0
	v_dual_mov_b32 v22, v18 :: v_dual_lshlrev_b32 v5, 3, v4
	v_mov_b32_e32 v21, v17
	ds_load_b64 v[23:24], v5 offset:8
.LBB135_14:                             ;   in Loop: Header=BB135_2 Depth=1
	s_or_b32 exec_lo, exec_lo, s11
	v_add_nc_u32_e32 v6, 1, v3
	v_add_nc_u32_e32 v5, 1, v4
	v_cndmask_b32_e64 v85, v3, v4, s10
	v_cndmask_b32_e64 v86, v10, v12, s8
	;; [unrolled: 1-line block ×11, first 2 shown]
	s_wait_dscnt 0x0
	v_cmp_lt_i64_e64 s6, v[23:24], v[21:22]
	v_cndmask_b32_e64 v6, v12, v10, s8
	v_cmp_ge_i32_e64 s8, v88, v37
	v_cmp_lt_i32_e64 s11, v87, v38
	v_cndmask_b32_e64 v3, v7, v5, s7
	v_cndmask_b32_e64 v5, v5, v7, s7
	;; [unrolled: 1-line block ×3, first 2 shown]
	s_or_b32 s6, s8, s6
	v_cndmask_b32_e64 v6, v6, v8, s7
	s_wait_alu 0xfffe
	s_and_b32 s6, s11, s6
	s_wait_loadcnt 0x0
	s_wait_alu 0xfffe
	v_cndmask_b32_e64 v7, v88, v87, s6
	s_barrier_signal -1
	s_barrier_wait -1
	global_inv scope:SCOPE_SE
	ds_store_2addr_b64 v25, v[5:6], v[3:4] offset1:1
	ds_store_b64 v25, v[1:2] offset:16
	v_lshlrev_b32_e32 v1, 3, v89
	v_lshlrev_b32_e32 v3, 3, v85
	;; [unrolled: 1-line block ×3, first 2 shown]
	s_wait_loadcnt_dscnt 0x0
	s_barrier_signal -1
	s_barrier_wait -1
	global_inv scope:SCOPE_SE
	ds_load_b64 v[1:2], v1
	ds_load_b64 v[5:6], v3
	;; [unrolled: 1-line block ×3, first 2 shown]
	v_cndmask_b32_e64 v10, v18, v20, s10
	v_cndmask_b32_e64 v9, v17, v19, s10
	;; [unrolled: 1-line block ×6, first 2 shown]
	s_wait_loadcnt_dscnt 0x0
	s_barrier_signal -1
	s_barrier_wait -1
	global_inv scope:SCOPE_SE
	ds_store_2addr_b64 v25, v[11:12], v[9:10] offset1:1
	ds_store_b64 v25, v[7:8] offset:16
	v_mov_b32_e32 v11, v79
	s_wait_loadcnt_dscnt 0x0
	s_barrier_signal -1
	s_barrier_wait -1
	global_inv scope:SCOPE_SE
	s_and_saveexec_b32 s7, s1
	s_cbranch_execz .LBB135_18
; %bb.15:                               ;   in Loop: Header=BB135_2 Depth=1
	v_mov_b32_e32 v11, v79
	v_mov_b32_e32 v7, v73
	s_mov_b32 s8, 0
.LBB135_16:                             ;   Parent Loop BB135_2 Depth=1
                                        ; =>  This Inner Loop Header: Depth=2
	s_delay_alu instid0(VALU_DEP_1) | instskip(NEXT) | instid1(VALU_DEP_1)
	v_sub_nc_u32_e32 v8, v7, v11
	v_lshrrev_b32_e32 v8, 1, v8
	s_delay_alu instid0(VALU_DEP_1) | instskip(NEXT) | instid1(VALU_DEP_1)
	v_add_nc_u32_e32 v10, v8, v11
	v_not_b32_e32 v8, v10
	v_lshl_add_u32 v9, v10, 3, v42
	s_delay_alu instid0(VALU_DEP_2)
	v_lshl_add_u32 v12, v8, 3, v56
	ds_load_b64 v[8:9], v9
	ds_load_b64 v[12:13], v12 offset:48
	s_wait_dscnt 0x0
	v_cmp_lt_i64_e64 s6, v[12:13], v[8:9]
	v_add_nc_u32_e32 v8, 1, v10
	s_wait_alu 0xf1ff
	s_delay_alu instid0(VALU_DEP_2) | instskip(NEXT) | instid1(VALU_DEP_2)
	v_cndmask_b32_e64 v7, v7, v10, s6
	v_cndmask_b32_e64 v11, v8, v11, s6
	s_delay_alu instid0(VALU_DEP_1)
	v_cmp_ge_i32_e64 s6, v11, v7
	s_wait_alu 0xfffe
	s_or_b32 s8, s6, s8
	s_wait_alu 0xfffe
	s_and_not1_b32 exec_lo, exec_lo, s8
	s_cbranch_execnz .LBB135_16
; %bb.17:                               ;   in Loop: Header=BB135_2 Depth=1
	s_or_b32 exec_lo, exec_lo, s8
.LBB135_18:                             ;   in Loop: Header=BB135_2 Depth=1
	s_wait_alu 0xfffe
	s_or_b32 exec_lo, exec_lo, s7
	v_sub_nc_u32_e32 v7, v62, v11
	v_lshl_add_u32 v13, v11, 3, v42
	v_add_nc_u32_e32 v19, v11, v32
	v_sub_nc_u32_e32 v20, v67, v11
                                        ; implicit-def: $vgpr11_vgpr12
	s_delay_alu instid0(VALU_DEP_4)
	v_lshlrev_b32_e32 v15, 3, v7
	ds_load_b64 v[7:8], v13
	ds_load_b64 v[9:10], v15 offset:48
	v_cmp_le_i32_e64 s7, v40, v19
	v_cmp_gt_i32_e64 s8, v41, v20
	s_wait_dscnt 0x0
	v_cmp_lt_i64_e64 s6, v[9:10], v[7:8]
	s_or_b32 s6, s7, s6
	s_wait_alu 0xfffe
	s_and_b32 s6, s8, s6
	s_wait_alu 0xfffe
	s_xor_b32 s7, s6, -1
	s_wait_alu 0xfffe
	s_and_saveexec_b32 s8, s7
	s_wait_alu 0xfffe
	s_xor_b32 s7, exec_lo, s8
; %bb.19:                               ;   in Loop: Header=BB135_2 Depth=1
	ds_load_b64 v[11:12], v13 offset:8
                                        ; implicit-def: $vgpr15
; %bb.20:                               ;   in Loop: Header=BB135_2 Depth=1
	s_wait_alu 0xfffe
	s_or_saveexec_b32 s7, s7
	v_dual_mov_b32 v14, v10 :: v_dual_mov_b32 v13, v9
	s_wait_alu 0xfffe
	s_xor_b32 exec_lo, exec_lo, s7
	s_cbranch_execz .LBB135_22
; %bb.21:                               ;   in Loop: Header=BB135_2 Depth=1
	ds_load_b64 v[13:14], v15 offset:56
	s_wait_dscnt 0x1
	v_dual_mov_b32 v12, v8 :: v_dual_mov_b32 v11, v7
.LBB135_22:                             ;   in Loop: Header=BB135_2 Depth=1
	s_or_b32 exec_lo, exec_lo, s7
	v_add_nc_u32_e32 v15, 1, v19
	v_add_nc_u32_e32 v16, 1, v20
	s_wait_dscnt 0x0
	v_cmp_lt_i64_e64 s7, v[13:14], v[11:12]
	s_delay_alu instid0(VALU_DEP_3) | instskip(NEXT) | instid1(VALU_DEP_3)
	v_cndmask_b32_e64 v22, v15, v19, s6
	v_cndmask_b32_e64 v21, v20, v16, s6
                                        ; implicit-def: $vgpr15_vgpr16
	s_delay_alu instid0(VALU_DEP_2) | instskip(NEXT) | instid1(VALU_DEP_2)
	v_cmp_ge_i32_e64 s8, v22, v40
	v_cmp_lt_i32_e64 s9, v21, v41
	s_or_b32 s7, s8, s7
	s_wait_alu 0xfffe
	s_and_b32 s7, s9, s7
	s_wait_alu 0xfffe
	s_xor_b32 s8, s7, -1
	s_wait_alu 0xfffe
	s_and_saveexec_b32 s9, s8
	s_wait_alu 0xfffe
	s_xor_b32 s8, exec_lo, s9
; %bb.23:                               ;   in Loop: Header=BB135_2 Depth=1
	v_lshlrev_b32_e32 v15, 3, v22
	ds_load_b64 v[15:16], v15 offset:8
; %bb.24:                               ;   in Loop: Header=BB135_2 Depth=1
	s_wait_alu 0xfffe
	s_or_saveexec_b32 s8, s8
	v_dual_mov_b32 v18, v14 :: v_dual_mov_b32 v17, v13
	s_wait_alu 0xfffe
	s_xor_b32 exec_lo, exec_lo, s8
	s_cbranch_execz .LBB135_26
; %bb.25:                               ;   in Loop: Header=BB135_2 Depth=1
	s_wait_dscnt 0x0
	v_lshlrev_b32_e32 v15, 3, v21
	ds_load_b64 v[17:18], v15 offset:8
	v_dual_mov_b32 v16, v12 :: v_dual_mov_b32 v15, v11
.LBB135_26:                             ;   in Loop: Header=BB135_2 Depth=1
	s_or_b32 exec_lo, exec_lo, s8
	v_add_nc_u32_e32 v23, 1, v22
	v_add_nc_u32_e32 v24, 1, v21
	s_wait_dscnt 0x0
	v_cmp_lt_i64_e64 s8, v[17:18], v[15:16]
	v_cndmask_b32_e64 v19, v19, v20, s6
	s_wait_loadcnt 0x0
	v_cndmask_b32_e64 v23, v23, v22, s7
	v_cndmask_b32_e64 v22, v22, v21, s7
	;; [unrolled: 1-line block ×3, first 2 shown]
	s_barrier_signal -1
	s_barrier_wait -1
	v_cmp_ge_i32_e64 s9, v23, v40
	global_inv scope:SCOPE_SE
	v_cmp_lt_i32_e64 s10, v21, v41
	ds_store_2addr_b64 v25, v[1:2], v[5:6] offset1:1
	ds_store_b64 v25, v[3:4] offset:16
	v_lshlrev_b32_e32 v1, 3, v19
	s_or_b32 s8, s9, s8
	v_lshlrev_b32_e32 v3, 3, v22
	s_wait_alu 0xfffe
	s_and_b32 s8, s10, s8
	s_wait_loadcnt_dscnt 0x0
	s_wait_alu 0xfffe
	v_cndmask_b32_e64 v16, v16, v18, s8
	v_cndmask_b32_e64 v18, v23, v21, s8
	s_barrier_signal -1
	s_barrier_wait -1
	global_inv scope:SCOPE_SE
	v_cndmask_b32_e64 v12, v12, v14, s7
	v_lshlrev_b32_e32 v4, 3, v18
	v_cndmask_b32_e64 v11, v11, v13, s7
	ds_load_b64 v[1:2], v1
	ds_load_b64 v[5:6], v3
	;; [unrolled: 1-line block ×3, first 2 shown]
	v_cndmask_b32_e64 v8, v8, v10, s6
	v_cndmask_b32_e64 v7, v7, v9, s6
	;; [unrolled: 1-line block ×3, first 2 shown]
	s_wait_loadcnt_dscnt 0x0
	s_barrier_signal -1
	s_barrier_wait -1
	global_inv scope:SCOPE_SE
	ds_store_2addr_b64 v25, v[7:8], v[11:12] offset1:1
	ds_store_b64 v25, v[15:16] offset:16
	v_mov_b32_e32 v11, v80
	s_wait_loadcnt_dscnt 0x0
	s_barrier_signal -1
	s_barrier_wait -1
	global_inv scope:SCOPE_SE
	s_and_saveexec_b32 s7, s2
	s_cbranch_execz .LBB135_30
; %bb.27:                               ;   in Loop: Header=BB135_2 Depth=1
	v_mov_b32_e32 v11, v80
	v_mov_b32_e32 v7, v74
	s_mov_b32 s8, 0
.LBB135_28:                             ;   Parent Loop BB135_2 Depth=1
                                        ; =>  This Inner Loop Header: Depth=2
	s_delay_alu instid0(VALU_DEP_1) | instskip(NEXT) | instid1(VALU_DEP_1)
	v_sub_nc_u32_e32 v8, v7, v11
	v_lshrrev_b32_e32 v8, 1, v8
	s_delay_alu instid0(VALU_DEP_1) | instskip(NEXT) | instid1(VALU_DEP_1)
	v_add_nc_u32_e32 v10, v8, v11
	v_not_b32_e32 v8, v10
	v_lshl_add_u32 v9, v10, 3, v45
	s_delay_alu instid0(VALU_DEP_2)
	v_lshl_add_u32 v12, v8, 3, v57
	ds_load_b64 v[8:9], v9
	ds_load_b64 v[12:13], v12 offset:96
	s_wait_dscnt 0x0
	v_cmp_lt_i64_e64 s6, v[12:13], v[8:9]
	v_add_nc_u32_e32 v8, 1, v10
	s_wait_alu 0xf1ff
	s_delay_alu instid0(VALU_DEP_2) | instskip(NEXT) | instid1(VALU_DEP_2)
	v_cndmask_b32_e64 v7, v7, v10, s6
	v_cndmask_b32_e64 v11, v8, v11, s6
	s_delay_alu instid0(VALU_DEP_1)
	v_cmp_ge_i32_e64 s6, v11, v7
	s_wait_alu 0xfffe
	s_or_b32 s8, s6, s8
	s_wait_alu 0xfffe
	s_and_not1_b32 exec_lo, exec_lo, s8
	s_cbranch_execnz .LBB135_28
; %bb.29:                               ;   in Loop: Header=BB135_2 Depth=1
	s_or_b32 exec_lo, exec_lo, s8
.LBB135_30:                             ;   in Loop: Header=BB135_2 Depth=1
	s_wait_alu 0xfffe
	s_or_b32 exec_lo, exec_lo, s7
	v_sub_nc_u32_e32 v7, v63, v11
	v_lshl_add_u32 v13, v11, 3, v45
	v_add_nc_u32_e32 v19, v11, v33
	v_sub_nc_u32_e32 v20, v68, v11
                                        ; implicit-def: $vgpr11_vgpr12
	s_delay_alu instid0(VALU_DEP_4)
	v_lshlrev_b32_e32 v15, 3, v7
	ds_load_b64 v[7:8], v13
	ds_load_b64 v[9:10], v15 offset:96
	v_cmp_le_i32_e64 s7, v43, v19
	v_cmp_gt_i32_e64 s8, v44, v20
	s_wait_dscnt 0x0
	v_cmp_lt_i64_e64 s6, v[9:10], v[7:8]
	s_or_b32 s6, s7, s6
	s_wait_alu 0xfffe
	s_and_b32 s6, s8, s6
	s_wait_alu 0xfffe
	s_xor_b32 s7, s6, -1
	s_wait_alu 0xfffe
	s_and_saveexec_b32 s8, s7
	s_wait_alu 0xfffe
	s_xor_b32 s7, exec_lo, s8
; %bb.31:                               ;   in Loop: Header=BB135_2 Depth=1
	ds_load_b64 v[11:12], v13 offset:8
                                        ; implicit-def: $vgpr15
; %bb.32:                               ;   in Loop: Header=BB135_2 Depth=1
	s_wait_alu 0xfffe
	s_or_saveexec_b32 s7, s7
	v_dual_mov_b32 v14, v10 :: v_dual_mov_b32 v13, v9
	s_wait_alu 0xfffe
	s_xor_b32 exec_lo, exec_lo, s7
	s_cbranch_execz .LBB135_34
; %bb.33:                               ;   in Loop: Header=BB135_2 Depth=1
	ds_load_b64 v[13:14], v15 offset:104
	s_wait_dscnt 0x1
	v_dual_mov_b32 v12, v8 :: v_dual_mov_b32 v11, v7
.LBB135_34:                             ;   in Loop: Header=BB135_2 Depth=1
	s_or_b32 exec_lo, exec_lo, s7
	v_add_nc_u32_e32 v15, 1, v19
	v_add_nc_u32_e32 v16, 1, v20
	s_wait_dscnt 0x0
	v_cmp_lt_i64_e64 s7, v[13:14], v[11:12]
	s_delay_alu instid0(VALU_DEP_3) | instskip(NEXT) | instid1(VALU_DEP_3)
	v_cndmask_b32_e64 v22, v15, v19, s6
	v_cndmask_b32_e64 v21, v20, v16, s6
                                        ; implicit-def: $vgpr15_vgpr16
	s_delay_alu instid0(VALU_DEP_2) | instskip(NEXT) | instid1(VALU_DEP_2)
	v_cmp_ge_i32_e64 s8, v22, v43
	v_cmp_lt_i32_e64 s9, v21, v44
	s_or_b32 s7, s8, s7
	s_wait_alu 0xfffe
	s_and_b32 s7, s9, s7
	s_wait_alu 0xfffe
	s_xor_b32 s8, s7, -1
	s_wait_alu 0xfffe
	s_and_saveexec_b32 s9, s8
	s_wait_alu 0xfffe
	s_xor_b32 s8, exec_lo, s9
; %bb.35:                               ;   in Loop: Header=BB135_2 Depth=1
	v_lshlrev_b32_e32 v15, 3, v22
	ds_load_b64 v[15:16], v15 offset:8
; %bb.36:                               ;   in Loop: Header=BB135_2 Depth=1
	s_wait_alu 0xfffe
	s_or_saveexec_b32 s8, s8
	v_dual_mov_b32 v18, v14 :: v_dual_mov_b32 v17, v13
	s_wait_alu 0xfffe
	s_xor_b32 exec_lo, exec_lo, s8
	s_cbranch_execz .LBB135_38
; %bb.37:                               ;   in Loop: Header=BB135_2 Depth=1
	s_wait_dscnt 0x0
	v_lshlrev_b32_e32 v15, 3, v21
	ds_load_b64 v[17:18], v15 offset:8
	v_dual_mov_b32 v16, v12 :: v_dual_mov_b32 v15, v11
.LBB135_38:                             ;   in Loop: Header=BB135_2 Depth=1
	s_or_b32 exec_lo, exec_lo, s8
	v_add_nc_u32_e32 v23, 1, v22
	v_add_nc_u32_e32 v24, 1, v21
	s_wait_dscnt 0x0
	v_cmp_lt_i64_e64 s8, v[17:18], v[15:16]
	v_cndmask_b32_e64 v19, v19, v20, s6
	s_wait_loadcnt 0x0
	v_cndmask_b32_e64 v23, v23, v22, s7
	v_cndmask_b32_e64 v22, v22, v21, s7
	;; [unrolled: 1-line block ×3, first 2 shown]
	s_barrier_signal -1
	s_barrier_wait -1
	v_cmp_ge_i32_e64 s9, v23, v43
	global_inv scope:SCOPE_SE
	v_cmp_lt_i32_e64 s10, v21, v44
	ds_store_2addr_b64 v25, v[1:2], v[5:6] offset1:1
	ds_store_b64 v25, v[3:4] offset:16
	v_lshlrev_b32_e32 v1, 3, v19
	s_or_b32 s8, s9, s8
	v_lshlrev_b32_e32 v3, 3, v22
	s_wait_alu 0xfffe
	s_and_b32 s8, s10, s8
	s_wait_loadcnt_dscnt 0x0
	s_wait_alu 0xfffe
	v_cndmask_b32_e64 v16, v16, v18, s8
	v_cndmask_b32_e64 v18, v23, v21, s8
	s_barrier_signal -1
	s_barrier_wait -1
	global_inv scope:SCOPE_SE
	v_cndmask_b32_e64 v12, v12, v14, s7
	v_lshlrev_b32_e32 v4, 3, v18
	v_cndmask_b32_e64 v11, v11, v13, s7
	ds_load_b64 v[1:2], v1
	ds_load_b64 v[5:6], v3
	;; [unrolled: 1-line block ×3, first 2 shown]
	v_cndmask_b32_e64 v8, v8, v10, s6
	v_cndmask_b32_e64 v7, v7, v9, s6
	;; [unrolled: 1-line block ×3, first 2 shown]
	s_wait_loadcnt_dscnt 0x0
	s_barrier_signal -1
	s_barrier_wait -1
	global_inv scope:SCOPE_SE
	ds_store_2addr_b64 v25, v[7:8], v[11:12] offset1:1
	ds_store_b64 v25, v[15:16] offset:16
	v_mov_b32_e32 v11, v81
	s_wait_loadcnt_dscnt 0x0
	s_barrier_signal -1
	s_barrier_wait -1
	global_inv scope:SCOPE_SE
	s_and_saveexec_b32 s7, s3
	s_cbranch_execz .LBB135_42
; %bb.39:                               ;   in Loop: Header=BB135_2 Depth=1
	v_mov_b32_e32 v11, v81
	v_mov_b32_e32 v7, v75
	s_mov_b32 s8, 0
.LBB135_40:                             ;   Parent Loop BB135_2 Depth=1
                                        ; =>  This Inner Loop Header: Depth=2
	s_delay_alu instid0(VALU_DEP_1) | instskip(NEXT) | instid1(VALU_DEP_1)
	v_sub_nc_u32_e32 v8, v7, v11
	v_lshrrev_b32_e32 v8, 1, v8
	s_delay_alu instid0(VALU_DEP_1) | instskip(NEXT) | instid1(VALU_DEP_1)
	v_add_nc_u32_e32 v10, v8, v11
	v_not_b32_e32 v8, v10
	v_lshl_add_u32 v9, v10, 3, v48
	s_delay_alu instid0(VALU_DEP_2)
	v_lshl_add_u32 v12, v8, 3, v58
	ds_load_b64 v[8:9], v9
	ds_load_b64 v[12:13], v12 offset:192
	s_wait_dscnt 0x0
	v_cmp_lt_i64_e64 s6, v[12:13], v[8:9]
	v_add_nc_u32_e32 v8, 1, v10
	s_wait_alu 0xf1ff
	s_delay_alu instid0(VALU_DEP_2) | instskip(NEXT) | instid1(VALU_DEP_2)
	v_cndmask_b32_e64 v7, v7, v10, s6
	v_cndmask_b32_e64 v11, v8, v11, s6
	s_delay_alu instid0(VALU_DEP_1)
	v_cmp_ge_i32_e64 s6, v11, v7
	s_wait_alu 0xfffe
	s_or_b32 s8, s6, s8
	s_wait_alu 0xfffe
	s_and_not1_b32 exec_lo, exec_lo, s8
	s_cbranch_execnz .LBB135_40
; %bb.41:                               ;   in Loop: Header=BB135_2 Depth=1
	s_or_b32 exec_lo, exec_lo, s8
.LBB135_42:                             ;   in Loop: Header=BB135_2 Depth=1
	s_wait_alu 0xfffe
	s_or_b32 exec_lo, exec_lo, s7
	v_sub_nc_u32_e32 v7, v64, v11
	v_lshl_add_u32 v13, v11, 3, v48
	v_add_nc_u32_e32 v19, v11, v34
	v_sub_nc_u32_e32 v20, v69, v11
                                        ; implicit-def: $vgpr11_vgpr12
	s_delay_alu instid0(VALU_DEP_4)
	v_lshlrev_b32_e32 v15, 3, v7
	ds_load_b64 v[7:8], v13
	ds_load_b64 v[9:10], v15 offset:192
	v_cmp_le_i32_e64 s7, v46, v19
	v_cmp_gt_i32_e64 s8, v47, v20
	s_wait_dscnt 0x0
	v_cmp_lt_i64_e64 s6, v[9:10], v[7:8]
	s_or_b32 s6, s7, s6
	s_wait_alu 0xfffe
	s_and_b32 s6, s8, s6
	s_wait_alu 0xfffe
	s_xor_b32 s7, s6, -1
	s_wait_alu 0xfffe
	s_and_saveexec_b32 s8, s7
	s_wait_alu 0xfffe
	s_xor_b32 s7, exec_lo, s8
; %bb.43:                               ;   in Loop: Header=BB135_2 Depth=1
	ds_load_b64 v[11:12], v13 offset:8
                                        ; implicit-def: $vgpr15
; %bb.44:                               ;   in Loop: Header=BB135_2 Depth=1
	s_wait_alu 0xfffe
	s_or_saveexec_b32 s7, s7
	v_dual_mov_b32 v14, v10 :: v_dual_mov_b32 v13, v9
	s_wait_alu 0xfffe
	s_xor_b32 exec_lo, exec_lo, s7
	s_cbranch_execz .LBB135_46
; %bb.45:                               ;   in Loop: Header=BB135_2 Depth=1
	ds_load_b64 v[13:14], v15 offset:200
	s_wait_dscnt 0x1
	v_dual_mov_b32 v12, v8 :: v_dual_mov_b32 v11, v7
.LBB135_46:                             ;   in Loop: Header=BB135_2 Depth=1
	s_or_b32 exec_lo, exec_lo, s7
	v_add_nc_u32_e32 v15, 1, v19
	v_add_nc_u32_e32 v16, 1, v20
	s_wait_dscnt 0x0
	v_cmp_lt_i64_e64 s7, v[13:14], v[11:12]
	s_delay_alu instid0(VALU_DEP_3) | instskip(NEXT) | instid1(VALU_DEP_3)
	v_cndmask_b32_e64 v22, v15, v19, s6
	v_cndmask_b32_e64 v21, v20, v16, s6
                                        ; implicit-def: $vgpr15_vgpr16
	s_delay_alu instid0(VALU_DEP_2) | instskip(NEXT) | instid1(VALU_DEP_2)
	v_cmp_ge_i32_e64 s8, v22, v46
	v_cmp_lt_i32_e64 s9, v21, v47
	s_or_b32 s7, s8, s7
	s_wait_alu 0xfffe
	s_and_b32 s7, s9, s7
	s_wait_alu 0xfffe
	s_xor_b32 s8, s7, -1
	s_wait_alu 0xfffe
	s_and_saveexec_b32 s9, s8
	s_wait_alu 0xfffe
	s_xor_b32 s8, exec_lo, s9
; %bb.47:                               ;   in Loop: Header=BB135_2 Depth=1
	v_lshlrev_b32_e32 v15, 3, v22
	ds_load_b64 v[15:16], v15 offset:8
; %bb.48:                               ;   in Loop: Header=BB135_2 Depth=1
	s_wait_alu 0xfffe
	s_or_saveexec_b32 s8, s8
	v_dual_mov_b32 v18, v14 :: v_dual_mov_b32 v17, v13
	s_wait_alu 0xfffe
	s_xor_b32 exec_lo, exec_lo, s8
	s_cbranch_execz .LBB135_50
; %bb.49:                               ;   in Loop: Header=BB135_2 Depth=1
	s_wait_dscnt 0x0
	v_lshlrev_b32_e32 v15, 3, v21
	ds_load_b64 v[17:18], v15 offset:8
	v_dual_mov_b32 v16, v12 :: v_dual_mov_b32 v15, v11
.LBB135_50:                             ;   in Loop: Header=BB135_2 Depth=1
	s_or_b32 exec_lo, exec_lo, s8
	v_add_nc_u32_e32 v23, 1, v22
	v_add_nc_u32_e32 v24, 1, v21
	s_wait_dscnt 0x0
	v_cmp_lt_i64_e64 s8, v[17:18], v[15:16]
	v_cndmask_b32_e64 v19, v19, v20, s6
	s_wait_loadcnt 0x0
	v_cndmask_b32_e64 v23, v23, v22, s7
	v_cndmask_b32_e64 v22, v22, v21, s7
	;; [unrolled: 1-line block ×3, first 2 shown]
	s_barrier_signal -1
	s_barrier_wait -1
	v_cmp_ge_i32_e64 s9, v23, v46
	global_inv scope:SCOPE_SE
	v_cmp_lt_i32_e64 s10, v21, v47
	ds_store_2addr_b64 v25, v[1:2], v[5:6] offset1:1
	ds_store_b64 v25, v[3:4] offset:16
	v_lshlrev_b32_e32 v1, 3, v19
	s_or_b32 s8, s9, s8
	v_lshlrev_b32_e32 v3, 3, v22
	s_wait_alu 0xfffe
	s_and_b32 s8, s10, s8
	s_wait_loadcnt_dscnt 0x0
	s_wait_alu 0xfffe
	v_cndmask_b32_e64 v16, v16, v18, s8
	v_cndmask_b32_e64 v18, v23, v21, s8
	s_barrier_signal -1
	s_barrier_wait -1
	global_inv scope:SCOPE_SE
	v_cndmask_b32_e64 v12, v12, v14, s7
	v_lshlrev_b32_e32 v4, 3, v18
	v_cndmask_b32_e64 v11, v11, v13, s7
	ds_load_b64 v[1:2], v1
	ds_load_b64 v[5:6], v3
	;; [unrolled: 1-line block ×3, first 2 shown]
	v_cndmask_b32_e64 v8, v8, v10, s6
	v_cndmask_b32_e64 v7, v7, v9, s6
	;; [unrolled: 1-line block ×3, first 2 shown]
	s_wait_loadcnt_dscnt 0x0
	s_barrier_signal -1
	s_barrier_wait -1
	global_inv scope:SCOPE_SE
	ds_store_2addr_b64 v25, v[7:8], v[11:12] offset1:1
	ds_store_b64 v25, v[15:16] offset:16
	v_mov_b32_e32 v11, v82
	s_wait_loadcnt_dscnt 0x0
	s_barrier_signal -1
	s_barrier_wait -1
	global_inv scope:SCOPE_SE
	s_and_saveexec_b32 s7, s4
	s_cbranch_execz .LBB135_54
; %bb.51:                               ;   in Loop: Header=BB135_2 Depth=1
	v_mov_b32_e32 v11, v82
	v_mov_b32_e32 v7, v76
	s_mov_b32 s8, 0
.LBB135_52:                             ;   Parent Loop BB135_2 Depth=1
                                        ; =>  This Inner Loop Header: Depth=2
	s_delay_alu instid0(VALU_DEP_1) | instskip(NEXT) | instid1(VALU_DEP_1)
	v_sub_nc_u32_e32 v8, v7, v11
	v_lshrrev_b32_e32 v8, 1, v8
	s_delay_alu instid0(VALU_DEP_1) | instskip(NEXT) | instid1(VALU_DEP_1)
	v_add_nc_u32_e32 v10, v8, v11
	v_not_b32_e32 v8, v10
	v_lshl_add_u32 v9, v10, 3, v51
	s_delay_alu instid0(VALU_DEP_2)
	v_lshl_add_u32 v12, v8, 3, v59
	ds_load_b64 v[8:9], v9
	ds_load_b64 v[12:13], v12 offset:384
	s_wait_dscnt 0x0
	v_cmp_lt_i64_e64 s6, v[12:13], v[8:9]
	v_add_nc_u32_e32 v8, 1, v10
	s_wait_alu 0xf1ff
	s_delay_alu instid0(VALU_DEP_2) | instskip(NEXT) | instid1(VALU_DEP_2)
	v_cndmask_b32_e64 v7, v7, v10, s6
	v_cndmask_b32_e64 v11, v8, v11, s6
	s_delay_alu instid0(VALU_DEP_1)
	v_cmp_ge_i32_e64 s6, v11, v7
	s_wait_alu 0xfffe
	s_or_b32 s8, s6, s8
	s_wait_alu 0xfffe
	s_and_not1_b32 exec_lo, exec_lo, s8
	s_cbranch_execnz .LBB135_52
; %bb.53:                               ;   in Loop: Header=BB135_2 Depth=1
	s_or_b32 exec_lo, exec_lo, s8
.LBB135_54:                             ;   in Loop: Header=BB135_2 Depth=1
	s_wait_alu 0xfffe
	s_or_b32 exec_lo, exec_lo, s7
	v_sub_nc_u32_e32 v7, v65, v11
	v_lshl_add_u32 v13, v11, 3, v51
	v_add_nc_u32_e32 v19, v11, v35
	v_sub_nc_u32_e32 v20, v70, v11
                                        ; implicit-def: $vgpr11_vgpr12
	s_delay_alu instid0(VALU_DEP_4)
	v_lshlrev_b32_e32 v15, 3, v7
	ds_load_b64 v[7:8], v13
	ds_load_b64 v[9:10], v15 offset:384
	v_cmp_le_i32_e64 s7, v49, v19
	v_cmp_gt_i32_e64 s8, v50, v20
	s_wait_dscnt 0x0
	v_cmp_lt_i64_e64 s6, v[9:10], v[7:8]
	s_or_b32 s6, s7, s6
	s_wait_alu 0xfffe
	s_and_b32 s6, s8, s6
	s_wait_alu 0xfffe
	s_xor_b32 s7, s6, -1
	s_wait_alu 0xfffe
	s_and_saveexec_b32 s8, s7
	s_wait_alu 0xfffe
	s_xor_b32 s7, exec_lo, s8
; %bb.55:                               ;   in Loop: Header=BB135_2 Depth=1
	ds_load_b64 v[11:12], v13 offset:8
                                        ; implicit-def: $vgpr15
; %bb.56:                               ;   in Loop: Header=BB135_2 Depth=1
	s_wait_alu 0xfffe
	s_or_saveexec_b32 s7, s7
	v_dual_mov_b32 v14, v10 :: v_dual_mov_b32 v13, v9
	s_wait_alu 0xfffe
	s_xor_b32 exec_lo, exec_lo, s7
	s_cbranch_execz .LBB135_58
; %bb.57:                               ;   in Loop: Header=BB135_2 Depth=1
	ds_load_b64 v[13:14], v15 offset:392
	s_wait_dscnt 0x1
	v_dual_mov_b32 v12, v8 :: v_dual_mov_b32 v11, v7
.LBB135_58:                             ;   in Loop: Header=BB135_2 Depth=1
	s_or_b32 exec_lo, exec_lo, s7
	v_add_nc_u32_e32 v15, 1, v19
	v_add_nc_u32_e32 v16, 1, v20
	s_wait_dscnt 0x0
	v_cmp_lt_i64_e64 s7, v[13:14], v[11:12]
	s_delay_alu instid0(VALU_DEP_3) | instskip(NEXT) | instid1(VALU_DEP_3)
	v_cndmask_b32_e64 v22, v15, v19, s6
	v_cndmask_b32_e64 v21, v20, v16, s6
                                        ; implicit-def: $vgpr15_vgpr16
	s_delay_alu instid0(VALU_DEP_2) | instskip(NEXT) | instid1(VALU_DEP_2)
	v_cmp_ge_i32_e64 s8, v22, v49
	v_cmp_lt_i32_e64 s9, v21, v50
	s_or_b32 s7, s8, s7
	s_wait_alu 0xfffe
	s_and_b32 s7, s9, s7
	s_wait_alu 0xfffe
	s_xor_b32 s8, s7, -1
	s_wait_alu 0xfffe
	s_and_saveexec_b32 s9, s8
	s_wait_alu 0xfffe
	s_xor_b32 s8, exec_lo, s9
; %bb.59:                               ;   in Loop: Header=BB135_2 Depth=1
	v_lshlrev_b32_e32 v15, 3, v22
	ds_load_b64 v[15:16], v15 offset:8
; %bb.60:                               ;   in Loop: Header=BB135_2 Depth=1
	s_wait_alu 0xfffe
	s_or_saveexec_b32 s8, s8
	v_dual_mov_b32 v18, v14 :: v_dual_mov_b32 v17, v13
	s_wait_alu 0xfffe
	s_xor_b32 exec_lo, exec_lo, s8
	s_cbranch_execz .LBB135_62
; %bb.61:                               ;   in Loop: Header=BB135_2 Depth=1
	s_wait_dscnt 0x0
	v_lshlrev_b32_e32 v15, 3, v21
	ds_load_b64 v[17:18], v15 offset:8
	v_dual_mov_b32 v16, v12 :: v_dual_mov_b32 v15, v11
.LBB135_62:                             ;   in Loop: Header=BB135_2 Depth=1
	s_or_b32 exec_lo, exec_lo, s8
	v_add_nc_u32_e32 v23, 1, v22
	v_add_nc_u32_e32 v24, 1, v21
	s_wait_dscnt 0x0
	v_cmp_lt_i64_e64 s8, v[17:18], v[15:16]
	v_cndmask_b32_e64 v19, v19, v20, s6
	s_wait_loadcnt 0x0
	v_cndmask_b32_e64 v23, v23, v22, s7
	v_cndmask_b32_e64 v22, v22, v21, s7
	;; [unrolled: 1-line block ×3, first 2 shown]
	s_barrier_signal -1
	s_barrier_wait -1
	v_cmp_ge_i32_e64 s9, v23, v49
	global_inv scope:SCOPE_SE
	v_cmp_lt_i32_e64 s10, v21, v50
	ds_store_2addr_b64 v25, v[1:2], v[5:6] offset1:1
	ds_store_b64 v25, v[3:4] offset:16
	v_lshlrev_b32_e32 v1, 3, v19
	s_or_b32 s8, s9, s8
	v_lshlrev_b32_e32 v3, 3, v22
	s_wait_alu 0xfffe
	s_and_b32 s8, s10, s8
	s_wait_loadcnt_dscnt 0x0
	s_wait_alu 0xfffe
	v_cndmask_b32_e64 v16, v16, v18, s8
	v_cndmask_b32_e64 v18, v23, v21, s8
	s_barrier_signal -1
	s_barrier_wait -1
	global_inv scope:SCOPE_SE
	v_cndmask_b32_e64 v12, v12, v14, s7
	v_lshlrev_b32_e32 v4, 3, v18
	v_cndmask_b32_e64 v11, v11, v13, s7
	ds_load_b64 v[1:2], v1
	ds_load_b64 v[5:6], v3
	;; [unrolled: 1-line block ×3, first 2 shown]
	v_cndmask_b32_e64 v8, v8, v10, s6
	v_cndmask_b32_e64 v7, v7, v9, s6
	;; [unrolled: 1-line block ×3, first 2 shown]
	s_wait_loadcnt_dscnt 0x0
	s_barrier_signal -1
	s_barrier_wait -1
	global_inv scope:SCOPE_SE
	ds_store_2addr_b64 v25, v[7:8], v[11:12] offset1:1
	ds_store_b64 v25, v[15:16] offset:16
	v_mov_b32_e32 v8, v83
	s_wait_loadcnt_dscnt 0x0
	s_barrier_signal -1
	s_barrier_wait -1
	global_inv scope:SCOPE_SE
	s_and_saveexec_b32 s7, s5
	s_cbranch_execz .LBB135_66
; %bb.63:                               ;   in Loop: Header=BB135_2 Depth=1
	v_dual_mov_b32 v8, v83 :: v_dual_mov_b32 v7, v77
	s_mov_b32 s8, 0
.LBB135_64:                             ;   Parent Loop BB135_2 Depth=1
                                        ; =>  This Inner Loop Header: Depth=2
	s_delay_alu instid0(VALU_DEP_1) | instskip(NEXT) | instid1(VALU_DEP_1)
	v_sub_nc_u32_e32 v9, v7, v8
	v_lshrrev_b32_e32 v9, 1, v9
	s_delay_alu instid0(VALU_DEP_1) | instskip(NEXT) | instid1(VALU_DEP_1)
	v_add_nc_u32_e32 v13, v9, v8
	v_not_b32_e32 v9, v13
	v_lshl_add_u32 v10, v13, 3, v54
	s_delay_alu instid0(VALU_DEP_2)
	v_lshl_add_u32 v11, v9, 3, v60
	ds_load_b64 v[9:10], v10
	ds_load_b64 v[11:12], v11 offset:768
	s_wait_dscnt 0x0
	v_cmp_lt_i64_e64 s6, v[11:12], v[9:10]
	v_add_nc_u32_e32 v9, 1, v13
	s_wait_alu 0xf1ff
	s_delay_alu instid0(VALU_DEP_2) | instskip(NEXT) | instid1(VALU_DEP_2)
	v_cndmask_b32_e64 v7, v7, v13, s6
	v_cndmask_b32_e64 v8, v9, v8, s6
	s_delay_alu instid0(VALU_DEP_1)
	v_cmp_ge_i32_e64 s6, v8, v7
	s_wait_alu 0xfffe
	s_or_b32 s8, s6, s8
	s_wait_alu 0xfffe
	s_and_not1_b32 exec_lo, exec_lo, s8
	s_cbranch_execnz .LBB135_64
; %bb.65:                               ;   in Loop: Header=BB135_2 Depth=1
	s_or_b32 exec_lo, exec_lo, s8
.LBB135_66:                             ;   in Loop: Header=BB135_2 Depth=1
	s_wait_alu 0xfffe
	s_or_b32 exec_lo, exec_lo, s7
	v_sub_nc_u32_e32 v7, v84, v8
	v_lshl_add_u32 v15, v8, 3, v54
                                        ; implicit-def: $vgpr13_vgpr14
	s_delay_alu instid0(VALU_DEP_2)
	v_lshlrev_b32_e32 v17, 3, v7
	v_add_nc_u32_e32 v7, v8, v36
	v_sub_nc_u32_e32 v8, v71, v8
	ds_load_b64 v[9:10], v15
	ds_load_b64 v[11:12], v17 offset:768
	v_cmp_le_i32_e64 s7, v52, v7
	v_cmp_gt_i32_e64 s8, v53, v8
	s_wait_dscnt 0x0
	v_cmp_lt_i64_e64 s6, v[11:12], v[9:10]
	s_or_b32 s6, s7, s6
	s_wait_alu 0xfffe
	s_and_b32 s6, s8, s6
	s_wait_alu 0xfffe
	s_xor_b32 s7, s6, -1
	s_wait_alu 0xfffe
	s_and_saveexec_b32 s8, s7
	s_wait_alu 0xfffe
	s_xor_b32 s7, exec_lo, s8
; %bb.67:                               ;   in Loop: Header=BB135_2 Depth=1
	ds_load_b64 v[13:14], v15 offset:8
                                        ; implicit-def: $vgpr17
; %bb.68:                               ;   in Loop: Header=BB135_2 Depth=1
	s_wait_alu 0xfffe
	s_or_saveexec_b32 s7, s7
	v_dual_mov_b32 v16, v12 :: v_dual_mov_b32 v15, v11
	s_wait_alu 0xfffe
	s_xor_b32 exec_lo, exec_lo, s7
	s_cbranch_execz .LBB135_70
; %bb.69:                               ;   in Loop: Header=BB135_2 Depth=1
	ds_load_b64 v[15:16], v17 offset:776
	s_wait_dscnt 0x1
	v_dual_mov_b32 v14, v10 :: v_dual_mov_b32 v13, v9
.LBB135_70:                             ;   in Loop: Header=BB135_2 Depth=1
	s_or_b32 exec_lo, exec_lo, s7
	v_add_nc_u32_e32 v17, 1, v7
	v_add_nc_u32_e32 v18, 1, v8
	s_wait_dscnt 0x0
	v_cmp_lt_i64_e64 s7, v[15:16], v[13:14]
	s_delay_alu instid0(VALU_DEP_3) | instskip(NEXT) | instid1(VALU_DEP_3)
	v_cndmask_b32_e64 v22, v17, v7, s6
	v_cndmask_b32_e64 v21, v8, v18, s6
                                        ; implicit-def: $vgpr17_vgpr18
	s_delay_alu instid0(VALU_DEP_2) | instskip(NEXT) | instid1(VALU_DEP_2)
	v_cmp_ge_i32_e64 s8, v22, v52
	v_cmp_lt_i32_e64 s9, v21, v53
	s_or_b32 s7, s8, s7
	s_wait_alu 0xfffe
	s_and_b32 s7, s9, s7
	s_wait_alu 0xfffe
	s_xor_b32 s8, s7, -1
	s_wait_alu 0xfffe
	s_and_saveexec_b32 s9, s8
	s_wait_alu 0xfffe
	s_xor_b32 s8, exec_lo, s9
; %bb.71:                               ;   in Loop: Header=BB135_2 Depth=1
	v_lshlrev_b32_e32 v17, 3, v22
	ds_load_b64 v[17:18], v17 offset:8
; %bb.72:                               ;   in Loop: Header=BB135_2 Depth=1
	s_wait_alu 0xfffe
	s_or_saveexec_b32 s8, s8
	v_dual_mov_b32 v20, v16 :: v_dual_mov_b32 v19, v15
	s_wait_alu 0xfffe
	s_xor_b32 exec_lo, exec_lo, s8
	s_cbranch_execz .LBB135_74
; %bb.73:                               ;   in Loop: Header=BB135_2 Depth=1
	s_wait_dscnt 0x0
	v_lshlrev_b32_e32 v17, 3, v21
	ds_load_b64 v[19:20], v17 offset:8
	v_dual_mov_b32 v18, v14 :: v_dual_mov_b32 v17, v13
.LBB135_74:                             ;   in Loop: Header=BB135_2 Depth=1
	s_or_b32 exec_lo, exec_lo, s8
	v_add_nc_u32_e32 v23, 1, v22
	v_add_nc_u32_e32 v24, 1, v21
	s_wait_dscnt 0x0
	v_cmp_lt_i64_e64 s8, v[19:20], v[17:18]
	v_cndmask_b32_e64 v7, v7, v8, s6
	s_wait_loadcnt 0x0
	v_cndmask_b32_e64 v23, v23, v22, s7
	v_cndmask_b32_e64 v22, v22, v21, s7
	;; [unrolled: 1-line block ×3, first 2 shown]
	s_barrier_signal -1
	s_barrier_wait -1
	v_cmp_ge_i32_e64 s9, v23, v52
	global_inv scope:SCOPE_SE
	v_cmp_lt_i32_e64 s10, v21, v53
	ds_store_2addr_b64 v25, v[1:2], v[5:6] offset1:1
	ds_store_b64 v25, v[3:4] offset:16
	v_lshlrev_b32_e32 v1, 3, v7
	s_or_b32 s8, s9, s8
	v_lshlrev_b32_e32 v2, 3, v22
	s_wait_alu 0xfffe
	s_and_b32 s8, s10, s8
	s_wait_loadcnt_dscnt 0x0
	s_wait_alu 0xfffe
	v_cndmask_b32_e64 v8, v23, v21, s8
	s_barrier_signal -1
	s_barrier_wait -1
	global_inv scope:SCOPE_SE
	v_cndmask_b32_e64 v10, v10, v12, s6
	v_lshlrev_b32_e32 v5, 3, v8
	v_cndmask_b32_e64 v9, v9, v11, s6
	v_cndmask_b32_e64 v18, v18, v20, s8
	ds_load_b64 v[3:4], v1
	ds_load_b64 v[7:8], v2
	ds_load_b64 v[5:6], v5
	v_cndmask_b32_e64 v2, v14, v16, s7
	v_cndmask_b32_e64 v1, v13, v15, s7
	;; [unrolled: 1-line block ×3, first 2 shown]
	s_wait_loadcnt_dscnt 0x0
	s_barrier_signal -1
	s_barrier_wait -1
	global_inv scope:SCOPE_SE
	ds_store_2addr_b64 v25, v[9:10], v[1:2] offset1:1
	ds_store_b64 v25, v[17:18] offset:16
	v_mov_b32_e32 v9, v28
	s_wait_loadcnt_dscnt 0x0
	s_barrier_signal -1
	s_barrier_wait -1
	global_inv scope:SCOPE_SE
	s_and_saveexec_b32 s7, vcc_lo
	s_cbranch_execz .LBB135_78
; %bb.75:                               ;   in Loop: Header=BB135_2 Depth=1
	v_mov_b32_e32 v9, v28
	v_mov_b32_e32 v1, v29
	s_mov_b32 s8, 0
.LBB135_76:                             ;   Parent Loop BB135_2 Depth=1
                                        ; =>  This Inner Loop Header: Depth=2
	s_delay_alu instid0(VALU_DEP_1) | instskip(NEXT) | instid1(VALU_DEP_1)
	v_sub_nc_u32_e32 v2, v1, v9
	v_lshrrev_b32_e32 v2, 1, v2
	s_delay_alu instid0(VALU_DEP_1) | instskip(NEXT) | instid1(VALU_DEP_1)
	v_add_nc_u32_e32 v2, v2, v9
	v_not_b32_e32 v10, v2
	v_lshlrev_b32_e32 v11, 3, v2
	s_delay_alu instid0(VALU_DEP_2)
	v_lshl_add_u32 v12, v10, 3, v30
	ds_load_b64 v[10:11], v11
	ds_load_b64 v[12:13], v12 offset:1536
	s_wait_dscnt 0x0
	v_cmp_lt_i64_e64 s6, v[12:13], v[10:11]
	v_add_nc_u32_e32 v10, 1, v2
	s_wait_alu 0xf1ff
	s_delay_alu instid0(VALU_DEP_2) | instskip(NEXT) | instid1(VALU_DEP_2)
	v_cndmask_b32_e64 v1, v1, v2, s6
	v_cndmask_b32_e64 v9, v10, v9, s6
	s_delay_alu instid0(VALU_DEP_1)
	v_cmp_ge_i32_e64 s6, v9, v1
	s_wait_alu 0xfffe
	s_or_b32 s8, s6, s8
	s_wait_alu 0xfffe
	s_and_not1_b32 exec_lo, exec_lo, s8
	s_cbranch_execnz .LBB135_76
; %bb.77:                               ;   in Loop: Header=BB135_2 Depth=1
	s_or_b32 exec_lo, exec_lo, s8
.LBB135_78:                             ;   in Loop: Header=BB135_2 Depth=1
	s_wait_alu 0xfffe
	s_or_b32 exec_lo, exec_lo, s7
	v_sub_nc_u32_e32 v1, v26, v9
	v_lshlrev_b32_e32 v2, 3, v9
	v_sub_nc_u32_e32 v10, v27, v9
	v_cmp_le_i32_e64 s7, 0xc0, v9
                                        ; implicit-def: $vgpr17_vgpr18
	s_delay_alu instid0(VALU_DEP_4)
	v_lshlrev_b32_e32 v1, 3, v1
	ds_load_b64 v[13:14], v2
	ds_load_b64 v[15:16], v1 offset:1536
	v_cmp_gt_i32_e64 s8, 0x180, v10
	s_wait_dscnt 0x0
	v_cmp_lt_i64_e64 s6, v[15:16], v[13:14]
	s_or_b32 s6, s7, s6
	s_wait_alu 0xfffe
	s_and_b32 s6, s8, s6
	s_wait_alu 0xfffe
	s_xor_b32 s7, s6, -1
	s_wait_alu 0xfffe
	s_and_saveexec_b32 s8, s7
	s_wait_alu 0xfffe
	s_xor_b32 s7, exec_lo, s8
; %bb.79:                               ;   in Loop: Header=BB135_2 Depth=1
	ds_load_b64 v[17:18], v2 offset:8
                                        ; implicit-def: $vgpr1
; %bb.80:                               ;   in Loop: Header=BB135_2 Depth=1
	s_wait_alu 0xfffe
	s_or_saveexec_b32 s7, s7
	v_dual_mov_b32 v20, v16 :: v_dual_mov_b32 v19, v15
	s_wait_alu 0xfffe
	s_xor_b32 exec_lo, exec_lo, s7
	s_cbranch_execz .LBB135_82
; %bb.81:                               ;   in Loop: Header=BB135_2 Depth=1
	ds_load_b64 v[19:20], v1 offset:1544
	s_wait_dscnt 0x1
	v_dual_mov_b32 v18, v14 :: v_dual_mov_b32 v17, v13
.LBB135_82:                             ;   in Loop: Header=BB135_2 Depth=1
	s_or_b32 exec_lo, exec_lo, s7
	v_add_nc_u32_e32 v1, 1, v9
	v_add_nc_u32_e32 v2, 1, v10
	s_wait_dscnt 0x0
	v_cmp_lt_i64_e64 s7, v[19:20], v[17:18]
                                        ; implicit-def: $vgpr23
	s_delay_alu instid0(VALU_DEP_3) | instskip(NEXT) | instid1(VALU_DEP_3)
	v_cndmask_b32_e64 v24, v1, v9, s6
	v_cndmask_b32_e64 v11, v10, v2, s6
                                        ; implicit-def: $vgpr1_vgpr2
	s_delay_alu instid0(VALU_DEP_2) | instskip(NEXT) | instid1(VALU_DEP_2)
	v_cmp_le_i32_e64 s8, 0xc0, v24
	v_cmp_gt_i32_e64 s9, 0x180, v11
	s_or_b32 s7, s8, s7
	s_wait_alu 0xfffe
	s_and_b32 s7, s9, s7
	s_wait_alu 0xfffe
	s_xor_b32 s8, s7, -1
	s_wait_alu 0xfffe
	s_and_saveexec_b32 s9, s8
	s_wait_alu 0xfffe
	s_xor_b32 s8, exec_lo, s9
; %bb.83:                               ;   in Loop: Header=BB135_2 Depth=1
	v_lshlrev_b32_e32 v1, 3, v24
	v_add_nc_u32_e32 v23, 1, v24
	ds_load_b64 v[1:2], v1 offset:8
; %bb.84:                               ;   in Loop: Header=BB135_2 Depth=1
	s_wait_alu 0xfffe
	s_or_saveexec_b32 s8, s8
	v_mov_b32_e32 v22, v20
	v_dual_mov_b32 v12, v24 :: v_dual_mov_b32 v21, v19
	s_wait_alu 0xfffe
	s_xor_b32 exec_lo, exec_lo, s8
	s_cbranch_execz .LBB135_1
; %bb.85:                               ;   in Loop: Header=BB135_2 Depth=1
	s_wait_dscnt 0x0
	v_dual_mov_b32 v12, v11 :: v_dual_lshlrev_b32 v1, 3, v11
	v_mov_b32_e32 v23, v24
	ds_load_b64 v[21:22], v1 offset:8
	v_add_nc_u32_e32 v1, 1, v11
	s_delay_alu instid0(VALU_DEP_1)
	v_mov_b32_e32 v11, v1
	v_dual_mov_b32 v1, v17 :: v_dual_mov_b32 v2, v18
	s_branch .LBB135_1
.LBB135_86:
	s_wait_dscnt 0x2
	v_add_co_u32 v5, vcc_lo, v5, v11
	s_wait_alu 0xfffd
	v_add_co_ci_u32_e64 v6, null, v6, v12, vcc_lo
	s_wait_dscnt 0x1
	v_add_co_u32 v3, vcc_lo, v3, v9
	s_wait_alu 0xfffd
	v_add_co_ci_u32_e64 v4, null, v4, v10, vcc_lo
	v_lshlrev_b32_e32 v9, 3, v0
	s_wait_dscnt 0x0
	v_add_co_u32 v0, vcc_lo, v1, v7
	s_wait_alu 0xfffd
	v_add_co_ci_u32_e64 v1, null, v2, v8, vcc_lo
	s_add_nc_u64 s[0:1], s[14:15], s[16:17]
	s_clause 0x2
	global_store_b64 v9, v[5:6], s[0:1]
	global_store_b64 v9, v[3:4], s[0:1] offset:1024
	global_store_b64 v9, v[0:1], s[0:1] offset:2048
	s_endpgm
	.section	.rodata,"a",@progbits
	.p2align	6, 0x0
	.amdhsa_kernel _Z17sort_pairs_kernelIxLj128ELj3EN10test_utils4lessELj10EEvPKT_PS2_T2_
		.amdhsa_group_segment_fixed_size 3080
		.amdhsa_private_segment_fixed_size 0
		.amdhsa_kernarg_size 20
		.amdhsa_user_sgpr_count 2
		.amdhsa_user_sgpr_dispatch_ptr 0
		.amdhsa_user_sgpr_queue_ptr 0
		.amdhsa_user_sgpr_kernarg_segment_ptr 1
		.amdhsa_user_sgpr_dispatch_id 0
		.amdhsa_user_sgpr_private_segment_size 0
		.amdhsa_wavefront_size32 1
		.amdhsa_uses_dynamic_stack 0
		.amdhsa_enable_private_segment 0
		.amdhsa_system_sgpr_workgroup_id_x 1
		.amdhsa_system_sgpr_workgroup_id_y 0
		.amdhsa_system_sgpr_workgroup_id_z 0
		.amdhsa_system_sgpr_workgroup_info 0
		.amdhsa_system_vgpr_workitem_id 0
		.amdhsa_next_free_vgpr 90
		.amdhsa_next_free_sgpr 20
		.amdhsa_reserve_vcc 1
		.amdhsa_float_round_mode_32 0
		.amdhsa_float_round_mode_16_64 0
		.amdhsa_float_denorm_mode_32 3
		.amdhsa_float_denorm_mode_16_64 3
		.amdhsa_fp16_overflow 0
		.amdhsa_workgroup_processor_mode 1
		.amdhsa_memory_ordered 1
		.amdhsa_forward_progress 1
		.amdhsa_inst_pref_size 55
		.amdhsa_round_robin_scheduling 0
		.amdhsa_exception_fp_ieee_invalid_op 0
		.amdhsa_exception_fp_denorm_src 0
		.amdhsa_exception_fp_ieee_div_zero 0
		.amdhsa_exception_fp_ieee_overflow 0
		.amdhsa_exception_fp_ieee_underflow 0
		.amdhsa_exception_fp_ieee_inexact 0
		.amdhsa_exception_int_div_zero 0
	.end_amdhsa_kernel
	.section	.text._Z17sort_pairs_kernelIxLj128ELj3EN10test_utils4lessELj10EEvPKT_PS2_T2_,"axG",@progbits,_Z17sort_pairs_kernelIxLj128ELj3EN10test_utils4lessELj10EEvPKT_PS2_T2_,comdat
.Lfunc_end135:
	.size	_Z17sort_pairs_kernelIxLj128ELj3EN10test_utils4lessELj10EEvPKT_PS2_T2_, .Lfunc_end135-_Z17sort_pairs_kernelIxLj128ELj3EN10test_utils4lessELj10EEvPKT_PS2_T2_
                                        ; -- End function
	.set _Z17sort_pairs_kernelIxLj128ELj3EN10test_utils4lessELj10EEvPKT_PS2_T2_.num_vgpr, 90
	.set _Z17sort_pairs_kernelIxLj128ELj3EN10test_utils4lessELj10EEvPKT_PS2_T2_.num_agpr, 0
	.set _Z17sort_pairs_kernelIxLj128ELj3EN10test_utils4lessELj10EEvPKT_PS2_T2_.numbered_sgpr, 20
	.set _Z17sort_pairs_kernelIxLj128ELj3EN10test_utils4lessELj10EEvPKT_PS2_T2_.num_named_barrier, 0
	.set _Z17sort_pairs_kernelIxLj128ELj3EN10test_utils4lessELj10EEvPKT_PS2_T2_.private_seg_size, 0
	.set _Z17sort_pairs_kernelIxLj128ELj3EN10test_utils4lessELj10EEvPKT_PS2_T2_.uses_vcc, 1
	.set _Z17sort_pairs_kernelIxLj128ELj3EN10test_utils4lessELj10EEvPKT_PS2_T2_.uses_flat_scratch, 0
	.set _Z17sort_pairs_kernelIxLj128ELj3EN10test_utils4lessELj10EEvPKT_PS2_T2_.has_dyn_sized_stack, 0
	.set _Z17sort_pairs_kernelIxLj128ELj3EN10test_utils4lessELj10EEvPKT_PS2_T2_.has_recursion, 0
	.set _Z17sort_pairs_kernelIxLj128ELj3EN10test_utils4lessELj10EEvPKT_PS2_T2_.has_indirect_call, 0
	.section	.AMDGPU.csdata,"",@progbits
; Kernel info:
; codeLenInByte = 7028
; TotalNumSgprs: 22
; NumVgprs: 90
; ScratchSize: 0
; MemoryBound: 0
; FloatMode: 240
; IeeeMode: 1
; LDSByteSize: 3080 bytes/workgroup (compile time only)
; SGPRBlocks: 0
; VGPRBlocks: 11
; NumSGPRsForWavesPerEU: 22
; NumVGPRsForWavesPerEU: 90
; Occupancy: 16
; WaveLimiterHint : 1
; COMPUTE_PGM_RSRC2:SCRATCH_EN: 0
; COMPUTE_PGM_RSRC2:USER_SGPR: 2
; COMPUTE_PGM_RSRC2:TRAP_HANDLER: 0
; COMPUTE_PGM_RSRC2:TGID_X_EN: 1
; COMPUTE_PGM_RSRC2:TGID_Y_EN: 0
; COMPUTE_PGM_RSRC2:TGID_Z_EN: 0
; COMPUTE_PGM_RSRC2:TIDIG_COMP_CNT: 0
	.section	.text._Z16sort_keys_kernelIxLj128ELj4EN10test_utils4lessELj10EEvPKT_PS2_T2_,"axG",@progbits,_Z16sort_keys_kernelIxLj128ELj4EN10test_utils4lessELj10EEvPKT_PS2_T2_,comdat
	.protected	_Z16sort_keys_kernelIxLj128ELj4EN10test_utils4lessELj10EEvPKT_PS2_T2_ ; -- Begin function _Z16sort_keys_kernelIxLj128ELj4EN10test_utils4lessELj10EEvPKT_PS2_T2_
	.globl	_Z16sort_keys_kernelIxLj128ELj4EN10test_utils4lessELj10EEvPKT_PS2_T2_
	.p2align	8
	.type	_Z16sort_keys_kernelIxLj128ELj4EN10test_utils4lessELj10EEvPKT_PS2_T2_,@function
_Z16sort_keys_kernelIxLj128ELj4EN10test_utils4lessELj10EEvPKT_PS2_T2_: ; @_Z16sort_keys_kernelIxLj128ELj4EN10test_utils4lessELj10EEvPKT_PS2_T2_
; %bb.0:
	s_load_b128 s[12:15], s[0:1], 0x0
	s_lshl_b32 s10, ttmp9, 9
	s_mov_b32 s11, 0
	v_lshlrev_b32_e32 v5, 3, v0
	s_lshl_b64 s[16:17], s[10:11], 3
	v_lshlrev_b32_e32 v9, 2, v0
	v_lshlrev_b32_e32 v21, 5, v0
	s_delay_alu instid0(VALU_DEP_2)
	v_and_b32_e32 v17, 0x1f8, v9
	v_and_b32_e32 v10, 4, v9
	;; [unrolled: 1-line block ×5, first 2 shown]
	v_or_b32_e32 v18, 4, v17
	v_add_nc_u32_e32 v19, 8, v17
	v_or_b32_e32 v22, 8, v20
	v_add_nc_u32_e32 v23, 16, v20
	v_or_b32_e32 v29, 16, v27
	s_wait_kmcnt 0x0
	s_add_nc_u64 s[0:1], s[12:13], s[16:17]
	v_sub_nc_u32_e32 v11, v19, v18
	s_clause 0x3
	global_load_b64 v[1:2], v5, s[0:1]
	global_load_b64 v[7:8], v5, s[0:1] offset:1024
	global_load_b64 v[3:4], v5, s[0:1] offset:2048
	;; [unrolled: 1-line block ×3, first 2 shown]
	v_add_nc_u32_e32 v30, 32, v27
	v_sub_nc_u32_e32 v14, v22, v20
	v_or_b32_e32 v36, 32, v34
	v_sub_nc_u32_e32 v12, v10, v11
	v_cmp_ge_i32_e32 vcc_lo, v10, v11
	v_and_b32_e32 v11, 12, v9
	v_add_nc_u32_e32 v37, 64, v34
	v_sub_nc_u32_e32 v15, v29, v27
	v_dual_cndmask_b32 v24, 0, v12 :: v_dual_and_b32 v41, 0x180, v9
	v_sub_nc_u32_e32 v13, v18, v17
	v_sub_nc_u32_e32 v12, v23, v22
	v_min_i32_e32 v32, v11, v14
	s_delay_alu instid0(VALU_DEP_4)
	v_or_b32_e32 v43, 64, v41
	v_add_nc_u32_e32 v44, 0x80, v41
	v_min_i32_e32 v25, v10, v13
	v_sub_nc_u32_e32 v13, v11, v12
	v_cmp_ge_i32_e64 s0, v11, v12
	v_and_b32_e32 v12, 28, v9
	v_and_b32_e32 v46, 0x100, v9
	v_sub_nc_u32_e32 v16, v36, v34
	v_and_b32_e32 v64, 0xfc, v9
	v_cndmask_b32_e64 v31, 0, v13, s0
	v_sub_nc_u32_e32 v13, v30, v29
	v_min_i32_e32 v39, v12, v15
	v_or_b32_e32 v49, 0x80, v46
	v_add_nc_u32_e32 v50, 0x100, v46
	v_add_nc_u32_e32 v28, v18, v10
	v_sub_nc_u32_e32 v14, v12, v13
	v_cmp_ge_i32_e64 s1, v12, v13
	v_and_b32_e32 v13, 60, v9
	v_sub_nc_u32_e32 v56, v50, v49
	v_sub_nc_u32_e32 v52, v43, v41
	v_lshlrev_b32_e32 v10, 3, v10
	s_wait_alu 0xf1ff
	v_cndmask_b32_e64 v38, 0, v14, s1
	v_sub_nc_u32_e32 v14, v37, v36
	v_min_i32_e32 v47, v13, v16
	v_cmp_ge_i32_e64 s4, v64, v56
	v_add_nc_u32_e32 v35, v22, v11
	v_add_nc_u32_e32 v42, v29, v12
	v_sub_nc_u32_e32 v15, v13, v14
	v_cmp_ge_i32_e64 s2, v13, v14
	v_and_b32_e32 v14, 0x7c, v9
	v_add_nc_u32_e32 v53, v36, v13
	v_subrev_nc_u32_e64 v58, 0x100, v9 clamp
	v_min_i32_e32 v59, 0x100, v9
	v_cndmask_b32_e64 v45, 0, v15, s2
	v_sub_nc_u32_e32 v15, v44, v43
	v_min_i32_e32 v52, v14, v52
	v_add_nc_u32_e32 v62, 0x100, v9
	v_lshl_add_u32 v63, v18, 3, v10
	v_lshlrev_b32_e32 v9, 3, v11
	v_sub_nc_u32_e32 v16, v14, v15
	v_cmp_ge_i32_e64 s3, v14, v15
	v_sub_nc_u32_e32 v15, v64, v56
	v_lshlrev_b32_e32 v10, 3, v12
	v_lshlrev_b32_e32 v11, 3, v13
	;; [unrolled: 1-line block ×3, first 2 shown]
	s_wait_alu 0xf1ff
	v_cndmask_b32_e64 v51, 0, v16, s3
	v_sub_nc_u32_e32 v16, v49, v46
	v_cndmask_b32_e64 v56, 0, v15, s4
	v_lshlrev_b32_e32 v13, 3, v64
	v_lshlrev_b32_e32 v26, 3, v17
	;; [unrolled: 1-line block ×3, first 2 shown]
	v_min_i32_e32 v57, v64, v16
	v_cmp_lt_i32_e64 s0, v31, v32
	v_lshlrev_b32_e32 v40, 3, v27
	v_cmp_lt_i32_e64 s1, v38, v39
	v_lshlrev_b32_e32 v48, 3, v34
	;; [unrolled: 2-line block ×3, first 2 shown]
	v_cmp_lt_i32_e64 s3, v51, v52
	v_add_nc_u32_e32 v55, v43, v14
	v_lshlrev_b32_e32 v60, 3, v46
	v_cmp_lt_i32_e64 s4, v56, v57
	v_add_nc_u32_e32 v61, v49, v64
	v_cmp_lt_i32_e64 s5, v58, v59
	v_lshl_add_u32 v64, v22, 3, v9
	v_lshl_add_u32 v65, v29, 3, v10
	;; [unrolled: 1-line block ×5, first 2 shown]
	v_add_nc_u32_e32 v69, 0x800, v21
	v_cmp_lt_i32_e32 vcc_lo, v24, v25
	s_branch .LBB136_2
.LBB136_1:                              ;   in Loop: Header=BB136_2 Depth=1
	s_or_b32 exec_lo, exec_lo, s9
	v_cndmask_b32_e64 v2, v2, v6, s6
	v_cndmask_b32_e64 v1, v1, v5, s6
	s_wait_dscnt 0x0
	v_cmp_lt_i64_e64 s6, v[15:16], v[13:14]
	v_cmp_le_i32_e64 s9, 0x100, v71
	v_cmp_gt_i32_e64 s10, 0x200, v70
	v_cndmask_b32_e64 v8, v4, v8, s7
	v_cndmask_b32_e64 v7, v3, v7, s7
	;; [unrolled: 1-line block ×3, first 2 shown]
	s_or_b32 s6, s9, s6
	v_cndmask_b32_e64 v3, v9, v11, s8
	s_wait_alu 0xfffe
	s_and_b32 s6, s10, s6
	s_add_co_i32 s11, s11, 1
	s_wait_alu 0xfffe
	v_cndmask_b32_e64 v6, v14, v16, s6
	v_cndmask_b32_e64 v5, v13, v15, s6
	s_cmp_eq_u32 s11, 10
	s_cbranch_scc1 .LBB136_114
.LBB136_2:                              ; =>This Loop Header: Depth=1
                                        ;     Child Loop BB136_4 Depth 2
                                        ;     Child Loop BB136_20 Depth 2
	;; [unrolled: 1-line block ×7, first 2 shown]
	s_wait_loadcnt 0x2
	v_cmp_lt_i64_e64 s6, v[7:8], v[1:2]
	v_cmp_gt_i64_e64 s7, v[7:8], v[1:2]
	s_wait_loadcnt 0x0
	v_cmp_lt_i64_e64 s8, v[5:6], v[3:4]
	s_barrier_signal -1
	s_barrier_wait -1
	s_wait_alu 0xf1ff
	v_cndmask_b32_e64 v10, v2, v8, s6
	v_cndmask_b32_e64 v12, v2, v8, s7
	;; [unrolled: 1-line block ×8, first 2 shown]
	v_cmp_gt_i64_e64 s6, v[5:6], v[3:4]
	v_cndmask_b32_e64 v16, v5, v3, s8
	v_cndmask_b32_e64 v8, v6, v4, s8
	v_cmp_gt_i64_e64 s8, v[13:14], v[11:12]
	v_cmp_lt_i64_e64 s7, v[13:14], v[11:12]
	global_inv scope:SCOPE_SE
	s_wait_alu 0xf1ff
	v_cndmask_b32_e64 v2, v4, v6, s6
	v_cndmask_b32_e64 v1, v3, v5, s6
	v_cmp_lt_i64_e64 s6, v[13:14], v[9:10]
	v_cndmask_b32_e64 v71, v11, v13, s8
	v_cndmask_b32_e64 v72, v12, v14, s8
	;; [unrolled: 1-line block ×3, first 2 shown]
	v_cmp_gt_i64_e64 s8, v[11:12], v[1:2]
	v_cndmask_b32_e64 v73, v11, v13, s7
	v_cndmask_b32_e64 v70, v14, v12, s7
	;; [unrolled: 1-line block ×3, first 2 shown]
	s_wait_alu 0xf1ff
	v_cndmask_b32_e64 v6, v3, v10, s6
	v_cndmask_b32_e64 v7, v7, v14, s7
	;; [unrolled: 1-line block ×9, first 2 shown]
	v_cmp_lt_i64_e64 s7, v[11:12], v[5:6]
	v_cndmask_b32_e64 v1, v74, v1, s8
	v_cndmask_b32_e64 v10, v7, v10, s6
	;; [unrolled: 1-line block ×5, first 2 shown]
	s_wait_alu 0xf1ff
	v_cndmask_b32_e64 v2, v2, v6, s7
	v_cndmask_b32_e64 v1, v1, v5, s7
	;; [unrolled: 1-line block ×4, first 2 shown]
	ds_store_2addr_b64 v21, v[3:4], v[5:6] offset1:1
	ds_store_2addr_b64 v21, v[1:2], v[7:8] offset0:2 offset1:3
	v_mov_b32_e32 v5, v24
	s_wait_loadcnt_dscnt 0x0
	s_barrier_signal -1
	s_barrier_wait -1
	global_inv scope:SCOPE_SE
	s_and_saveexec_b32 s7, vcc_lo
	s_cbranch_execz .LBB136_6
; %bb.3:                                ;   in Loop: Header=BB136_2 Depth=1
	v_mov_b32_e32 v5, v24
	v_mov_b32_e32 v1, v25
	s_mov_b32 s8, 0
.LBB136_4:                              ;   Parent Loop BB136_2 Depth=1
                                        ; =>  This Inner Loop Header: Depth=2
	s_delay_alu instid0(VALU_DEP_1) | instskip(NEXT) | instid1(VALU_DEP_1)
	v_sub_nc_u32_e32 v2, v1, v5
	v_lshrrev_b32_e32 v2, 1, v2
	s_delay_alu instid0(VALU_DEP_1) | instskip(NEXT) | instid1(VALU_DEP_1)
	v_add_nc_u32_e32 v4, v2, v5
	v_not_b32_e32 v2, v4
	v_lshl_add_u32 v3, v4, 3, v26
	s_delay_alu instid0(VALU_DEP_2)
	v_lshl_add_u32 v6, v2, 3, v63
	ds_load_b64 v[2:3], v3
	ds_load_b64 v[6:7], v6
	s_wait_dscnt 0x0
	v_cmp_lt_i64_e64 s6, v[6:7], v[2:3]
	v_add_nc_u32_e32 v2, 1, v4
	s_wait_alu 0xf1ff
	s_delay_alu instid0(VALU_DEP_2) | instskip(NEXT) | instid1(VALU_DEP_2)
	v_cndmask_b32_e64 v1, v1, v4, s6
	v_cndmask_b32_e64 v5, v2, v5, s6
	s_delay_alu instid0(VALU_DEP_1)
	v_cmp_ge_i32_e64 s6, v5, v1
	s_wait_alu 0xfffe
	s_or_b32 s8, s6, s8
	s_wait_alu 0xfffe
	s_and_not1_b32 exec_lo, exec_lo, s8
	s_cbranch_execnz .LBB136_4
; %bb.5:                                ;   in Loop: Header=BB136_2 Depth=1
	s_or_b32 exec_lo, exec_lo, s8
.LBB136_6:                              ;   in Loop: Header=BB136_2 Depth=1
	s_wait_alu 0xfffe
	s_or_b32 exec_lo, exec_lo, s7
	v_sub_nc_u32_e32 v9, v28, v5
	v_lshl_add_u32 v7, v5, 3, v26
	v_add_nc_u32_e32 v10, v5, v17
                                        ; implicit-def: $vgpr5_vgpr6
	s_delay_alu instid0(VALU_DEP_3) | instskip(SKIP_1) | instid1(VALU_DEP_3)
	v_lshlrev_b32_e32 v11, 3, v9
	v_cmp_gt_i32_e64 s8, v19, v9
	v_cmp_le_i32_e64 s7, v18, v10
	ds_load_b64 v[1:2], v7
	ds_load_b64 v[3:4], v11
	s_wait_dscnt 0x0
	v_cmp_lt_i64_e64 s6, v[3:4], v[1:2]
	s_or_b32 s6, s7, s6
	s_wait_alu 0xfffe
	s_and_b32 s6, s8, s6
	s_wait_alu 0xfffe
	s_xor_b32 s7, s6, -1
	s_wait_alu 0xfffe
	s_and_saveexec_b32 s8, s7
	s_wait_alu 0xfffe
	s_xor_b32 s7, exec_lo, s8
; %bb.7:                                ;   in Loop: Header=BB136_2 Depth=1
	ds_load_b64 v[5:6], v7 offset:8
                                        ; implicit-def: $vgpr11
; %bb.8:                                ;   in Loop: Header=BB136_2 Depth=1
	s_wait_alu 0xfffe
	s_or_saveexec_b32 s7, s7
	v_dual_mov_b32 v8, v4 :: v_dual_mov_b32 v7, v3
	s_wait_alu 0xfffe
	s_xor_b32 exec_lo, exec_lo, s7
	s_cbranch_execz .LBB136_10
; %bb.9:                                ;   in Loop: Header=BB136_2 Depth=1
	ds_load_b64 v[7:8], v11 offset:8
	s_wait_dscnt 0x1
	v_dual_mov_b32 v6, v2 :: v_dual_mov_b32 v5, v1
.LBB136_10:                             ;   in Loop: Header=BB136_2 Depth=1
	s_or_b32 exec_lo, exec_lo, s7
	v_add_nc_u32_e32 v11, 1, v10
	v_add_nc_u32_e32 v12, 1, v9
	s_wait_dscnt 0x0
	v_cmp_lt_i64_e64 s7, v[7:8], v[5:6]
	s_delay_alu instid0(VALU_DEP_3) | instskip(NEXT) | instid1(VALU_DEP_3)
	v_cndmask_b32_e64 v14, v11, v10, s6
	v_cndmask_b32_e64 v13, v9, v12, s6
                                        ; implicit-def: $vgpr9_vgpr10
	s_delay_alu instid0(VALU_DEP_2) | instskip(NEXT) | instid1(VALU_DEP_2)
	v_cmp_ge_i32_e64 s8, v14, v18
	v_cmp_lt_i32_e64 s9, v13, v19
	s_or_b32 s7, s8, s7
	s_wait_alu 0xfffe
	s_and_b32 s7, s9, s7
	s_wait_alu 0xfffe
	s_xor_b32 s8, s7, -1
	s_wait_alu 0xfffe
	s_and_saveexec_b32 s9, s8
	s_wait_alu 0xfffe
	s_xor_b32 s8, exec_lo, s9
; %bb.11:                               ;   in Loop: Header=BB136_2 Depth=1
	v_lshlrev_b32_e32 v9, 3, v14
	ds_load_b64 v[9:10], v9 offset:8
; %bb.12:                               ;   in Loop: Header=BB136_2 Depth=1
	s_wait_alu 0xfffe
	s_or_saveexec_b32 s8, s8
	v_dual_mov_b32 v12, v8 :: v_dual_mov_b32 v11, v7
	s_wait_alu 0xfffe
	s_xor_b32 exec_lo, exec_lo, s8
	s_cbranch_execz .LBB136_14
; %bb.13:                               ;   in Loop: Header=BB136_2 Depth=1
	s_wait_dscnt 0x0
	v_lshlrev_b32_e32 v9, 3, v13
	ds_load_b64 v[11:12], v9 offset:8
	v_dual_mov_b32 v10, v6 :: v_dual_mov_b32 v9, v5
.LBB136_14:                             ;   in Loop: Header=BB136_2 Depth=1
	s_or_b32 exec_lo, exec_lo, s8
	v_add_nc_u32_e32 v15, 1, v14
	v_add_nc_u32_e32 v16, 1, v13
	s_wait_dscnt 0x0
	v_cmp_lt_i64_e64 s8, v[11:12], v[9:10]
	s_delay_alu instid0(VALU_DEP_3) | instskip(NEXT) | instid1(VALU_DEP_3)
	v_cndmask_b32_e64 v71, v15, v14, s7
	v_cndmask_b32_e64 v70, v13, v16, s7
                                        ; implicit-def: $vgpr13_vgpr14
	s_delay_alu instid0(VALU_DEP_2) | instskip(NEXT) | instid1(VALU_DEP_2)
	v_cmp_ge_i32_e64 s9, v71, v18
	v_cmp_lt_i32_e64 s10, v70, v19
	s_or_b32 s8, s9, s8
	s_wait_alu 0xfffe
	s_and_b32 s8, s10, s8
	s_wait_alu 0xfffe
	s_xor_b32 s9, s8, -1
	s_wait_alu 0xfffe
	s_and_saveexec_b32 s10, s9
	s_delay_alu instid0(SALU_CYCLE_1)
	s_xor_b32 s9, exec_lo, s10
; %bb.15:                               ;   in Loop: Header=BB136_2 Depth=1
	v_lshlrev_b32_e32 v13, 3, v71
	ds_load_b64 v[13:14], v13 offset:8
; %bb.16:                               ;   in Loop: Header=BB136_2 Depth=1
	s_wait_alu 0xfffe
	s_or_saveexec_b32 s9, s9
	v_dual_mov_b32 v16, v12 :: v_dual_mov_b32 v15, v11
	s_wait_alu 0xfffe
	s_xor_b32 exec_lo, exec_lo, s9
	s_cbranch_execz .LBB136_18
; %bb.17:                               ;   in Loop: Header=BB136_2 Depth=1
	s_wait_dscnt 0x0
	v_lshlrev_b32_e32 v13, 3, v70
	ds_load_b64 v[15:16], v13 offset:8
	v_dual_mov_b32 v14, v10 :: v_dual_mov_b32 v13, v9
.LBB136_18:                             ;   in Loop: Header=BB136_2 Depth=1
	s_or_b32 exec_lo, exec_lo, s9
	v_add_nc_u32_e32 v72, 1, v71
	v_add_nc_u32_e32 v73, 1, v70
	v_cndmask_b32_e64 v9, v9, v11, s8
	v_cndmask_b32_e64 v7, v5, v7, s7
	v_mov_b32_e32 v5, v31
	v_cndmask_b32_e64 v11, v72, v71, s8
	v_cndmask_b32_e64 v8, v6, v8, s7
	;; [unrolled: 1-line block ×3, first 2 shown]
	s_wait_dscnt 0x0
	v_cmp_lt_i64_e64 s7, v[15:16], v[13:14]
	v_cndmask_b32_e64 v10, v10, v12, s8
	v_cmp_ge_i32_e64 s8, v11, v18
	v_cndmask_b32_e64 v2, v2, v4, s6
	v_cmp_lt_i32_e64 s9, v6, v19
	v_cndmask_b32_e64 v1, v1, v3, s6
	s_wait_loadcnt 0x0
	s_or_b32 s6, s8, s7
	s_barrier_signal -1
	s_wait_alu 0xfffe
	s_and_b32 s6, s9, s6
	s_barrier_wait -1
	s_wait_alu 0xfffe
	v_cndmask_b32_e64 v4, v14, v16, s6
	v_cndmask_b32_e64 v3, v13, v15, s6
	global_inv scope:SCOPE_SE
	ds_store_2addr_b64 v21, v[1:2], v[7:8] offset1:1
	ds_store_2addr_b64 v21, v[9:10], v[3:4] offset0:2 offset1:3
	s_wait_loadcnt_dscnt 0x0
	s_barrier_signal -1
	s_barrier_wait -1
	global_inv scope:SCOPE_SE
	s_and_saveexec_b32 s7, s0
	s_cbranch_execz .LBB136_22
; %bb.19:                               ;   in Loop: Header=BB136_2 Depth=1
	v_mov_b32_e32 v5, v31
	v_mov_b32_e32 v1, v32
	s_mov_b32 s8, 0
.LBB136_20:                             ;   Parent Loop BB136_2 Depth=1
                                        ; =>  This Inner Loop Header: Depth=2
	s_delay_alu instid0(VALU_DEP_1) | instskip(NEXT) | instid1(VALU_DEP_1)
	v_sub_nc_u32_e32 v2, v1, v5
	v_lshrrev_b32_e32 v2, 1, v2
	s_delay_alu instid0(VALU_DEP_1) | instskip(NEXT) | instid1(VALU_DEP_1)
	v_add_nc_u32_e32 v4, v2, v5
	v_not_b32_e32 v2, v4
	v_lshl_add_u32 v3, v4, 3, v33
	s_delay_alu instid0(VALU_DEP_2)
	v_lshl_add_u32 v6, v2, 3, v64
	ds_load_b64 v[2:3], v3
	ds_load_b64 v[6:7], v6
	s_wait_dscnt 0x0
	v_cmp_lt_i64_e64 s6, v[6:7], v[2:3]
	v_add_nc_u32_e32 v2, 1, v4
	s_wait_alu 0xf1ff
	s_delay_alu instid0(VALU_DEP_2) | instskip(NEXT) | instid1(VALU_DEP_2)
	v_cndmask_b32_e64 v1, v1, v4, s6
	v_cndmask_b32_e64 v5, v2, v5, s6
	s_delay_alu instid0(VALU_DEP_1)
	v_cmp_ge_i32_e64 s6, v5, v1
	s_wait_alu 0xfffe
	s_or_b32 s8, s6, s8
	s_wait_alu 0xfffe
	s_and_not1_b32 exec_lo, exec_lo, s8
	s_cbranch_execnz .LBB136_20
; %bb.21:                               ;   in Loop: Header=BB136_2 Depth=1
	s_or_b32 exec_lo, exec_lo, s8
.LBB136_22:                             ;   in Loop: Header=BB136_2 Depth=1
	s_wait_alu 0xfffe
	s_or_b32 exec_lo, exec_lo, s7
	v_sub_nc_u32_e32 v9, v35, v5
	v_lshl_add_u32 v7, v5, 3, v33
	v_add_nc_u32_e32 v10, v5, v20
                                        ; implicit-def: $vgpr5_vgpr6
	s_delay_alu instid0(VALU_DEP_3) | instskip(SKIP_1) | instid1(VALU_DEP_3)
	v_lshlrev_b32_e32 v11, 3, v9
	v_cmp_gt_i32_e64 s8, v23, v9
	v_cmp_le_i32_e64 s7, v22, v10
	ds_load_b64 v[1:2], v7
	ds_load_b64 v[3:4], v11
	s_wait_dscnt 0x0
	v_cmp_lt_i64_e64 s6, v[3:4], v[1:2]
	s_or_b32 s6, s7, s6
	s_wait_alu 0xfffe
	s_and_b32 s6, s8, s6
	s_wait_alu 0xfffe
	s_xor_b32 s7, s6, -1
	s_wait_alu 0xfffe
	s_and_saveexec_b32 s8, s7
	s_wait_alu 0xfffe
	s_xor_b32 s7, exec_lo, s8
; %bb.23:                               ;   in Loop: Header=BB136_2 Depth=1
	ds_load_b64 v[5:6], v7 offset:8
                                        ; implicit-def: $vgpr11
; %bb.24:                               ;   in Loop: Header=BB136_2 Depth=1
	s_wait_alu 0xfffe
	s_or_saveexec_b32 s7, s7
	v_dual_mov_b32 v8, v4 :: v_dual_mov_b32 v7, v3
	s_wait_alu 0xfffe
	s_xor_b32 exec_lo, exec_lo, s7
	s_cbranch_execz .LBB136_26
; %bb.25:                               ;   in Loop: Header=BB136_2 Depth=1
	ds_load_b64 v[7:8], v11 offset:8
	s_wait_dscnt 0x1
	v_dual_mov_b32 v6, v2 :: v_dual_mov_b32 v5, v1
.LBB136_26:                             ;   in Loop: Header=BB136_2 Depth=1
	s_or_b32 exec_lo, exec_lo, s7
	v_add_nc_u32_e32 v11, 1, v10
	v_add_nc_u32_e32 v12, 1, v9
	s_wait_dscnt 0x0
	v_cmp_lt_i64_e64 s7, v[7:8], v[5:6]
	s_delay_alu instid0(VALU_DEP_3) | instskip(NEXT) | instid1(VALU_DEP_3)
	v_cndmask_b32_e64 v14, v11, v10, s6
	v_cndmask_b32_e64 v13, v9, v12, s6
                                        ; implicit-def: $vgpr9_vgpr10
	s_delay_alu instid0(VALU_DEP_2) | instskip(NEXT) | instid1(VALU_DEP_2)
	v_cmp_ge_i32_e64 s8, v14, v22
	v_cmp_lt_i32_e64 s9, v13, v23
	s_or_b32 s7, s8, s7
	s_wait_alu 0xfffe
	s_and_b32 s7, s9, s7
	s_wait_alu 0xfffe
	s_xor_b32 s8, s7, -1
	s_wait_alu 0xfffe
	s_and_saveexec_b32 s9, s8
	s_wait_alu 0xfffe
	s_xor_b32 s8, exec_lo, s9
; %bb.27:                               ;   in Loop: Header=BB136_2 Depth=1
	v_lshlrev_b32_e32 v9, 3, v14
	ds_load_b64 v[9:10], v9 offset:8
; %bb.28:                               ;   in Loop: Header=BB136_2 Depth=1
	s_wait_alu 0xfffe
	s_or_saveexec_b32 s8, s8
	v_dual_mov_b32 v12, v8 :: v_dual_mov_b32 v11, v7
	s_wait_alu 0xfffe
	s_xor_b32 exec_lo, exec_lo, s8
	s_cbranch_execz .LBB136_30
; %bb.29:                               ;   in Loop: Header=BB136_2 Depth=1
	s_wait_dscnt 0x0
	v_lshlrev_b32_e32 v9, 3, v13
	ds_load_b64 v[11:12], v9 offset:8
	v_dual_mov_b32 v10, v6 :: v_dual_mov_b32 v9, v5
.LBB136_30:                             ;   in Loop: Header=BB136_2 Depth=1
	s_or_b32 exec_lo, exec_lo, s8
	v_add_nc_u32_e32 v15, 1, v14
	v_add_nc_u32_e32 v16, 1, v13
	s_wait_dscnt 0x0
	v_cmp_lt_i64_e64 s8, v[11:12], v[9:10]
	s_delay_alu instid0(VALU_DEP_3) | instskip(NEXT) | instid1(VALU_DEP_3)
	v_cndmask_b32_e64 v71, v15, v14, s7
	v_cndmask_b32_e64 v70, v13, v16, s7
                                        ; implicit-def: $vgpr13_vgpr14
	s_delay_alu instid0(VALU_DEP_2) | instskip(NEXT) | instid1(VALU_DEP_2)
	v_cmp_ge_i32_e64 s9, v71, v22
	v_cmp_lt_i32_e64 s10, v70, v23
	s_or_b32 s8, s9, s8
	s_wait_alu 0xfffe
	s_and_b32 s8, s10, s8
	s_wait_alu 0xfffe
	s_xor_b32 s9, s8, -1
	s_wait_alu 0xfffe
	s_and_saveexec_b32 s10, s9
	s_delay_alu instid0(SALU_CYCLE_1)
	s_xor_b32 s9, exec_lo, s10
; %bb.31:                               ;   in Loop: Header=BB136_2 Depth=1
	v_lshlrev_b32_e32 v13, 3, v71
	ds_load_b64 v[13:14], v13 offset:8
; %bb.32:                               ;   in Loop: Header=BB136_2 Depth=1
	s_wait_alu 0xfffe
	s_or_saveexec_b32 s9, s9
	v_dual_mov_b32 v16, v12 :: v_dual_mov_b32 v15, v11
	s_wait_alu 0xfffe
	s_xor_b32 exec_lo, exec_lo, s9
	s_cbranch_execz .LBB136_34
; %bb.33:                               ;   in Loop: Header=BB136_2 Depth=1
	s_wait_dscnt 0x0
	v_lshlrev_b32_e32 v13, 3, v70
	ds_load_b64 v[15:16], v13 offset:8
	v_dual_mov_b32 v14, v10 :: v_dual_mov_b32 v13, v9
.LBB136_34:                             ;   in Loop: Header=BB136_2 Depth=1
	s_or_b32 exec_lo, exec_lo, s9
	v_add_nc_u32_e32 v72, 1, v71
	v_add_nc_u32_e32 v73, 1, v70
	v_cndmask_b32_e64 v9, v9, v11, s8
	v_cndmask_b32_e64 v7, v5, v7, s7
	v_mov_b32_e32 v5, v38
	v_cndmask_b32_e64 v11, v72, v71, s8
	v_cndmask_b32_e64 v8, v6, v8, s7
	;; [unrolled: 1-line block ×3, first 2 shown]
	s_wait_dscnt 0x0
	v_cmp_lt_i64_e64 s7, v[15:16], v[13:14]
	v_cndmask_b32_e64 v10, v10, v12, s8
	v_cmp_ge_i32_e64 s8, v11, v22
	v_cndmask_b32_e64 v2, v2, v4, s6
	v_cmp_lt_i32_e64 s9, v6, v23
	v_cndmask_b32_e64 v1, v1, v3, s6
	s_wait_loadcnt 0x0
	s_or_b32 s6, s8, s7
	s_barrier_signal -1
	s_wait_alu 0xfffe
	s_and_b32 s6, s9, s6
	s_barrier_wait -1
	s_wait_alu 0xfffe
	v_cndmask_b32_e64 v4, v14, v16, s6
	v_cndmask_b32_e64 v3, v13, v15, s6
	global_inv scope:SCOPE_SE
	ds_store_2addr_b64 v21, v[1:2], v[7:8] offset1:1
	ds_store_2addr_b64 v21, v[9:10], v[3:4] offset0:2 offset1:3
	s_wait_loadcnt_dscnt 0x0
	s_barrier_signal -1
	s_barrier_wait -1
	global_inv scope:SCOPE_SE
	s_and_saveexec_b32 s7, s1
	s_cbranch_execz .LBB136_38
; %bb.35:                               ;   in Loop: Header=BB136_2 Depth=1
	v_mov_b32_e32 v5, v38
	v_mov_b32_e32 v1, v39
	s_mov_b32 s8, 0
.LBB136_36:                             ;   Parent Loop BB136_2 Depth=1
                                        ; =>  This Inner Loop Header: Depth=2
	s_delay_alu instid0(VALU_DEP_1) | instskip(NEXT) | instid1(VALU_DEP_1)
	v_sub_nc_u32_e32 v2, v1, v5
	v_lshrrev_b32_e32 v2, 1, v2
	s_delay_alu instid0(VALU_DEP_1) | instskip(NEXT) | instid1(VALU_DEP_1)
	v_add_nc_u32_e32 v4, v2, v5
	v_not_b32_e32 v2, v4
	v_lshl_add_u32 v3, v4, 3, v40
	s_delay_alu instid0(VALU_DEP_2)
	v_lshl_add_u32 v6, v2, 3, v65
	ds_load_b64 v[2:3], v3
	ds_load_b64 v[6:7], v6
	s_wait_dscnt 0x0
	v_cmp_lt_i64_e64 s6, v[6:7], v[2:3]
	v_add_nc_u32_e32 v2, 1, v4
	s_wait_alu 0xf1ff
	s_delay_alu instid0(VALU_DEP_2) | instskip(NEXT) | instid1(VALU_DEP_2)
	v_cndmask_b32_e64 v1, v1, v4, s6
	v_cndmask_b32_e64 v5, v2, v5, s6
	s_delay_alu instid0(VALU_DEP_1)
	v_cmp_ge_i32_e64 s6, v5, v1
	s_wait_alu 0xfffe
	s_or_b32 s8, s6, s8
	s_wait_alu 0xfffe
	s_and_not1_b32 exec_lo, exec_lo, s8
	s_cbranch_execnz .LBB136_36
; %bb.37:                               ;   in Loop: Header=BB136_2 Depth=1
	s_or_b32 exec_lo, exec_lo, s8
.LBB136_38:                             ;   in Loop: Header=BB136_2 Depth=1
	s_wait_alu 0xfffe
	s_or_b32 exec_lo, exec_lo, s7
	v_sub_nc_u32_e32 v9, v42, v5
	v_lshl_add_u32 v7, v5, 3, v40
	v_add_nc_u32_e32 v10, v5, v27
                                        ; implicit-def: $vgpr5_vgpr6
	s_delay_alu instid0(VALU_DEP_3) | instskip(SKIP_1) | instid1(VALU_DEP_3)
	v_lshlrev_b32_e32 v11, 3, v9
	v_cmp_gt_i32_e64 s8, v30, v9
	v_cmp_le_i32_e64 s7, v29, v10
	ds_load_b64 v[1:2], v7
	ds_load_b64 v[3:4], v11
	s_wait_dscnt 0x0
	v_cmp_lt_i64_e64 s6, v[3:4], v[1:2]
	s_or_b32 s6, s7, s6
	s_wait_alu 0xfffe
	s_and_b32 s6, s8, s6
	s_wait_alu 0xfffe
	s_xor_b32 s7, s6, -1
	s_wait_alu 0xfffe
	s_and_saveexec_b32 s8, s7
	s_wait_alu 0xfffe
	s_xor_b32 s7, exec_lo, s8
; %bb.39:                               ;   in Loop: Header=BB136_2 Depth=1
	ds_load_b64 v[5:6], v7 offset:8
                                        ; implicit-def: $vgpr11
; %bb.40:                               ;   in Loop: Header=BB136_2 Depth=1
	s_wait_alu 0xfffe
	s_or_saveexec_b32 s7, s7
	v_dual_mov_b32 v8, v4 :: v_dual_mov_b32 v7, v3
	s_wait_alu 0xfffe
	s_xor_b32 exec_lo, exec_lo, s7
	s_cbranch_execz .LBB136_42
; %bb.41:                               ;   in Loop: Header=BB136_2 Depth=1
	ds_load_b64 v[7:8], v11 offset:8
	s_wait_dscnt 0x1
	v_dual_mov_b32 v6, v2 :: v_dual_mov_b32 v5, v1
.LBB136_42:                             ;   in Loop: Header=BB136_2 Depth=1
	s_or_b32 exec_lo, exec_lo, s7
	v_add_nc_u32_e32 v11, 1, v10
	v_add_nc_u32_e32 v12, 1, v9
	s_wait_dscnt 0x0
	v_cmp_lt_i64_e64 s7, v[7:8], v[5:6]
	s_delay_alu instid0(VALU_DEP_3) | instskip(NEXT) | instid1(VALU_DEP_3)
	v_cndmask_b32_e64 v14, v11, v10, s6
	v_cndmask_b32_e64 v13, v9, v12, s6
                                        ; implicit-def: $vgpr9_vgpr10
	s_delay_alu instid0(VALU_DEP_2) | instskip(NEXT) | instid1(VALU_DEP_2)
	v_cmp_ge_i32_e64 s8, v14, v29
	v_cmp_lt_i32_e64 s9, v13, v30
	s_or_b32 s7, s8, s7
	s_wait_alu 0xfffe
	s_and_b32 s7, s9, s7
	s_wait_alu 0xfffe
	s_xor_b32 s8, s7, -1
	s_wait_alu 0xfffe
	s_and_saveexec_b32 s9, s8
	s_wait_alu 0xfffe
	s_xor_b32 s8, exec_lo, s9
; %bb.43:                               ;   in Loop: Header=BB136_2 Depth=1
	v_lshlrev_b32_e32 v9, 3, v14
	ds_load_b64 v[9:10], v9 offset:8
; %bb.44:                               ;   in Loop: Header=BB136_2 Depth=1
	s_wait_alu 0xfffe
	s_or_saveexec_b32 s8, s8
	v_dual_mov_b32 v12, v8 :: v_dual_mov_b32 v11, v7
	s_wait_alu 0xfffe
	s_xor_b32 exec_lo, exec_lo, s8
	s_cbranch_execz .LBB136_46
; %bb.45:                               ;   in Loop: Header=BB136_2 Depth=1
	s_wait_dscnt 0x0
	v_lshlrev_b32_e32 v9, 3, v13
	ds_load_b64 v[11:12], v9 offset:8
	v_dual_mov_b32 v10, v6 :: v_dual_mov_b32 v9, v5
.LBB136_46:                             ;   in Loop: Header=BB136_2 Depth=1
	s_or_b32 exec_lo, exec_lo, s8
	v_add_nc_u32_e32 v15, 1, v14
	v_add_nc_u32_e32 v16, 1, v13
	s_wait_dscnt 0x0
	v_cmp_lt_i64_e64 s8, v[11:12], v[9:10]
	s_delay_alu instid0(VALU_DEP_3) | instskip(NEXT) | instid1(VALU_DEP_3)
	v_cndmask_b32_e64 v71, v15, v14, s7
	v_cndmask_b32_e64 v70, v13, v16, s7
                                        ; implicit-def: $vgpr13_vgpr14
	s_delay_alu instid0(VALU_DEP_2) | instskip(NEXT) | instid1(VALU_DEP_2)
	v_cmp_ge_i32_e64 s9, v71, v29
	v_cmp_lt_i32_e64 s10, v70, v30
	s_or_b32 s8, s9, s8
	s_wait_alu 0xfffe
	s_and_b32 s8, s10, s8
	s_wait_alu 0xfffe
	s_xor_b32 s9, s8, -1
	s_wait_alu 0xfffe
	s_and_saveexec_b32 s10, s9
	s_delay_alu instid0(SALU_CYCLE_1)
	s_xor_b32 s9, exec_lo, s10
; %bb.47:                               ;   in Loop: Header=BB136_2 Depth=1
	v_lshlrev_b32_e32 v13, 3, v71
	ds_load_b64 v[13:14], v13 offset:8
; %bb.48:                               ;   in Loop: Header=BB136_2 Depth=1
	s_wait_alu 0xfffe
	s_or_saveexec_b32 s9, s9
	v_dual_mov_b32 v16, v12 :: v_dual_mov_b32 v15, v11
	s_wait_alu 0xfffe
	s_xor_b32 exec_lo, exec_lo, s9
	s_cbranch_execz .LBB136_50
; %bb.49:                               ;   in Loop: Header=BB136_2 Depth=1
	s_wait_dscnt 0x0
	v_lshlrev_b32_e32 v13, 3, v70
	ds_load_b64 v[15:16], v13 offset:8
	v_dual_mov_b32 v14, v10 :: v_dual_mov_b32 v13, v9
.LBB136_50:                             ;   in Loop: Header=BB136_2 Depth=1
	s_or_b32 exec_lo, exec_lo, s9
	v_add_nc_u32_e32 v72, 1, v71
	v_add_nc_u32_e32 v73, 1, v70
	v_cndmask_b32_e64 v9, v9, v11, s8
	v_cndmask_b32_e64 v7, v5, v7, s7
	v_mov_b32_e32 v5, v45
	v_cndmask_b32_e64 v11, v72, v71, s8
	v_cndmask_b32_e64 v8, v6, v8, s7
	;; [unrolled: 1-line block ×3, first 2 shown]
	s_wait_dscnt 0x0
	v_cmp_lt_i64_e64 s7, v[15:16], v[13:14]
	v_cndmask_b32_e64 v10, v10, v12, s8
	v_cmp_ge_i32_e64 s8, v11, v29
	v_cndmask_b32_e64 v2, v2, v4, s6
	v_cmp_lt_i32_e64 s9, v6, v30
	v_cndmask_b32_e64 v1, v1, v3, s6
	s_wait_loadcnt 0x0
	s_or_b32 s6, s8, s7
	s_barrier_signal -1
	s_wait_alu 0xfffe
	s_and_b32 s6, s9, s6
	s_barrier_wait -1
	s_wait_alu 0xfffe
	v_cndmask_b32_e64 v4, v14, v16, s6
	v_cndmask_b32_e64 v3, v13, v15, s6
	global_inv scope:SCOPE_SE
	ds_store_2addr_b64 v21, v[1:2], v[7:8] offset1:1
	ds_store_2addr_b64 v21, v[9:10], v[3:4] offset0:2 offset1:3
	s_wait_loadcnt_dscnt 0x0
	s_barrier_signal -1
	s_barrier_wait -1
	global_inv scope:SCOPE_SE
	s_and_saveexec_b32 s7, s2
	s_cbranch_execz .LBB136_54
; %bb.51:                               ;   in Loop: Header=BB136_2 Depth=1
	v_mov_b32_e32 v5, v45
	v_mov_b32_e32 v1, v47
	s_mov_b32 s8, 0
.LBB136_52:                             ;   Parent Loop BB136_2 Depth=1
                                        ; =>  This Inner Loop Header: Depth=2
	s_delay_alu instid0(VALU_DEP_1) | instskip(NEXT) | instid1(VALU_DEP_1)
	v_sub_nc_u32_e32 v2, v1, v5
	v_lshrrev_b32_e32 v2, 1, v2
	s_delay_alu instid0(VALU_DEP_1) | instskip(NEXT) | instid1(VALU_DEP_1)
	v_add_nc_u32_e32 v4, v2, v5
	v_not_b32_e32 v2, v4
	v_lshl_add_u32 v3, v4, 3, v48
	s_delay_alu instid0(VALU_DEP_2)
	v_lshl_add_u32 v6, v2, 3, v66
	ds_load_b64 v[2:3], v3
	ds_load_b64 v[6:7], v6
	s_wait_dscnt 0x0
	v_cmp_lt_i64_e64 s6, v[6:7], v[2:3]
	v_add_nc_u32_e32 v2, 1, v4
	s_wait_alu 0xf1ff
	s_delay_alu instid0(VALU_DEP_2) | instskip(NEXT) | instid1(VALU_DEP_2)
	v_cndmask_b32_e64 v1, v1, v4, s6
	v_cndmask_b32_e64 v5, v2, v5, s6
	s_delay_alu instid0(VALU_DEP_1)
	v_cmp_ge_i32_e64 s6, v5, v1
	s_wait_alu 0xfffe
	s_or_b32 s8, s6, s8
	s_wait_alu 0xfffe
	s_and_not1_b32 exec_lo, exec_lo, s8
	s_cbranch_execnz .LBB136_52
; %bb.53:                               ;   in Loop: Header=BB136_2 Depth=1
	s_or_b32 exec_lo, exec_lo, s8
.LBB136_54:                             ;   in Loop: Header=BB136_2 Depth=1
	s_wait_alu 0xfffe
	s_or_b32 exec_lo, exec_lo, s7
	v_sub_nc_u32_e32 v9, v53, v5
	v_lshl_add_u32 v7, v5, 3, v48
	v_add_nc_u32_e32 v10, v5, v34
                                        ; implicit-def: $vgpr5_vgpr6
	s_delay_alu instid0(VALU_DEP_3) | instskip(SKIP_1) | instid1(VALU_DEP_3)
	v_lshlrev_b32_e32 v11, 3, v9
	v_cmp_gt_i32_e64 s8, v37, v9
	v_cmp_le_i32_e64 s7, v36, v10
	ds_load_b64 v[1:2], v7
	ds_load_b64 v[3:4], v11
	s_wait_dscnt 0x0
	v_cmp_lt_i64_e64 s6, v[3:4], v[1:2]
	s_or_b32 s6, s7, s6
	s_wait_alu 0xfffe
	s_and_b32 s6, s8, s6
	s_wait_alu 0xfffe
	s_xor_b32 s7, s6, -1
	s_wait_alu 0xfffe
	s_and_saveexec_b32 s8, s7
	s_wait_alu 0xfffe
	s_xor_b32 s7, exec_lo, s8
; %bb.55:                               ;   in Loop: Header=BB136_2 Depth=1
	ds_load_b64 v[5:6], v7 offset:8
                                        ; implicit-def: $vgpr11
; %bb.56:                               ;   in Loop: Header=BB136_2 Depth=1
	s_wait_alu 0xfffe
	s_or_saveexec_b32 s7, s7
	v_dual_mov_b32 v8, v4 :: v_dual_mov_b32 v7, v3
	s_wait_alu 0xfffe
	s_xor_b32 exec_lo, exec_lo, s7
	s_cbranch_execz .LBB136_58
; %bb.57:                               ;   in Loop: Header=BB136_2 Depth=1
	ds_load_b64 v[7:8], v11 offset:8
	s_wait_dscnt 0x1
	v_dual_mov_b32 v6, v2 :: v_dual_mov_b32 v5, v1
.LBB136_58:                             ;   in Loop: Header=BB136_2 Depth=1
	s_or_b32 exec_lo, exec_lo, s7
	v_add_nc_u32_e32 v11, 1, v10
	v_add_nc_u32_e32 v12, 1, v9
	s_wait_dscnt 0x0
	v_cmp_lt_i64_e64 s7, v[7:8], v[5:6]
	s_delay_alu instid0(VALU_DEP_3) | instskip(NEXT) | instid1(VALU_DEP_3)
	v_cndmask_b32_e64 v14, v11, v10, s6
	v_cndmask_b32_e64 v13, v9, v12, s6
                                        ; implicit-def: $vgpr9_vgpr10
	s_delay_alu instid0(VALU_DEP_2) | instskip(NEXT) | instid1(VALU_DEP_2)
	v_cmp_ge_i32_e64 s8, v14, v36
	v_cmp_lt_i32_e64 s9, v13, v37
	s_or_b32 s7, s8, s7
	s_wait_alu 0xfffe
	s_and_b32 s7, s9, s7
	s_wait_alu 0xfffe
	s_xor_b32 s8, s7, -1
	s_wait_alu 0xfffe
	s_and_saveexec_b32 s9, s8
	s_wait_alu 0xfffe
	s_xor_b32 s8, exec_lo, s9
; %bb.59:                               ;   in Loop: Header=BB136_2 Depth=1
	v_lshlrev_b32_e32 v9, 3, v14
	ds_load_b64 v[9:10], v9 offset:8
; %bb.60:                               ;   in Loop: Header=BB136_2 Depth=1
	s_wait_alu 0xfffe
	s_or_saveexec_b32 s8, s8
	v_dual_mov_b32 v12, v8 :: v_dual_mov_b32 v11, v7
	s_wait_alu 0xfffe
	s_xor_b32 exec_lo, exec_lo, s8
	s_cbranch_execz .LBB136_62
; %bb.61:                               ;   in Loop: Header=BB136_2 Depth=1
	s_wait_dscnt 0x0
	v_lshlrev_b32_e32 v9, 3, v13
	ds_load_b64 v[11:12], v9 offset:8
	v_dual_mov_b32 v10, v6 :: v_dual_mov_b32 v9, v5
.LBB136_62:                             ;   in Loop: Header=BB136_2 Depth=1
	s_or_b32 exec_lo, exec_lo, s8
	v_add_nc_u32_e32 v15, 1, v14
	v_add_nc_u32_e32 v16, 1, v13
	s_wait_dscnt 0x0
	v_cmp_lt_i64_e64 s8, v[11:12], v[9:10]
	s_delay_alu instid0(VALU_DEP_3) | instskip(NEXT) | instid1(VALU_DEP_3)
	v_cndmask_b32_e64 v71, v15, v14, s7
	v_cndmask_b32_e64 v70, v13, v16, s7
                                        ; implicit-def: $vgpr13_vgpr14
	s_delay_alu instid0(VALU_DEP_2) | instskip(NEXT) | instid1(VALU_DEP_2)
	v_cmp_ge_i32_e64 s9, v71, v36
	v_cmp_lt_i32_e64 s10, v70, v37
	s_or_b32 s8, s9, s8
	s_wait_alu 0xfffe
	s_and_b32 s8, s10, s8
	s_wait_alu 0xfffe
	s_xor_b32 s9, s8, -1
	s_wait_alu 0xfffe
	s_and_saveexec_b32 s10, s9
	s_delay_alu instid0(SALU_CYCLE_1)
	s_xor_b32 s9, exec_lo, s10
; %bb.63:                               ;   in Loop: Header=BB136_2 Depth=1
	v_lshlrev_b32_e32 v13, 3, v71
	ds_load_b64 v[13:14], v13 offset:8
; %bb.64:                               ;   in Loop: Header=BB136_2 Depth=1
	s_wait_alu 0xfffe
	s_or_saveexec_b32 s9, s9
	v_dual_mov_b32 v16, v12 :: v_dual_mov_b32 v15, v11
	s_wait_alu 0xfffe
	s_xor_b32 exec_lo, exec_lo, s9
	s_cbranch_execz .LBB136_66
; %bb.65:                               ;   in Loop: Header=BB136_2 Depth=1
	s_wait_dscnt 0x0
	v_lshlrev_b32_e32 v13, 3, v70
	ds_load_b64 v[15:16], v13 offset:8
	v_dual_mov_b32 v14, v10 :: v_dual_mov_b32 v13, v9
.LBB136_66:                             ;   in Loop: Header=BB136_2 Depth=1
	s_or_b32 exec_lo, exec_lo, s9
	v_add_nc_u32_e32 v72, 1, v71
	v_add_nc_u32_e32 v73, 1, v70
	v_cndmask_b32_e64 v9, v9, v11, s8
	v_cndmask_b32_e64 v7, v5, v7, s7
	v_mov_b32_e32 v5, v51
	v_cndmask_b32_e64 v11, v72, v71, s8
	v_cndmask_b32_e64 v8, v6, v8, s7
	v_cndmask_b32_e64 v6, v70, v73, s8
	s_wait_dscnt 0x0
	v_cmp_lt_i64_e64 s7, v[15:16], v[13:14]
	v_cndmask_b32_e64 v10, v10, v12, s8
	v_cmp_ge_i32_e64 s8, v11, v36
	v_cndmask_b32_e64 v2, v2, v4, s6
	v_cmp_lt_i32_e64 s9, v6, v37
	v_cndmask_b32_e64 v1, v1, v3, s6
	s_wait_loadcnt 0x0
	s_or_b32 s6, s8, s7
	s_barrier_signal -1
	s_wait_alu 0xfffe
	s_and_b32 s6, s9, s6
	s_barrier_wait -1
	s_wait_alu 0xfffe
	v_cndmask_b32_e64 v4, v14, v16, s6
	v_cndmask_b32_e64 v3, v13, v15, s6
	global_inv scope:SCOPE_SE
	ds_store_2addr_b64 v21, v[1:2], v[7:8] offset1:1
	ds_store_2addr_b64 v21, v[9:10], v[3:4] offset0:2 offset1:3
	s_wait_loadcnt_dscnt 0x0
	s_barrier_signal -1
	s_barrier_wait -1
	global_inv scope:SCOPE_SE
	s_and_saveexec_b32 s7, s3
	s_cbranch_execz .LBB136_70
; %bb.67:                               ;   in Loop: Header=BB136_2 Depth=1
	v_mov_b32_e32 v5, v51
	v_mov_b32_e32 v1, v52
	s_mov_b32 s8, 0
.LBB136_68:                             ;   Parent Loop BB136_2 Depth=1
                                        ; =>  This Inner Loop Header: Depth=2
	s_delay_alu instid0(VALU_DEP_1) | instskip(NEXT) | instid1(VALU_DEP_1)
	v_sub_nc_u32_e32 v2, v1, v5
	v_lshrrev_b32_e32 v2, 1, v2
	s_delay_alu instid0(VALU_DEP_1) | instskip(NEXT) | instid1(VALU_DEP_1)
	v_add_nc_u32_e32 v4, v2, v5
	v_not_b32_e32 v2, v4
	v_lshl_add_u32 v3, v4, 3, v54
	s_delay_alu instid0(VALU_DEP_2)
	v_lshl_add_u32 v6, v2, 3, v67
	ds_load_b64 v[2:3], v3
	ds_load_b64 v[6:7], v6
	s_wait_dscnt 0x0
	v_cmp_lt_i64_e64 s6, v[6:7], v[2:3]
	v_add_nc_u32_e32 v2, 1, v4
	s_wait_alu 0xf1ff
	s_delay_alu instid0(VALU_DEP_2) | instskip(NEXT) | instid1(VALU_DEP_2)
	v_cndmask_b32_e64 v1, v1, v4, s6
	v_cndmask_b32_e64 v5, v2, v5, s6
	s_delay_alu instid0(VALU_DEP_1)
	v_cmp_ge_i32_e64 s6, v5, v1
	s_wait_alu 0xfffe
	s_or_b32 s8, s6, s8
	s_wait_alu 0xfffe
	s_and_not1_b32 exec_lo, exec_lo, s8
	s_cbranch_execnz .LBB136_68
; %bb.69:                               ;   in Loop: Header=BB136_2 Depth=1
	s_or_b32 exec_lo, exec_lo, s8
.LBB136_70:                             ;   in Loop: Header=BB136_2 Depth=1
	s_wait_alu 0xfffe
	s_or_b32 exec_lo, exec_lo, s7
	v_sub_nc_u32_e32 v9, v55, v5
	v_lshl_add_u32 v7, v5, 3, v54
	v_add_nc_u32_e32 v10, v5, v41
                                        ; implicit-def: $vgpr5_vgpr6
	s_delay_alu instid0(VALU_DEP_3) | instskip(SKIP_1) | instid1(VALU_DEP_3)
	v_lshlrev_b32_e32 v11, 3, v9
	v_cmp_gt_i32_e64 s8, v44, v9
	v_cmp_le_i32_e64 s7, v43, v10
	ds_load_b64 v[1:2], v7
	ds_load_b64 v[3:4], v11
	s_wait_dscnt 0x0
	v_cmp_lt_i64_e64 s6, v[3:4], v[1:2]
	s_or_b32 s6, s7, s6
	s_wait_alu 0xfffe
	s_and_b32 s6, s8, s6
	s_wait_alu 0xfffe
	s_xor_b32 s7, s6, -1
	s_wait_alu 0xfffe
	s_and_saveexec_b32 s8, s7
	s_wait_alu 0xfffe
	s_xor_b32 s7, exec_lo, s8
; %bb.71:                               ;   in Loop: Header=BB136_2 Depth=1
	ds_load_b64 v[5:6], v7 offset:8
                                        ; implicit-def: $vgpr11
; %bb.72:                               ;   in Loop: Header=BB136_2 Depth=1
	s_wait_alu 0xfffe
	s_or_saveexec_b32 s7, s7
	v_dual_mov_b32 v8, v4 :: v_dual_mov_b32 v7, v3
	s_wait_alu 0xfffe
	s_xor_b32 exec_lo, exec_lo, s7
	s_cbranch_execz .LBB136_74
; %bb.73:                               ;   in Loop: Header=BB136_2 Depth=1
	ds_load_b64 v[7:8], v11 offset:8
	s_wait_dscnt 0x1
	v_dual_mov_b32 v6, v2 :: v_dual_mov_b32 v5, v1
.LBB136_74:                             ;   in Loop: Header=BB136_2 Depth=1
	s_or_b32 exec_lo, exec_lo, s7
	v_add_nc_u32_e32 v11, 1, v10
	v_add_nc_u32_e32 v12, 1, v9
	s_wait_dscnt 0x0
	v_cmp_lt_i64_e64 s7, v[7:8], v[5:6]
	s_delay_alu instid0(VALU_DEP_3) | instskip(NEXT) | instid1(VALU_DEP_3)
	v_cndmask_b32_e64 v14, v11, v10, s6
	v_cndmask_b32_e64 v13, v9, v12, s6
                                        ; implicit-def: $vgpr9_vgpr10
	s_delay_alu instid0(VALU_DEP_2) | instskip(NEXT) | instid1(VALU_DEP_2)
	v_cmp_ge_i32_e64 s8, v14, v43
	v_cmp_lt_i32_e64 s9, v13, v44
	s_or_b32 s7, s8, s7
	s_wait_alu 0xfffe
	s_and_b32 s7, s9, s7
	s_wait_alu 0xfffe
	s_xor_b32 s8, s7, -1
	s_wait_alu 0xfffe
	s_and_saveexec_b32 s9, s8
	s_wait_alu 0xfffe
	s_xor_b32 s8, exec_lo, s9
; %bb.75:                               ;   in Loop: Header=BB136_2 Depth=1
	v_lshlrev_b32_e32 v9, 3, v14
	ds_load_b64 v[9:10], v9 offset:8
; %bb.76:                               ;   in Loop: Header=BB136_2 Depth=1
	s_wait_alu 0xfffe
	s_or_saveexec_b32 s8, s8
	v_dual_mov_b32 v12, v8 :: v_dual_mov_b32 v11, v7
	s_wait_alu 0xfffe
	s_xor_b32 exec_lo, exec_lo, s8
	s_cbranch_execz .LBB136_78
; %bb.77:                               ;   in Loop: Header=BB136_2 Depth=1
	s_wait_dscnt 0x0
	v_lshlrev_b32_e32 v9, 3, v13
	ds_load_b64 v[11:12], v9 offset:8
	v_dual_mov_b32 v10, v6 :: v_dual_mov_b32 v9, v5
.LBB136_78:                             ;   in Loop: Header=BB136_2 Depth=1
	s_or_b32 exec_lo, exec_lo, s8
	v_add_nc_u32_e32 v15, 1, v14
	v_add_nc_u32_e32 v16, 1, v13
	s_wait_dscnt 0x0
	v_cmp_lt_i64_e64 s8, v[11:12], v[9:10]
	s_delay_alu instid0(VALU_DEP_3) | instskip(NEXT) | instid1(VALU_DEP_3)
	v_cndmask_b32_e64 v71, v15, v14, s7
	v_cndmask_b32_e64 v70, v13, v16, s7
                                        ; implicit-def: $vgpr13_vgpr14
	s_delay_alu instid0(VALU_DEP_2) | instskip(NEXT) | instid1(VALU_DEP_2)
	v_cmp_ge_i32_e64 s9, v71, v43
	v_cmp_lt_i32_e64 s10, v70, v44
	s_or_b32 s8, s9, s8
	s_wait_alu 0xfffe
	s_and_b32 s8, s10, s8
	s_wait_alu 0xfffe
	s_xor_b32 s9, s8, -1
	s_wait_alu 0xfffe
	s_and_saveexec_b32 s10, s9
	s_delay_alu instid0(SALU_CYCLE_1)
	s_xor_b32 s9, exec_lo, s10
; %bb.79:                               ;   in Loop: Header=BB136_2 Depth=1
	v_lshlrev_b32_e32 v13, 3, v71
	ds_load_b64 v[13:14], v13 offset:8
; %bb.80:                               ;   in Loop: Header=BB136_2 Depth=1
	s_wait_alu 0xfffe
	s_or_saveexec_b32 s9, s9
	v_dual_mov_b32 v16, v12 :: v_dual_mov_b32 v15, v11
	s_wait_alu 0xfffe
	s_xor_b32 exec_lo, exec_lo, s9
	s_cbranch_execz .LBB136_82
; %bb.81:                               ;   in Loop: Header=BB136_2 Depth=1
	s_wait_dscnt 0x0
	v_lshlrev_b32_e32 v13, 3, v70
	ds_load_b64 v[15:16], v13 offset:8
	v_dual_mov_b32 v14, v10 :: v_dual_mov_b32 v13, v9
.LBB136_82:                             ;   in Loop: Header=BB136_2 Depth=1
	s_or_b32 exec_lo, exec_lo, s9
	v_add_nc_u32_e32 v72, 1, v71
	v_add_nc_u32_e32 v73, 1, v70
	v_cndmask_b32_e64 v9, v9, v11, s8
	v_cndmask_b32_e64 v7, v5, v7, s7
	v_mov_b32_e32 v5, v56
	v_cndmask_b32_e64 v11, v72, v71, s8
	v_cndmask_b32_e64 v8, v6, v8, s7
	;; [unrolled: 1-line block ×3, first 2 shown]
	s_wait_dscnt 0x0
	v_cmp_lt_i64_e64 s7, v[15:16], v[13:14]
	v_cndmask_b32_e64 v10, v10, v12, s8
	v_cmp_ge_i32_e64 s8, v11, v43
	v_cndmask_b32_e64 v2, v2, v4, s6
	v_cmp_lt_i32_e64 s9, v6, v44
	v_cndmask_b32_e64 v1, v1, v3, s6
	s_wait_loadcnt 0x0
	s_or_b32 s6, s8, s7
	s_barrier_signal -1
	s_wait_alu 0xfffe
	s_and_b32 s6, s9, s6
	s_barrier_wait -1
	s_wait_alu 0xfffe
	v_cndmask_b32_e64 v4, v14, v16, s6
	v_cndmask_b32_e64 v3, v13, v15, s6
	global_inv scope:SCOPE_SE
	ds_store_2addr_b64 v21, v[1:2], v[7:8] offset1:1
	ds_store_2addr_b64 v21, v[9:10], v[3:4] offset0:2 offset1:3
	s_wait_loadcnt_dscnt 0x0
	s_barrier_signal -1
	s_barrier_wait -1
	global_inv scope:SCOPE_SE
	s_and_saveexec_b32 s7, s4
	s_cbranch_execz .LBB136_86
; %bb.83:                               ;   in Loop: Header=BB136_2 Depth=1
	v_mov_b32_e32 v5, v56
	v_mov_b32_e32 v1, v57
	s_mov_b32 s8, 0
.LBB136_84:                             ;   Parent Loop BB136_2 Depth=1
                                        ; =>  This Inner Loop Header: Depth=2
	s_delay_alu instid0(VALU_DEP_1) | instskip(NEXT) | instid1(VALU_DEP_1)
	v_sub_nc_u32_e32 v2, v1, v5
	v_lshrrev_b32_e32 v2, 1, v2
	s_delay_alu instid0(VALU_DEP_1) | instskip(NEXT) | instid1(VALU_DEP_1)
	v_add_nc_u32_e32 v4, v2, v5
	v_not_b32_e32 v2, v4
	v_lshl_add_u32 v3, v4, 3, v60
	s_delay_alu instid0(VALU_DEP_2)
	v_lshl_add_u32 v6, v2, 3, v68
	ds_load_b64 v[2:3], v3
	ds_load_b64 v[6:7], v6
	s_wait_dscnt 0x0
	v_cmp_lt_i64_e64 s6, v[6:7], v[2:3]
	v_add_nc_u32_e32 v2, 1, v4
	s_wait_alu 0xf1ff
	s_delay_alu instid0(VALU_DEP_2) | instskip(NEXT) | instid1(VALU_DEP_2)
	v_cndmask_b32_e64 v1, v1, v4, s6
	v_cndmask_b32_e64 v5, v2, v5, s6
	s_delay_alu instid0(VALU_DEP_1)
	v_cmp_ge_i32_e64 s6, v5, v1
	s_wait_alu 0xfffe
	s_or_b32 s8, s6, s8
	s_wait_alu 0xfffe
	s_and_not1_b32 exec_lo, exec_lo, s8
	s_cbranch_execnz .LBB136_84
; %bb.85:                               ;   in Loop: Header=BB136_2 Depth=1
	s_or_b32 exec_lo, exec_lo, s8
.LBB136_86:                             ;   in Loop: Header=BB136_2 Depth=1
	s_wait_alu 0xfffe
	s_or_b32 exec_lo, exec_lo, s7
	v_sub_nc_u32_e32 v9, v61, v5
	v_lshl_add_u32 v7, v5, 3, v60
	v_add_nc_u32_e32 v10, v5, v46
                                        ; implicit-def: $vgpr5_vgpr6
	s_delay_alu instid0(VALU_DEP_3) | instskip(SKIP_1) | instid1(VALU_DEP_3)
	v_lshlrev_b32_e32 v11, 3, v9
	v_cmp_gt_i32_e64 s8, v50, v9
	v_cmp_le_i32_e64 s7, v49, v10
	ds_load_b64 v[1:2], v7
	ds_load_b64 v[3:4], v11
	s_wait_dscnt 0x0
	v_cmp_lt_i64_e64 s6, v[3:4], v[1:2]
	s_or_b32 s6, s7, s6
	s_wait_alu 0xfffe
	s_and_b32 s6, s8, s6
	s_wait_alu 0xfffe
	s_xor_b32 s7, s6, -1
	s_wait_alu 0xfffe
	s_and_saveexec_b32 s8, s7
	s_wait_alu 0xfffe
	s_xor_b32 s7, exec_lo, s8
; %bb.87:                               ;   in Loop: Header=BB136_2 Depth=1
	ds_load_b64 v[5:6], v7 offset:8
                                        ; implicit-def: $vgpr11
; %bb.88:                               ;   in Loop: Header=BB136_2 Depth=1
	s_wait_alu 0xfffe
	s_or_saveexec_b32 s7, s7
	v_dual_mov_b32 v8, v4 :: v_dual_mov_b32 v7, v3
	s_wait_alu 0xfffe
	s_xor_b32 exec_lo, exec_lo, s7
	s_cbranch_execz .LBB136_90
; %bb.89:                               ;   in Loop: Header=BB136_2 Depth=1
	ds_load_b64 v[7:8], v11 offset:8
	s_wait_dscnt 0x1
	v_dual_mov_b32 v6, v2 :: v_dual_mov_b32 v5, v1
.LBB136_90:                             ;   in Loop: Header=BB136_2 Depth=1
	s_or_b32 exec_lo, exec_lo, s7
	v_add_nc_u32_e32 v11, 1, v10
	v_add_nc_u32_e32 v12, 1, v9
	s_wait_dscnt 0x0
	v_cmp_lt_i64_e64 s7, v[7:8], v[5:6]
	s_delay_alu instid0(VALU_DEP_3) | instskip(NEXT) | instid1(VALU_DEP_3)
	v_cndmask_b32_e64 v14, v11, v10, s6
	v_cndmask_b32_e64 v13, v9, v12, s6
                                        ; implicit-def: $vgpr9_vgpr10
	s_delay_alu instid0(VALU_DEP_2) | instskip(NEXT) | instid1(VALU_DEP_2)
	v_cmp_ge_i32_e64 s8, v14, v49
	v_cmp_lt_i32_e64 s9, v13, v50
	s_or_b32 s7, s8, s7
	s_wait_alu 0xfffe
	s_and_b32 s7, s9, s7
	s_wait_alu 0xfffe
	s_xor_b32 s8, s7, -1
	s_wait_alu 0xfffe
	s_and_saveexec_b32 s9, s8
	s_wait_alu 0xfffe
	s_xor_b32 s8, exec_lo, s9
; %bb.91:                               ;   in Loop: Header=BB136_2 Depth=1
	v_lshlrev_b32_e32 v9, 3, v14
	ds_load_b64 v[9:10], v9 offset:8
; %bb.92:                               ;   in Loop: Header=BB136_2 Depth=1
	s_wait_alu 0xfffe
	s_or_saveexec_b32 s8, s8
	v_dual_mov_b32 v12, v8 :: v_dual_mov_b32 v11, v7
	s_wait_alu 0xfffe
	s_xor_b32 exec_lo, exec_lo, s8
	s_cbranch_execz .LBB136_94
; %bb.93:                               ;   in Loop: Header=BB136_2 Depth=1
	s_wait_dscnt 0x0
	v_lshlrev_b32_e32 v9, 3, v13
	ds_load_b64 v[11:12], v9 offset:8
	v_dual_mov_b32 v10, v6 :: v_dual_mov_b32 v9, v5
.LBB136_94:                             ;   in Loop: Header=BB136_2 Depth=1
	s_or_b32 exec_lo, exec_lo, s8
	v_add_nc_u32_e32 v15, 1, v14
	v_add_nc_u32_e32 v16, 1, v13
	s_wait_dscnt 0x0
	v_cmp_lt_i64_e64 s8, v[11:12], v[9:10]
	s_delay_alu instid0(VALU_DEP_3) | instskip(NEXT) | instid1(VALU_DEP_3)
	v_cndmask_b32_e64 v71, v15, v14, s7
	v_cndmask_b32_e64 v70, v13, v16, s7
                                        ; implicit-def: $vgpr13_vgpr14
	s_delay_alu instid0(VALU_DEP_2) | instskip(NEXT) | instid1(VALU_DEP_2)
	v_cmp_ge_i32_e64 s9, v71, v49
	v_cmp_lt_i32_e64 s10, v70, v50
	s_or_b32 s8, s9, s8
	s_wait_alu 0xfffe
	s_and_b32 s8, s10, s8
	s_wait_alu 0xfffe
	s_xor_b32 s9, s8, -1
	s_wait_alu 0xfffe
	s_and_saveexec_b32 s10, s9
	s_delay_alu instid0(SALU_CYCLE_1)
	s_xor_b32 s9, exec_lo, s10
; %bb.95:                               ;   in Loop: Header=BB136_2 Depth=1
	v_lshlrev_b32_e32 v13, 3, v71
	ds_load_b64 v[13:14], v13 offset:8
; %bb.96:                               ;   in Loop: Header=BB136_2 Depth=1
	s_wait_alu 0xfffe
	s_or_saveexec_b32 s9, s9
	v_dual_mov_b32 v16, v12 :: v_dual_mov_b32 v15, v11
	s_wait_alu 0xfffe
	s_xor_b32 exec_lo, exec_lo, s9
	s_cbranch_execz .LBB136_98
; %bb.97:                               ;   in Loop: Header=BB136_2 Depth=1
	s_wait_dscnt 0x0
	v_lshlrev_b32_e32 v13, 3, v70
	ds_load_b64 v[15:16], v13 offset:8
	v_dual_mov_b32 v14, v10 :: v_dual_mov_b32 v13, v9
.LBB136_98:                             ;   in Loop: Header=BB136_2 Depth=1
	s_or_b32 exec_lo, exec_lo, s9
	v_add_nc_u32_e32 v72, 1, v71
	v_add_nc_u32_e32 v73, 1, v70
	v_cndmask_b32_e64 v11, v9, v11, s8
	v_cndmask_b32_e64 v6, v6, v8, s7
	;; [unrolled: 1-line block ×5, first 2 shown]
	s_wait_dscnt 0x0
	v_cmp_lt_i64_e64 s7, v[15:16], v[13:14]
	v_cndmask_b32_e64 v12, v10, v12, s8
	v_cndmask_b32_e64 v2, v2, v4, s6
	v_cmp_ge_i32_e64 s8, v9, v49
	v_cmp_lt_i32_e64 s9, v8, v50
	v_cndmask_b32_e64 v1, v1, v3, s6
	v_mov_b32_e32 v9, v58
	s_wait_loadcnt 0x0
	s_or_b32 s6, s8, s7
	s_barrier_signal -1
	s_wait_alu 0xfffe
	s_and_b32 s6, s9, s6
	s_barrier_wait -1
	s_wait_alu 0xfffe
	v_cndmask_b32_e64 v4, v14, v16, s6
	v_cndmask_b32_e64 v3, v13, v15, s6
	global_inv scope:SCOPE_SE
	ds_store_2addr_b64 v21, v[1:2], v[5:6] offset1:1
	ds_store_2addr_b64 v21, v[11:12], v[3:4] offset0:2 offset1:3
	s_wait_loadcnt_dscnt 0x0
	s_barrier_signal -1
	s_barrier_wait -1
	global_inv scope:SCOPE_SE
	s_and_saveexec_b32 s7, s5
	s_cbranch_execz .LBB136_102
; %bb.99:                               ;   in Loop: Header=BB136_2 Depth=1
	v_mov_b32_e32 v9, v58
	v_mov_b32_e32 v1, v59
	s_mov_b32 s8, 0
.LBB136_100:                            ;   Parent Loop BB136_2 Depth=1
                                        ; =>  This Inner Loop Header: Depth=2
	s_delay_alu instid0(VALU_DEP_1) | instskip(NEXT) | instid1(VALU_DEP_1)
	v_sub_nc_u32_e32 v2, v1, v9
	v_lshrrev_b32_e32 v2, 1, v2
	s_delay_alu instid0(VALU_DEP_1) | instskip(NEXT) | instid1(VALU_DEP_1)
	v_add_nc_u32_e32 v6, v2, v9
	v_not_b32_e32 v2, v6
	v_lshlrev_b32_e32 v3, 3, v6
	s_delay_alu instid0(VALU_DEP_2)
	v_lshl_add_u32 v4, v2, 3, v69
	ds_load_b64 v[2:3], v3
	ds_load_b64 v[4:5], v4
	s_wait_dscnt 0x0
	v_cmp_lt_i64_e64 s6, v[4:5], v[2:3]
	v_add_nc_u32_e32 v2, 1, v6
	s_wait_alu 0xf1ff
	s_delay_alu instid0(VALU_DEP_2) | instskip(NEXT) | instid1(VALU_DEP_2)
	v_cndmask_b32_e64 v1, v1, v6, s6
	v_cndmask_b32_e64 v9, v2, v9, s6
	s_delay_alu instid0(VALU_DEP_1)
	v_cmp_ge_i32_e64 s6, v9, v1
	s_wait_alu 0xfffe
	s_or_b32 s8, s6, s8
	s_wait_alu 0xfffe
	s_and_not1_b32 exec_lo, exec_lo, s8
	s_cbranch_execnz .LBB136_100
; %bb.101:                              ;   in Loop: Header=BB136_2 Depth=1
	s_or_b32 exec_lo, exec_lo, s8
.LBB136_102:                            ;   in Loop: Header=BB136_2 Depth=1
	s_wait_alu 0xfffe
	s_or_b32 exec_lo, exec_lo, s7
	v_sub_nc_u32_e32 v10, v62, v9
	v_lshlrev_b32_e32 v7, 3, v9
	v_cmp_le_i32_e64 s7, 0x100, v9
                                        ; implicit-def: $vgpr3_vgpr4
	s_delay_alu instid0(VALU_DEP_3)
	v_lshlrev_b32_e32 v11, 3, v10
	v_cmp_gt_i32_e64 s8, 0x200, v10
	ds_load_b64 v[1:2], v7
	ds_load_b64 v[5:6], v11
	s_wait_dscnt 0x0
	v_cmp_lt_i64_e64 s6, v[5:6], v[1:2]
	s_or_b32 s6, s7, s6
	s_wait_alu 0xfffe
	s_and_b32 s6, s8, s6
	s_wait_alu 0xfffe
	s_xor_b32 s7, s6, -1
	s_wait_alu 0xfffe
	s_and_saveexec_b32 s8, s7
	s_wait_alu 0xfffe
	s_xor_b32 s7, exec_lo, s8
; %bb.103:                              ;   in Loop: Header=BB136_2 Depth=1
	ds_load_b64 v[3:4], v7 offset:8
                                        ; implicit-def: $vgpr11
; %bb.104:                              ;   in Loop: Header=BB136_2 Depth=1
	s_wait_alu 0xfffe
	s_or_saveexec_b32 s7, s7
	v_dual_mov_b32 v8, v6 :: v_dual_mov_b32 v7, v5
	s_wait_alu 0xfffe
	s_xor_b32 exec_lo, exec_lo, s7
	s_cbranch_execz .LBB136_106
; %bb.105:                              ;   in Loop: Header=BB136_2 Depth=1
	ds_load_b64 v[7:8], v11 offset:8
	s_wait_dscnt 0x1
	v_dual_mov_b32 v4, v2 :: v_dual_mov_b32 v3, v1
.LBB136_106:                            ;   in Loop: Header=BB136_2 Depth=1
	s_or_b32 exec_lo, exec_lo, s7
	v_add_nc_u32_e32 v11, 1, v9
	v_add_nc_u32_e32 v12, 1, v10
	s_wait_dscnt 0x0
	v_cmp_lt_i64_e64 s7, v[7:8], v[3:4]
	s_delay_alu instid0(VALU_DEP_3) | instskip(NEXT) | instid1(VALU_DEP_3)
	v_cndmask_b32_e64 v14, v11, v9, s6
	v_cndmask_b32_e64 v13, v10, v12, s6
                                        ; implicit-def: $vgpr9_vgpr10
	s_delay_alu instid0(VALU_DEP_2) | instskip(NEXT) | instid1(VALU_DEP_2)
	v_cmp_le_i32_e64 s8, 0x100, v14
	v_cmp_gt_i32_e64 s9, 0x200, v13
	s_or_b32 s7, s8, s7
	s_wait_alu 0xfffe
	s_and_b32 s7, s9, s7
	s_wait_alu 0xfffe
	s_xor_b32 s8, s7, -1
	s_wait_alu 0xfffe
	s_and_saveexec_b32 s9, s8
	s_wait_alu 0xfffe
	s_xor_b32 s8, exec_lo, s9
; %bb.107:                              ;   in Loop: Header=BB136_2 Depth=1
	v_lshlrev_b32_e32 v9, 3, v14
	ds_load_b64 v[9:10], v9 offset:8
; %bb.108:                              ;   in Loop: Header=BB136_2 Depth=1
	s_wait_alu 0xfffe
	s_or_saveexec_b32 s8, s8
	v_dual_mov_b32 v12, v8 :: v_dual_mov_b32 v11, v7
	s_wait_alu 0xfffe
	s_xor_b32 exec_lo, exec_lo, s8
	s_cbranch_execz .LBB136_110
; %bb.109:                              ;   in Loop: Header=BB136_2 Depth=1
	s_wait_dscnt 0x0
	v_lshlrev_b32_e32 v9, 3, v13
	ds_load_b64 v[11:12], v9 offset:8
	v_dual_mov_b32 v10, v4 :: v_dual_mov_b32 v9, v3
.LBB136_110:                            ;   in Loop: Header=BB136_2 Depth=1
	s_or_b32 exec_lo, exec_lo, s8
	v_add_nc_u32_e32 v15, 1, v14
	v_add_nc_u32_e32 v16, 1, v13
	s_wait_dscnt 0x0
	v_cmp_lt_i64_e64 s8, v[11:12], v[9:10]
                                        ; implicit-def: $vgpr71
	s_delay_alu instid0(VALU_DEP_3) | instskip(NEXT) | instid1(VALU_DEP_3)
	v_cndmask_b32_e64 v72, v15, v14, s7
	v_cndmask_b32_e64 v70, v13, v16, s7
                                        ; implicit-def: $vgpr13_vgpr14
	s_delay_alu instid0(VALU_DEP_2) | instskip(NEXT) | instid1(VALU_DEP_2)
	v_cmp_le_i32_e64 s9, 0x100, v72
	v_cmp_gt_i32_e64 s10, 0x200, v70
	s_or_b32 s8, s9, s8
	s_wait_alu 0xfffe
	s_and_b32 s8, s10, s8
	s_wait_alu 0xfffe
	s_xor_b32 s9, s8, -1
	s_wait_alu 0xfffe
	s_and_saveexec_b32 s10, s9
	s_delay_alu instid0(SALU_CYCLE_1)
	s_xor_b32 s9, exec_lo, s10
; %bb.111:                              ;   in Loop: Header=BB136_2 Depth=1
	v_lshlrev_b32_e32 v13, 3, v72
	v_add_nc_u32_e32 v71, 1, v72
                                        ; implicit-def: $vgpr72
	ds_load_b64 v[13:14], v13 offset:8
; %bb.112:                              ;   in Loop: Header=BB136_2 Depth=1
	s_wait_alu 0xfffe
	s_or_saveexec_b32 s9, s9
	v_dual_mov_b32 v16, v12 :: v_dual_mov_b32 v15, v11
	s_wait_alu 0xfffe
	s_xor_b32 exec_lo, exec_lo, s9
	s_cbranch_execz .LBB136_1
; %bb.113:                              ;   in Loop: Header=BB136_2 Depth=1
	s_wait_dscnt 0x0
	v_lshlrev_b32_e32 v13, 3, v70
	v_dual_mov_b32 v71, v72 :: v_dual_add_nc_u32 v70, 1, v70
	ds_load_b64 v[15:16], v13 offset:8
	v_dual_mov_b32 v14, v10 :: v_dual_mov_b32 v13, v9
	s_branch .LBB136_1
.LBB136_114:
	v_lshlrev_b32_e32 v0, 3, v0
	s_add_nc_u64 s[0:1], s[14:15], s[16:17]
	s_clause 0x3
	global_store_b64 v0, v[1:2], s[0:1]
	global_store_b64 v0, v[7:8], s[0:1] offset:1024
	global_store_b64 v0, v[3:4], s[0:1] offset:2048
	;; [unrolled: 1-line block ×3, first 2 shown]
	s_endpgm
	.section	.rodata,"a",@progbits
	.p2align	6, 0x0
	.amdhsa_kernel _Z16sort_keys_kernelIxLj128ELj4EN10test_utils4lessELj10EEvPKT_PS2_T2_
		.amdhsa_group_segment_fixed_size 4104
		.amdhsa_private_segment_fixed_size 0
		.amdhsa_kernarg_size 20
		.amdhsa_user_sgpr_count 2
		.amdhsa_user_sgpr_dispatch_ptr 0
		.amdhsa_user_sgpr_queue_ptr 0
		.amdhsa_user_sgpr_kernarg_segment_ptr 1
		.amdhsa_user_sgpr_dispatch_id 0
		.amdhsa_user_sgpr_private_segment_size 0
		.amdhsa_wavefront_size32 1
		.amdhsa_uses_dynamic_stack 0
		.amdhsa_enable_private_segment 0
		.amdhsa_system_sgpr_workgroup_id_x 1
		.amdhsa_system_sgpr_workgroup_id_y 0
		.amdhsa_system_sgpr_workgroup_id_z 0
		.amdhsa_system_sgpr_workgroup_info 0
		.amdhsa_system_vgpr_workitem_id 0
		.amdhsa_next_free_vgpr 75
		.amdhsa_next_free_sgpr 18
		.amdhsa_reserve_vcc 1
		.amdhsa_float_round_mode_32 0
		.amdhsa_float_round_mode_16_64 0
		.amdhsa_float_denorm_mode_32 3
		.amdhsa_float_denorm_mode_16_64 3
		.amdhsa_fp16_overflow 0
		.amdhsa_workgroup_processor_mode 1
		.amdhsa_memory_ordered 1
		.amdhsa_forward_progress 1
		.amdhsa_inst_pref_size 56
		.amdhsa_round_robin_scheduling 0
		.amdhsa_exception_fp_ieee_invalid_op 0
		.amdhsa_exception_fp_denorm_src 0
		.amdhsa_exception_fp_ieee_div_zero 0
		.amdhsa_exception_fp_ieee_overflow 0
		.amdhsa_exception_fp_ieee_underflow 0
		.amdhsa_exception_fp_ieee_inexact 0
		.amdhsa_exception_int_div_zero 0
	.end_amdhsa_kernel
	.section	.text._Z16sort_keys_kernelIxLj128ELj4EN10test_utils4lessELj10EEvPKT_PS2_T2_,"axG",@progbits,_Z16sort_keys_kernelIxLj128ELj4EN10test_utils4lessELj10EEvPKT_PS2_T2_,comdat
.Lfunc_end136:
	.size	_Z16sort_keys_kernelIxLj128ELj4EN10test_utils4lessELj10EEvPKT_PS2_T2_, .Lfunc_end136-_Z16sort_keys_kernelIxLj128ELj4EN10test_utils4lessELj10EEvPKT_PS2_T2_
                                        ; -- End function
	.set _Z16sort_keys_kernelIxLj128ELj4EN10test_utils4lessELj10EEvPKT_PS2_T2_.num_vgpr, 75
	.set _Z16sort_keys_kernelIxLj128ELj4EN10test_utils4lessELj10EEvPKT_PS2_T2_.num_agpr, 0
	.set _Z16sort_keys_kernelIxLj128ELj4EN10test_utils4lessELj10EEvPKT_PS2_T2_.numbered_sgpr, 18
	.set _Z16sort_keys_kernelIxLj128ELj4EN10test_utils4lessELj10EEvPKT_PS2_T2_.num_named_barrier, 0
	.set _Z16sort_keys_kernelIxLj128ELj4EN10test_utils4lessELj10EEvPKT_PS2_T2_.private_seg_size, 0
	.set _Z16sort_keys_kernelIxLj128ELj4EN10test_utils4lessELj10EEvPKT_PS2_T2_.uses_vcc, 1
	.set _Z16sort_keys_kernelIxLj128ELj4EN10test_utils4lessELj10EEvPKT_PS2_T2_.uses_flat_scratch, 0
	.set _Z16sort_keys_kernelIxLj128ELj4EN10test_utils4lessELj10EEvPKT_PS2_T2_.has_dyn_sized_stack, 0
	.set _Z16sort_keys_kernelIxLj128ELj4EN10test_utils4lessELj10EEvPKT_PS2_T2_.has_recursion, 0
	.set _Z16sort_keys_kernelIxLj128ELj4EN10test_utils4lessELj10EEvPKT_PS2_T2_.has_indirect_call, 0
	.section	.AMDGPU.csdata,"",@progbits
; Kernel info:
; codeLenInByte = 7104
; TotalNumSgprs: 20
; NumVgprs: 75
; ScratchSize: 0
; MemoryBound: 0
; FloatMode: 240
; IeeeMode: 1
; LDSByteSize: 4104 bytes/workgroup (compile time only)
; SGPRBlocks: 0
; VGPRBlocks: 9
; NumSGPRsForWavesPerEU: 20
; NumVGPRsForWavesPerEU: 75
; Occupancy: 16
; WaveLimiterHint : 1
; COMPUTE_PGM_RSRC2:SCRATCH_EN: 0
; COMPUTE_PGM_RSRC2:USER_SGPR: 2
; COMPUTE_PGM_RSRC2:TRAP_HANDLER: 0
; COMPUTE_PGM_RSRC2:TGID_X_EN: 1
; COMPUTE_PGM_RSRC2:TGID_Y_EN: 0
; COMPUTE_PGM_RSRC2:TGID_Z_EN: 0
; COMPUTE_PGM_RSRC2:TIDIG_COMP_CNT: 0
	.section	.text._Z17sort_pairs_kernelIxLj128ELj4EN10test_utils4lessELj10EEvPKT_PS2_T2_,"axG",@progbits,_Z17sort_pairs_kernelIxLj128ELj4EN10test_utils4lessELj10EEvPKT_PS2_T2_,comdat
	.protected	_Z17sort_pairs_kernelIxLj128ELj4EN10test_utils4lessELj10EEvPKT_PS2_T2_ ; -- Begin function _Z17sort_pairs_kernelIxLj128ELj4EN10test_utils4lessELj10EEvPKT_PS2_T2_
	.globl	_Z17sort_pairs_kernelIxLj128ELj4EN10test_utils4lessELj10EEvPKT_PS2_T2_
	.p2align	8
	.type	_Z17sort_pairs_kernelIxLj128ELj4EN10test_utils4lessELj10EEvPKT_PS2_T2_,@function
_Z17sort_pairs_kernelIxLj128ELj4EN10test_utils4lessELj10EEvPKT_PS2_T2_: ; @_Z17sort_pairs_kernelIxLj128ELj4EN10test_utils4lessELj10EEvPKT_PS2_T2_
; %bb.0:
	s_load_b128 s[16:19], s[0:1], 0x0
	s_lshl_b32 s22, ttmp9, 9
	s_mov_b32 s23, 0
	v_lshlrev_b32_e32 v1, 3, v0
	s_lshl_b64 s[20:21], s[22:23], 3
	v_lshlrev_b32_e32 v27, 5, v0
	s_delay_alu instid0(VALU_DEP_1)
	v_add_nc_u32_e32 v79, 0x800, v27
	s_wait_kmcnt 0x0
	s_add_nc_u64 s[0:1], s[16:17], s[20:21]
	s_clause 0x3
	global_load_b64 v[15:16], v1, s[0:1]
	global_load_b64 v[13:14], v1, s[0:1] offset:1024
	global_load_b64 v[11:12], v1, s[0:1] offset:2048
	;; [unrolled: 1-line block ×3, first 2 shown]
	v_lshlrev_b32_e32 v1, 2, v0
	s_delay_alu instid0(VALU_DEP_1)
	v_and_b32_e32 v28, 0x1f8, v1
	v_and_b32_e32 v2, 4, v1
	;; [unrolled: 1-line block ×5, first 2 shown]
	v_or_b32_e32 v37, 4, v28
	v_add_nc_u32_e32 v38, 8, v28
	v_and_b32_e32 v4, 28, v1
	v_and_b32_e32 v31, 0x1c0, v1
	v_and_b32_e32 v5, 60, v1
	v_and_b32_e32 v32, 0x180, v1
	v_and_b32_e32 v6, 0x7c, v1
	v_and_b32_e32 v33, 0x100, v1
	v_and_b32_e32 v7, 0xfc, v1
	v_subrev_nc_u32_e64 v34, 0x100, v1 clamp
	v_min_i32_e32 v35, 0x100, v1
	v_add_nc_u32_e32 v36, 0x100, v1
	v_or_b32_e32 v40, 8, v29
	v_add_nc_u32_e32 v41, 16, v29
	v_lshlrev_b32_e32 v1, 3, v2
	v_sub_nc_u32_e32 v22, v38, v37
	v_or_b32_e32 v43, 16, v30
	v_add_nc_u32_e32 v44, 32, v30
	v_lshlrev_b32_e32 v8, 3, v3
	v_sub_nc_u32_e32 v24, v41, v40
	v_lshl_add_u32 v61, v37, 3, v1
	v_sub_nc_u32_e32 v1, v2, v22
	v_cmp_ge_i32_e64 s0, v2, v22
	v_or_b32_e32 v46, 32, v31
	v_add_nc_u32_e32 v47, 64, v31
	v_lshlrev_b32_e32 v17, 3, v4
	v_sub_nc_u32_e32 v26, v44, v43
	v_lshl_add_u32 v62, v40, 3, v8
	v_sub_nc_u32_e32 v8, v3, v24
	v_cndmask_b32_e64 v73, 0, v1, s0
	v_cmp_ge_i32_e64 s0, v3, v24
	v_or_b32_e32 v49, 64, v32
	v_add_nc_u32_e32 v50, 0x80, v32
	v_lshlrev_b32_e32 v18, 3, v5
	v_sub_nc_u32_e32 v76, v47, v46
	v_lshl_add_u32 v63, v43, 3, v17
	v_sub_nc_u32_e32 v17, v4, v26
	s_wait_alu 0xf1ff
	v_cndmask_b32_e64 v74, 0, v8, s0
	v_cmp_ge_i32_e64 s0, v4, v26
	v_or_b32_e32 v52, 0x80, v33
	v_add_nc_u32_e32 v53, 0x100, v33
	v_lshlrev_b32_e32 v19, 3, v6
	v_sub_nc_u32_e32 v77, v50, v49
	v_lshl_add_u32 v64, v46, 3, v18
	v_sub_nc_u32_e32 v18, v5, v76
	s_wait_alu 0xf1ff
	v_cndmask_b32_e64 v75, 0, v17, s0
	v_cmp_ge_i32_e64 s0, v5, v76
	v_lshlrev_b32_e32 v20, 3, v7
	v_sub_nc_u32_e32 v78, v53, v52
	v_lshl_add_u32 v65, v49, 3, v19
	v_sub_nc_u32_e32 v19, v6, v77
	s_wait_alu 0xf1ff
	v_cndmask_b32_e64 v76, 0, v18, s0
	v_cmp_ge_i32_e64 s0, v6, v77
	v_sub_nc_u32_e32 v72, v52, v33
	v_sub_nc_u32_e32 v70, v46, v31
	;; [unrolled: 1-line block ×6, first 2 shown]
	v_lshl_add_u32 v66, v52, 3, v20
	v_sub_nc_u32_e32 v20, v7, v78
	s_wait_alu 0xf1ff
	v_cndmask_b32_e64 v77, 0, v19, s0
	v_cmp_ge_i32_e64 s0, v7, v78
	v_add_nc_u32_e32 v60, v52, v7
	v_min_i32_e32 v72, v7, v72
	v_add_nc_u32_e32 v58, v46, v5
	v_min_i32_e32 v70, v5, v70
	v_min_i32_e32 v67, v2, v21
	;; [unrolled: 1-line block ×5, first 2 shown]
	s_wait_alu 0xf1ff
	v_cndmask_b32_e64 v78, 0, v20, s0
	v_add_nc_u32_e32 v56, v40, v3
	v_add_nc_u32_e32 v59, v49, v6
	;; [unrolled: 1-line block ×3, first 2 shown]
	v_lshlrev_b32_e32 v39, 3, v28
	v_lshlrev_b32_e32 v42, 3, v29
	;; [unrolled: 1-line block ×6, first 2 shown]
	v_add_nc_u32_e32 v55, v37, v2
	v_cmp_lt_i32_e64 s0, v73, v67
	v_cmp_lt_i32_e64 s1, v74, v68
	v_cmp_lt_i32_e64 s2, v75, v69
	v_cmp_lt_i32_e64 s3, v76, v70
	v_cmp_lt_i32_e64 s4, v77, v71
	v_cmp_lt_i32_e64 s5, v78, v72
	v_cmp_lt_i32_e32 vcc_lo, v34, v35
	s_wait_loadcnt 0x3
	v_add_co_u32 v7, s6, v15, 1
	s_delay_alu instid0(VALU_DEP_1)
	v_add_co_ci_u32_e64 v8, null, 0, v16, s6
	s_wait_loadcnt 0x2
	v_add_co_u32 v5, s6, v13, 1
	s_wait_alu 0xf1ff
	v_add_co_ci_u32_e64 v6, null, 0, v14, s6
	s_wait_loadcnt 0x1
	v_add_co_u32 v3, s6, v11, 1
	s_wait_alu 0xf1ff
	;; [unrolled: 4-line block ×3, first 2 shown]
	v_add_co_ci_u32_e64 v2, null, 0, v10, s6
	s_branch .LBB137_2
.LBB137_1:                              ;   in Loop: Header=BB137_2 Depth=1
	s_or_b32 exec_lo, exec_lo, s9
	s_wait_dscnt 0x0
	s_delay_alu instid0(VALU_DEP_1)
	v_cmp_lt_i64_e64 s9, v[25:26], v[9:10]
	v_cmp_le_i32_e64 s10, 0x100, v84
	v_cmp_gt_i32_e64 s11, 0x200, v82
	v_cndmask_b32_e64 v15, v15, v16, s6
	v_cndmask_b32_e64 v80, v80, v81, s7
	s_wait_loadcnt 0x0
	s_or_b32 s9, s10, s9
	s_barrier_signal -1
	s_wait_alu 0xfffe
	s_and_b32 s9, s11, s9
	s_barrier_wait -1
	s_wait_alu 0xfffe
	v_cndmask_b32_e64 v16, v84, v82, s9
	global_inv scope:SCOPE_SE
	ds_store_2addr_b64 v27, v[5:6], v[7:8] offset1:1
	ds_store_2addr_b64 v27, v[1:2], v[3:4] offset0:2 offset1:3
	v_lshlrev_b32_e32 v1, 3, v15
	v_lshlrev_b32_e32 v2, 3, v80
	;; [unrolled: 1-line block ×4, first 2 shown]
	s_wait_loadcnt_dscnt 0x0
	s_barrier_signal -1
	s_barrier_wait -1
	global_inv scope:SCOPE_SE
	ds_load_b64 v[7:8], v1
	ds_load_b64 v[5:6], v2
	;; [unrolled: 1-line block ×4, first 2 shown]
	v_cndmask_b32_e64 v10, v10, v26, s9
	v_cndmask_b32_e64 v16, v12, v14, s6
	;; [unrolled: 1-line block ×8, first 2 shown]
	s_add_co_i32 s23, s23, 1
	s_delay_alu instid0(SALU_CYCLE_1)
	s_cmp_eq_u32 s23, 10
	s_cbranch_scc1 .LBB137_114
.LBB137_2:                              ; =>This Loop Header: Depth=1
                                        ;     Child Loop BB137_4 Depth 2
                                        ;     Child Loop BB137_20 Depth 2
	;; [unrolled: 1-line block ×7, first 2 shown]
	v_cmp_lt_i64_e64 s6, v[13:14], v[15:16]
	v_cmp_lt_i64_e64 s7, v[9:10], v[11:12]
	s_barrier_signal -1
	s_barrier_wait -1
	global_inv scope:SCOPE_SE
	s_wait_alu 0xf1ff
	v_cndmask_b32_e64 v21, v14, v16, s6
	v_cndmask_b32_e64 v20, v13, v15, s6
	v_cndmask_b32_e64 v23, v12, v10, s7
	v_cndmask_b32_e64 v22, v11, v9, s7
	v_cndmask_b32_e64 v17, v16, v14, s6
	v_cndmask_b32_e64 v19, v10, v12, s7
	v_cndmask_b32_e64 v16, v15, v13, s6
	v_cndmask_b32_e64 v18, v9, v11, s7
	v_cmp_lt_i64_e64 s8, v[22:23], v[20:21]
	s_wait_alu 0xf1ff
	s_delay_alu instid0(VALU_DEP_1) | instskip(SKIP_3) | instid1(VALU_DEP_2)
	v_cndmask_b32_e64 v10, v23, v21, s8
	v_cndmask_b32_e64 v12, v21, v23, s8
	;; [unrolled: 1-line block ×4, first 2 shown]
	v_cmp_lt_i64_e64 s9, v[11:12], v[16:17]
	s_delay_alu instid0(VALU_DEP_2) | instskip(SKIP_1) | instid1(VALU_DEP_2)
	v_cmp_lt_i64_e64 s10, v[18:19], v[9:10]
	s_wait_alu 0xf1ff
	v_cndmask_b32_e64 v14, v12, v17, s9
	v_cndmask_b32_e64 v13, v11, v16, s9
	s_delay_alu instid0(VALU_DEP_3)
	v_cndmask_b32_e64 v22, v10, v19, s10
	v_cndmask_b32_e64 v21, v9, v18, s10
	;; [unrolled: 1-line block ×6, first 2 shown]
	v_cmp_lt_i64_e64 s11, v[21:22], v[13:14]
	s_wait_alu 0xf1ff
	s_delay_alu instid0(VALU_DEP_1)
	v_cndmask_b32_e64 v10, v22, v14, s11
	v_cndmask_b32_e64 v15, v14, v22, s11
	;; [unrolled: 1-line block ×4, first 2 shown]
	v_mov_b32_e32 v13, v73
	ds_store_2addr_b64 v27, v[11:12], v[14:15] offset1:1
	ds_store_2addr_b64 v27, v[9:10], v[19:20] offset0:2 offset1:3
	s_wait_loadcnt_dscnt 0x0
	s_barrier_signal -1
	s_barrier_wait -1
	global_inv scope:SCOPE_SE
	s_and_saveexec_b32 s13, s0
	s_cbranch_execz .LBB137_6
; %bb.3:                                ;   in Loop: Header=BB137_2 Depth=1
	v_mov_b32_e32 v13, v73
	v_mov_b32_e32 v9, v67
	s_mov_b32 s14, 0
.LBB137_4:                              ;   Parent Loop BB137_2 Depth=1
                                        ; =>  This Inner Loop Header: Depth=2
	s_delay_alu instid0(VALU_DEP_1) | instskip(NEXT) | instid1(VALU_DEP_1)
	v_sub_nc_u32_e32 v10, v9, v13
	v_lshrrev_b32_e32 v10, 1, v10
	s_delay_alu instid0(VALU_DEP_1) | instskip(NEXT) | instid1(VALU_DEP_1)
	v_add_nc_u32_e32 v12, v10, v13
	v_not_b32_e32 v10, v12
	v_lshl_add_u32 v11, v12, 3, v39
	s_delay_alu instid0(VALU_DEP_2)
	v_lshl_add_u32 v14, v10, 3, v61
	ds_load_b64 v[10:11], v11
	ds_load_b64 v[14:15], v14
	s_wait_dscnt 0x0
	v_cmp_lt_i64_e64 s12, v[14:15], v[10:11]
	v_add_nc_u32_e32 v10, 1, v12
	s_wait_alu 0xf1ff
	s_delay_alu instid0(VALU_DEP_2) | instskip(NEXT) | instid1(VALU_DEP_2)
	v_cndmask_b32_e64 v9, v9, v12, s12
	v_cndmask_b32_e64 v13, v10, v13, s12
	s_delay_alu instid0(VALU_DEP_1)
	v_cmp_ge_i32_e64 s12, v13, v9
	s_wait_alu 0xfffe
	s_or_b32 s14, s12, s14
	s_wait_alu 0xfffe
	s_and_not1_b32 exec_lo, exec_lo, s14
	s_cbranch_execnz .LBB137_4
; %bb.5:                                ;   in Loop: Header=BB137_2 Depth=1
	s_or_b32 exec_lo, exec_lo, s14
.LBB137_6:                              ;   in Loop: Header=BB137_2 Depth=1
	s_wait_alu 0xfffe
	s_or_b32 exec_lo, exec_lo, s13
	v_sub_nc_u32_e32 v25, v55, v13
	v_lshl_add_u32 v15, v13, 3, v39
	v_add_nc_u32_e32 v26, v13, v28
                                        ; implicit-def: $vgpr13_vgpr14
	s_delay_alu instid0(VALU_DEP_3) | instskip(SKIP_1) | instid1(VALU_DEP_3)
	v_lshlrev_b32_e32 v17, 3, v25
	v_cmp_gt_i32_e64 s14, v38, v25
	v_cmp_le_i32_e64 s13, v37, v26
	ds_load_b64 v[9:10], v15
	ds_load_b64 v[11:12], v17
	s_wait_dscnt 0x0
	v_cmp_lt_i64_e64 s12, v[11:12], v[9:10]
	s_or_b32 s12, s13, s12
	s_wait_alu 0xfffe
	s_and_b32 s12, s14, s12
	s_wait_alu 0xfffe
	s_xor_b32 s13, s12, -1
	s_wait_alu 0xfffe
	s_and_saveexec_b32 s14, s13
	s_wait_alu 0xfffe
	s_xor_b32 s13, exec_lo, s14
; %bb.7:                                ;   in Loop: Header=BB137_2 Depth=1
	ds_load_b64 v[13:14], v15 offset:8
                                        ; implicit-def: $vgpr17
; %bb.8:                                ;   in Loop: Header=BB137_2 Depth=1
	s_wait_alu 0xfffe
	s_or_saveexec_b32 s13, s13
	v_dual_mov_b32 v16, v12 :: v_dual_mov_b32 v15, v11
	s_wait_alu 0xfffe
	s_xor_b32 exec_lo, exec_lo, s13
	s_cbranch_execz .LBB137_10
; %bb.9:                                ;   in Loop: Header=BB137_2 Depth=1
	ds_load_b64 v[15:16], v17 offset:8
	s_wait_dscnt 0x1
	v_dual_mov_b32 v14, v10 :: v_dual_mov_b32 v13, v9
.LBB137_10:                             ;   in Loop: Header=BB137_2 Depth=1
	s_or_b32 exec_lo, exec_lo, s13
	v_add_nc_u32_e32 v17, 1, v26
	v_add_nc_u32_e32 v18, 1, v25
	s_wait_dscnt 0x0
	v_cmp_lt_i64_e64 s13, v[15:16], v[13:14]
	s_delay_alu instid0(VALU_DEP_3) | instskip(NEXT) | instid1(VALU_DEP_3)
	v_cndmask_b32_e64 v80, v17, v26, s12
	v_cndmask_b32_e64 v81, v25, v18, s12
                                        ; implicit-def: $vgpr17_vgpr18
	s_delay_alu instid0(VALU_DEP_2) | instskip(NEXT) | instid1(VALU_DEP_2)
	v_cmp_ge_i32_e64 s14, v80, v37
	v_cmp_lt_i32_e64 s15, v81, v38
	s_or_b32 s13, s14, s13
	s_wait_alu 0xfffe
	s_and_b32 s13, s15, s13
	s_wait_alu 0xfffe
	s_xor_b32 s14, s13, -1
	s_wait_alu 0xfffe
	s_and_saveexec_b32 s15, s14
	s_wait_alu 0xfffe
	s_xor_b32 s14, exec_lo, s15
; %bb.11:                               ;   in Loop: Header=BB137_2 Depth=1
	v_lshlrev_b32_e32 v17, 3, v80
	ds_load_b64 v[17:18], v17 offset:8
; %bb.12:                               ;   in Loop: Header=BB137_2 Depth=1
	s_wait_alu 0xfffe
	s_or_saveexec_b32 s14, s14
	v_dual_mov_b32 v20, v16 :: v_dual_mov_b32 v19, v15
	s_wait_alu 0xfffe
	s_xor_b32 exec_lo, exec_lo, s14
	s_cbranch_execz .LBB137_14
; %bb.13:                               ;   in Loop: Header=BB137_2 Depth=1
	s_wait_dscnt 0x0
	v_lshlrev_b32_e32 v17, 3, v81
	ds_load_b64 v[19:20], v17 offset:8
	v_dual_mov_b32 v18, v14 :: v_dual_mov_b32 v17, v13
.LBB137_14:                             ;   in Loop: Header=BB137_2 Depth=1
	s_or_b32 exec_lo, exec_lo, s14
	v_add_nc_u32_e32 v21, 1, v80
	v_add_nc_u32_e32 v22, 1, v81
	s_wait_dscnt 0x0
	v_cmp_lt_i64_e64 s14, v[19:20], v[17:18]
	s_delay_alu instid0(VALU_DEP_3) | instskip(NEXT) | instid1(VALU_DEP_3)
	v_cndmask_b32_e64 v82, v21, v80, s13
	v_cndmask_b32_e64 v83, v81, v22, s13
                                        ; implicit-def: $vgpr21_vgpr22
	s_delay_alu instid0(VALU_DEP_2) | instskip(NEXT) | instid1(VALU_DEP_2)
	v_cmp_ge_i32_e64 s15, v82, v37
	v_cmp_lt_i32_e64 s16, v83, v38
	s_or_b32 s14, s15, s14
	s_wait_alu 0xfffe
	s_and_b32 s14, s16, s14
	s_wait_alu 0xfffe
	s_xor_b32 s15, s14, -1
	s_wait_alu 0xfffe
	s_and_saveexec_b32 s16, s15
	s_delay_alu instid0(SALU_CYCLE_1)
	s_xor_b32 s15, exec_lo, s16
; %bb.15:                               ;   in Loop: Header=BB137_2 Depth=1
	v_lshlrev_b32_e32 v21, 3, v82
	ds_load_b64 v[21:22], v21 offset:8
; %bb.16:                               ;   in Loop: Header=BB137_2 Depth=1
	s_wait_alu 0xfffe
	s_or_saveexec_b32 s15, s15
	v_dual_mov_b32 v24, v20 :: v_dual_mov_b32 v23, v19
	s_wait_alu 0xfffe
	s_xor_b32 exec_lo, exec_lo, s15
	s_cbranch_execz .LBB137_18
; %bb.17:                               ;   in Loop: Header=BB137_2 Depth=1
	s_wait_dscnt 0x0
	v_lshlrev_b32_e32 v21, 3, v83
	ds_load_b64 v[23:24], v21 offset:8
	v_dual_mov_b32 v22, v18 :: v_dual_mov_b32 v21, v17
.LBB137_18:                             ;   in Loop: Header=BB137_2 Depth=1
	s_or_b32 exec_lo, exec_lo, s15
	v_add_nc_u32_e32 v84, 1, v83
	v_add_nc_u32_e32 v85, 1, v82
	v_cndmask_b32_e64 v86, v82, v83, s14
	v_cndmask_b32_e64 v80, v80, v81, s13
	;; [unrolled: 1-line block ×17, first 2 shown]
	s_wait_dscnt 0x0
	v_cmp_lt_i64_e64 s6, v[23:24], v[21:22]
	v_cmp_ge_i32_e64 s7, v82, v37
	v_cndmask_b32_e64 v2, v6, v3, s9
	v_cndmask_b32_e64 v1, v5, v8, s9
	;; [unrolled: 1-line block ×8, first 2 shown]
	v_cmp_lt_i32_e64 s8, v81, v38
	s_or_b32 s6, s7, s6
	v_cndmask_b32_e64 v6, v26, v8, s11
	v_cndmask_b32_e64 v8, v8, v26, s11
	;; [unrolled: 1-line block ×4, first 2 shown]
	s_wait_alu 0xfffe
	s_and_b32 s6, s8, s6
	s_wait_loadcnt 0x0
	s_wait_alu 0xfffe
	v_cndmask_b32_e64 v22, v22, v24, s6
	v_cndmask_b32_e64 v24, v82, v81, s6
	s_barrier_signal -1
	s_barrier_wait -1
	global_inv scope:SCOPE_SE
	ds_store_2addr_b64 v27, v[1:2], v[7:8] offset1:1
	ds_store_2addr_b64 v27, v[5:6], v[3:4] offset0:2 offset1:3
	v_lshlrev_b32_e32 v1, 3, v25
	v_lshlrev_b32_e32 v2, 3, v80
	v_lshlrev_b32_e32 v3, 3, v86
	v_lshlrev_b32_e32 v4, 3, v24
	s_wait_loadcnt_dscnt 0x0
	s_barrier_signal -1
	s_barrier_wait -1
	global_inv scope:SCOPE_SE
	ds_load_b64 v[5:6], v1
	ds_load_b64 v[7:8], v2
	;; [unrolled: 1-line block ×4, first 2 shown]
	v_cndmask_b32_e64 v14, v14, v16, s13
	v_cndmask_b32_e64 v13, v13, v15, s13
	v_cndmask_b32_e64 v10, v10, v12, s12
	v_cndmask_b32_e64 v9, v9, v11, s12
	v_cndmask_b32_e64 v18, v18, v20, s14
	v_cndmask_b32_e64 v17, v17, v19, s14
	v_cndmask_b32_e64 v21, v21, v23, s6
	s_wait_loadcnt_dscnt 0x0
	s_barrier_signal -1
	s_barrier_wait -1
	global_inv scope:SCOPE_SE
	ds_store_2addr_b64 v27, v[9:10], v[13:14] offset1:1
	ds_store_2addr_b64 v27, v[17:18], v[21:22] offset0:2 offset1:3
	v_mov_b32_e32 v13, v74
	s_wait_loadcnt_dscnt 0x0
	s_barrier_signal -1
	s_barrier_wait -1
	global_inv scope:SCOPE_SE
	s_and_saveexec_b32 s7, s1
	s_cbranch_execz .LBB137_22
; %bb.19:                               ;   in Loop: Header=BB137_2 Depth=1
	v_mov_b32_e32 v13, v74
	v_mov_b32_e32 v9, v68
	s_mov_b32 s8, 0
.LBB137_20:                             ;   Parent Loop BB137_2 Depth=1
                                        ; =>  This Inner Loop Header: Depth=2
	s_delay_alu instid0(VALU_DEP_1) | instskip(NEXT) | instid1(VALU_DEP_1)
	v_sub_nc_u32_e32 v10, v9, v13
	v_lshrrev_b32_e32 v10, 1, v10
	s_delay_alu instid0(VALU_DEP_1) | instskip(NEXT) | instid1(VALU_DEP_1)
	v_add_nc_u32_e32 v12, v10, v13
	v_not_b32_e32 v10, v12
	v_lshl_add_u32 v11, v12, 3, v42
	s_delay_alu instid0(VALU_DEP_2)
	v_lshl_add_u32 v14, v10, 3, v62
	ds_load_b64 v[10:11], v11
	ds_load_b64 v[14:15], v14
	s_wait_dscnt 0x0
	v_cmp_lt_i64_e64 s6, v[14:15], v[10:11]
	v_add_nc_u32_e32 v10, 1, v12
	s_wait_alu 0xf1ff
	s_delay_alu instid0(VALU_DEP_2) | instskip(NEXT) | instid1(VALU_DEP_2)
	v_cndmask_b32_e64 v9, v9, v12, s6
	v_cndmask_b32_e64 v13, v10, v13, s6
	s_delay_alu instid0(VALU_DEP_1)
	v_cmp_ge_i32_e64 s6, v13, v9
	s_wait_alu 0xfffe
	s_or_b32 s8, s6, s8
	s_wait_alu 0xfffe
	s_and_not1_b32 exec_lo, exec_lo, s8
	s_cbranch_execnz .LBB137_20
; %bb.21:                               ;   in Loop: Header=BB137_2 Depth=1
	s_or_b32 exec_lo, exec_lo, s8
.LBB137_22:                             ;   in Loop: Header=BB137_2 Depth=1
	s_wait_alu 0xfffe
	s_or_b32 exec_lo, exec_lo, s7
	v_sub_nc_u32_e32 v25, v56, v13
	v_lshl_add_u32 v15, v13, 3, v42
	v_add_nc_u32_e32 v26, v13, v29
                                        ; implicit-def: $vgpr13_vgpr14
	s_delay_alu instid0(VALU_DEP_3) | instskip(SKIP_1) | instid1(VALU_DEP_3)
	v_lshlrev_b32_e32 v17, 3, v25
	v_cmp_gt_i32_e64 s8, v41, v25
	v_cmp_le_i32_e64 s7, v40, v26
	ds_load_b64 v[9:10], v15
	ds_load_b64 v[11:12], v17
	s_wait_dscnt 0x0
	v_cmp_lt_i64_e64 s6, v[11:12], v[9:10]
	s_or_b32 s6, s7, s6
	s_wait_alu 0xfffe
	s_and_b32 s6, s8, s6
	s_wait_alu 0xfffe
	s_xor_b32 s7, s6, -1
	s_wait_alu 0xfffe
	s_and_saveexec_b32 s8, s7
	s_wait_alu 0xfffe
	s_xor_b32 s7, exec_lo, s8
; %bb.23:                               ;   in Loop: Header=BB137_2 Depth=1
	ds_load_b64 v[13:14], v15 offset:8
                                        ; implicit-def: $vgpr17
; %bb.24:                               ;   in Loop: Header=BB137_2 Depth=1
	s_wait_alu 0xfffe
	s_or_saveexec_b32 s7, s7
	v_dual_mov_b32 v16, v12 :: v_dual_mov_b32 v15, v11
	s_wait_alu 0xfffe
	s_xor_b32 exec_lo, exec_lo, s7
	s_cbranch_execz .LBB137_26
; %bb.25:                               ;   in Loop: Header=BB137_2 Depth=1
	ds_load_b64 v[15:16], v17 offset:8
	s_wait_dscnt 0x1
	v_dual_mov_b32 v14, v10 :: v_dual_mov_b32 v13, v9
.LBB137_26:                             ;   in Loop: Header=BB137_2 Depth=1
	s_or_b32 exec_lo, exec_lo, s7
	v_add_nc_u32_e32 v17, 1, v26
	v_add_nc_u32_e32 v18, 1, v25
	s_wait_dscnt 0x0
	v_cmp_lt_i64_e64 s7, v[15:16], v[13:14]
	s_delay_alu instid0(VALU_DEP_3) | instskip(NEXT) | instid1(VALU_DEP_3)
	v_cndmask_b32_e64 v80, v17, v26, s6
	v_cndmask_b32_e64 v81, v25, v18, s6
                                        ; implicit-def: $vgpr17_vgpr18
	s_delay_alu instid0(VALU_DEP_2) | instskip(NEXT) | instid1(VALU_DEP_2)
	v_cmp_ge_i32_e64 s8, v80, v40
	v_cmp_lt_i32_e64 s9, v81, v41
	s_or_b32 s7, s8, s7
	s_wait_alu 0xfffe
	s_and_b32 s7, s9, s7
	s_wait_alu 0xfffe
	s_xor_b32 s8, s7, -1
	s_wait_alu 0xfffe
	s_and_saveexec_b32 s9, s8
	s_wait_alu 0xfffe
	s_xor_b32 s8, exec_lo, s9
; %bb.27:                               ;   in Loop: Header=BB137_2 Depth=1
	v_lshlrev_b32_e32 v17, 3, v80
	ds_load_b64 v[17:18], v17 offset:8
; %bb.28:                               ;   in Loop: Header=BB137_2 Depth=1
	s_wait_alu 0xfffe
	s_or_saveexec_b32 s8, s8
	v_dual_mov_b32 v20, v16 :: v_dual_mov_b32 v19, v15
	s_wait_alu 0xfffe
	s_xor_b32 exec_lo, exec_lo, s8
	s_cbranch_execz .LBB137_30
; %bb.29:                               ;   in Loop: Header=BB137_2 Depth=1
	s_wait_dscnt 0x0
	v_lshlrev_b32_e32 v17, 3, v81
	ds_load_b64 v[19:20], v17 offset:8
	v_dual_mov_b32 v18, v14 :: v_dual_mov_b32 v17, v13
.LBB137_30:                             ;   in Loop: Header=BB137_2 Depth=1
	s_or_b32 exec_lo, exec_lo, s8
	v_add_nc_u32_e32 v21, 1, v80
	v_add_nc_u32_e32 v22, 1, v81
	s_wait_dscnt 0x0
	v_cmp_lt_i64_e64 s8, v[19:20], v[17:18]
	s_delay_alu instid0(VALU_DEP_3) | instskip(NEXT) | instid1(VALU_DEP_3)
	v_cndmask_b32_e64 v83, v21, v80, s7
	v_cndmask_b32_e64 v82, v81, v22, s7
                                        ; implicit-def: $vgpr21_vgpr22
	s_delay_alu instid0(VALU_DEP_2) | instskip(NEXT) | instid1(VALU_DEP_2)
	v_cmp_ge_i32_e64 s9, v83, v40
	v_cmp_lt_i32_e64 s10, v82, v41
	s_or_b32 s8, s9, s8
	s_wait_alu 0xfffe
	s_and_b32 s8, s10, s8
	s_wait_alu 0xfffe
	s_xor_b32 s9, s8, -1
	s_wait_alu 0xfffe
	s_and_saveexec_b32 s10, s9
	s_wait_alu 0xfffe
	s_xor_b32 s9, exec_lo, s10
; %bb.31:                               ;   in Loop: Header=BB137_2 Depth=1
	v_lshlrev_b32_e32 v21, 3, v83
	ds_load_b64 v[21:22], v21 offset:8
; %bb.32:                               ;   in Loop: Header=BB137_2 Depth=1
	s_wait_alu 0xfffe
	s_or_saveexec_b32 s9, s9
	v_dual_mov_b32 v24, v20 :: v_dual_mov_b32 v23, v19
	s_wait_alu 0xfffe
	s_xor_b32 exec_lo, exec_lo, s9
	s_cbranch_execz .LBB137_34
; %bb.33:                               ;   in Loop: Header=BB137_2 Depth=1
	s_wait_dscnt 0x0
	v_lshlrev_b32_e32 v21, 3, v82
	ds_load_b64 v[23:24], v21 offset:8
	v_dual_mov_b32 v22, v18 :: v_dual_mov_b32 v21, v17
.LBB137_34:                             ;   in Loop: Header=BB137_2 Depth=1
	s_or_b32 exec_lo, exec_lo, s9
	v_add_nc_u32_e32 v84, 1, v83
	v_add_nc_u32_e32 v85, 1, v82
	v_cndmask_b32_e64 v80, v80, v81, s7
	v_cndmask_b32_e64 v25, v26, v25, s6
	s_wait_dscnt 0x0
	v_cmp_lt_i64_e64 s9, v[23:24], v[21:22]
	v_cndmask_b32_e64 v81, v84, v83, s8
	v_cndmask_b32_e64 v26, v82, v85, s8
	;; [unrolled: 1-line block ×3, first 2 shown]
	s_wait_loadcnt 0x0
	s_barrier_signal -1
	v_cmp_ge_i32_e64 s10, v81, v40
	v_cmp_lt_i32_e64 s11, v26, v41
	s_barrier_wait -1
	global_inv scope:SCOPE_SE
	ds_store_2addr_b64 v27, v[5:6], v[7:8] offset1:1
	ds_store_2addr_b64 v27, v[1:2], v[3:4] offset0:2 offset1:3
	s_or_b32 s9, s10, s9
	v_lshlrev_b32_e32 v2, 3, v25
	s_wait_alu 0xfffe
	s_and_b32 s9, s11, s9
	v_lshlrev_b32_e32 v3, 3, v80
	s_wait_alu 0xfffe
	v_cndmask_b32_e64 v1, v81, v26, s9
	v_lshlrev_b32_e32 v4, 3, v86
	v_cndmask_b32_e64 v22, v22, v24, s9
	s_wait_loadcnt_dscnt 0x0
	s_barrier_signal -1
	v_lshlrev_b32_e32 v24, 3, v1
	s_barrier_wait -1
	global_inv scope:SCOPE_SE
	ds_load_b64 v[5:6], v2
	ds_load_b64 v[7:8], v3
	;; [unrolled: 1-line block ×4, first 2 shown]
	v_cndmask_b32_e64 v14, v14, v16, s7
	v_cndmask_b32_e64 v13, v13, v15, s7
	;; [unrolled: 1-line block ×7, first 2 shown]
	s_wait_loadcnt_dscnt 0x0
	s_barrier_signal -1
	s_barrier_wait -1
	global_inv scope:SCOPE_SE
	ds_store_2addr_b64 v27, v[9:10], v[13:14] offset1:1
	ds_store_2addr_b64 v27, v[17:18], v[21:22] offset0:2 offset1:3
	v_mov_b32_e32 v13, v75
	s_wait_loadcnt_dscnt 0x0
	s_barrier_signal -1
	s_barrier_wait -1
	global_inv scope:SCOPE_SE
	s_and_saveexec_b32 s7, s2
	s_cbranch_execz .LBB137_38
; %bb.35:                               ;   in Loop: Header=BB137_2 Depth=1
	v_mov_b32_e32 v13, v75
	v_mov_b32_e32 v9, v69
	s_mov_b32 s8, 0
.LBB137_36:                             ;   Parent Loop BB137_2 Depth=1
                                        ; =>  This Inner Loop Header: Depth=2
	s_delay_alu instid0(VALU_DEP_1) | instskip(NEXT) | instid1(VALU_DEP_1)
	v_sub_nc_u32_e32 v10, v9, v13
	v_lshrrev_b32_e32 v10, 1, v10
	s_delay_alu instid0(VALU_DEP_1) | instskip(NEXT) | instid1(VALU_DEP_1)
	v_add_nc_u32_e32 v12, v10, v13
	v_not_b32_e32 v10, v12
	v_lshl_add_u32 v11, v12, 3, v45
	s_delay_alu instid0(VALU_DEP_2)
	v_lshl_add_u32 v14, v10, 3, v63
	ds_load_b64 v[10:11], v11
	ds_load_b64 v[14:15], v14
	s_wait_dscnt 0x0
	v_cmp_lt_i64_e64 s6, v[14:15], v[10:11]
	v_add_nc_u32_e32 v10, 1, v12
	s_wait_alu 0xf1ff
	s_delay_alu instid0(VALU_DEP_2) | instskip(NEXT) | instid1(VALU_DEP_2)
	v_cndmask_b32_e64 v9, v9, v12, s6
	v_cndmask_b32_e64 v13, v10, v13, s6
	s_delay_alu instid0(VALU_DEP_1)
	v_cmp_ge_i32_e64 s6, v13, v9
	s_wait_alu 0xfffe
	s_or_b32 s8, s6, s8
	s_wait_alu 0xfffe
	s_and_not1_b32 exec_lo, exec_lo, s8
	s_cbranch_execnz .LBB137_36
; %bb.37:                               ;   in Loop: Header=BB137_2 Depth=1
	s_or_b32 exec_lo, exec_lo, s8
.LBB137_38:                             ;   in Loop: Header=BB137_2 Depth=1
	s_wait_alu 0xfffe
	s_or_b32 exec_lo, exec_lo, s7
	v_sub_nc_u32_e32 v25, v57, v13
	v_lshl_add_u32 v15, v13, 3, v45
	v_add_nc_u32_e32 v26, v13, v30
                                        ; implicit-def: $vgpr13_vgpr14
	s_delay_alu instid0(VALU_DEP_3) | instskip(SKIP_1) | instid1(VALU_DEP_3)
	v_lshlrev_b32_e32 v17, 3, v25
	v_cmp_gt_i32_e64 s8, v44, v25
	v_cmp_le_i32_e64 s7, v43, v26
	ds_load_b64 v[9:10], v15
	ds_load_b64 v[11:12], v17
	s_wait_dscnt 0x0
	v_cmp_lt_i64_e64 s6, v[11:12], v[9:10]
	s_or_b32 s6, s7, s6
	s_wait_alu 0xfffe
	s_and_b32 s6, s8, s6
	s_wait_alu 0xfffe
	s_xor_b32 s7, s6, -1
	s_wait_alu 0xfffe
	s_and_saveexec_b32 s8, s7
	s_wait_alu 0xfffe
	s_xor_b32 s7, exec_lo, s8
; %bb.39:                               ;   in Loop: Header=BB137_2 Depth=1
	ds_load_b64 v[13:14], v15 offset:8
                                        ; implicit-def: $vgpr17
; %bb.40:                               ;   in Loop: Header=BB137_2 Depth=1
	s_wait_alu 0xfffe
	s_or_saveexec_b32 s7, s7
	v_dual_mov_b32 v16, v12 :: v_dual_mov_b32 v15, v11
	s_wait_alu 0xfffe
	s_xor_b32 exec_lo, exec_lo, s7
	s_cbranch_execz .LBB137_42
; %bb.41:                               ;   in Loop: Header=BB137_2 Depth=1
	ds_load_b64 v[15:16], v17 offset:8
	s_wait_dscnt 0x1
	v_dual_mov_b32 v14, v10 :: v_dual_mov_b32 v13, v9
.LBB137_42:                             ;   in Loop: Header=BB137_2 Depth=1
	s_or_b32 exec_lo, exec_lo, s7
	v_add_nc_u32_e32 v17, 1, v26
	v_add_nc_u32_e32 v18, 1, v25
	s_wait_dscnt 0x0
	v_cmp_lt_i64_e64 s7, v[15:16], v[13:14]
	s_delay_alu instid0(VALU_DEP_3) | instskip(NEXT) | instid1(VALU_DEP_3)
	v_cndmask_b32_e64 v80, v17, v26, s6
	v_cndmask_b32_e64 v81, v25, v18, s6
                                        ; implicit-def: $vgpr17_vgpr18
	s_delay_alu instid0(VALU_DEP_2) | instskip(NEXT) | instid1(VALU_DEP_2)
	v_cmp_ge_i32_e64 s8, v80, v43
	v_cmp_lt_i32_e64 s9, v81, v44
	s_or_b32 s7, s8, s7
	s_wait_alu 0xfffe
	s_and_b32 s7, s9, s7
	s_wait_alu 0xfffe
	s_xor_b32 s8, s7, -1
	s_wait_alu 0xfffe
	s_and_saveexec_b32 s9, s8
	s_wait_alu 0xfffe
	s_xor_b32 s8, exec_lo, s9
; %bb.43:                               ;   in Loop: Header=BB137_2 Depth=1
	v_lshlrev_b32_e32 v17, 3, v80
	ds_load_b64 v[17:18], v17 offset:8
; %bb.44:                               ;   in Loop: Header=BB137_2 Depth=1
	s_wait_alu 0xfffe
	s_or_saveexec_b32 s8, s8
	v_dual_mov_b32 v20, v16 :: v_dual_mov_b32 v19, v15
	s_wait_alu 0xfffe
	s_xor_b32 exec_lo, exec_lo, s8
	s_cbranch_execz .LBB137_46
; %bb.45:                               ;   in Loop: Header=BB137_2 Depth=1
	s_wait_dscnt 0x0
	v_lshlrev_b32_e32 v17, 3, v81
	ds_load_b64 v[19:20], v17 offset:8
	v_dual_mov_b32 v18, v14 :: v_dual_mov_b32 v17, v13
.LBB137_46:                             ;   in Loop: Header=BB137_2 Depth=1
	s_or_b32 exec_lo, exec_lo, s8
	v_add_nc_u32_e32 v21, 1, v80
	v_add_nc_u32_e32 v22, 1, v81
	s_wait_dscnt 0x0
	v_cmp_lt_i64_e64 s8, v[19:20], v[17:18]
	s_delay_alu instid0(VALU_DEP_3) | instskip(NEXT) | instid1(VALU_DEP_3)
	v_cndmask_b32_e64 v83, v21, v80, s7
	v_cndmask_b32_e64 v82, v81, v22, s7
                                        ; implicit-def: $vgpr21_vgpr22
	s_delay_alu instid0(VALU_DEP_2) | instskip(NEXT) | instid1(VALU_DEP_2)
	v_cmp_ge_i32_e64 s9, v83, v43
	v_cmp_lt_i32_e64 s10, v82, v44
	s_or_b32 s8, s9, s8
	s_wait_alu 0xfffe
	s_and_b32 s8, s10, s8
	s_wait_alu 0xfffe
	s_xor_b32 s9, s8, -1
	s_wait_alu 0xfffe
	s_and_saveexec_b32 s10, s9
	s_wait_alu 0xfffe
	s_xor_b32 s9, exec_lo, s10
; %bb.47:                               ;   in Loop: Header=BB137_2 Depth=1
	v_lshlrev_b32_e32 v21, 3, v83
	ds_load_b64 v[21:22], v21 offset:8
; %bb.48:                               ;   in Loop: Header=BB137_2 Depth=1
	s_wait_alu 0xfffe
	s_or_saveexec_b32 s9, s9
	v_dual_mov_b32 v24, v20 :: v_dual_mov_b32 v23, v19
	s_wait_alu 0xfffe
	s_xor_b32 exec_lo, exec_lo, s9
	s_cbranch_execz .LBB137_50
; %bb.49:                               ;   in Loop: Header=BB137_2 Depth=1
	s_wait_dscnt 0x0
	v_lshlrev_b32_e32 v21, 3, v82
	ds_load_b64 v[23:24], v21 offset:8
	v_dual_mov_b32 v22, v18 :: v_dual_mov_b32 v21, v17
.LBB137_50:                             ;   in Loop: Header=BB137_2 Depth=1
	s_or_b32 exec_lo, exec_lo, s9
	v_add_nc_u32_e32 v84, 1, v83
	v_add_nc_u32_e32 v85, 1, v82
	v_cndmask_b32_e64 v80, v80, v81, s7
	v_cndmask_b32_e64 v25, v26, v25, s6
	s_wait_dscnt 0x0
	v_cmp_lt_i64_e64 s9, v[23:24], v[21:22]
	v_cndmask_b32_e64 v81, v84, v83, s8
	v_cndmask_b32_e64 v26, v82, v85, s8
	;; [unrolled: 1-line block ×3, first 2 shown]
	s_wait_loadcnt 0x0
	s_barrier_signal -1
	v_cmp_ge_i32_e64 s10, v81, v43
	v_cmp_lt_i32_e64 s11, v26, v44
	s_barrier_wait -1
	global_inv scope:SCOPE_SE
	ds_store_2addr_b64 v27, v[5:6], v[7:8] offset1:1
	ds_store_2addr_b64 v27, v[1:2], v[3:4] offset0:2 offset1:3
	s_or_b32 s9, s10, s9
	v_lshlrev_b32_e32 v2, 3, v25
	s_wait_alu 0xfffe
	s_and_b32 s9, s11, s9
	v_lshlrev_b32_e32 v3, 3, v80
	s_wait_alu 0xfffe
	v_cndmask_b32_e64 v1, v81, v26, s9
	v_lshlrev_b32_e32 v4, 3, v86
	v_cndmask_b32_e64 v22, v22, v24, s9
	s_wait_loadcnt_dscnt 0x0
	s_barrier_signal -1
	v_lshlrev_b32_e32 v24, 3, v1
	s_barrier_wait -1
	global_inv scope:SCOPE_SE
	ds_load_b64 v[5:6], v2
	ds_load_b64 v[7:8], v3
	;; [unrolled: 1-line block ×4, first 2 shown]
	v_cndmask_b32_e64 v14, v14, v16, s7
	v_cndmask_b32_e64 v13, v13, v15, s7
	;; [unrolled: 1-line block ×7, first 2 shown]
	s_wait_loadcnt_dscnt 0x0
	s_barrier_signal -1
	s_barrier_wait -1
	global_inv scope:SCOPE_SE
	ds_store_2addr_b64 v27, v[9:10], v[13:14] offset1:1
	ds_store_2addr_b64 v27, v[17:18], v[21:22] offset0:2 offset1:3
	v_mov_b32_e32 v13, v76
	s_wait_loadcnt_dscnt 0x0
	s_barrier_signal -1
	s_barrier_wait -1
	global_inv scope:SCOPE_SE
	s_and_saveexec_b32 s7, s3
	s_cbranch_execz .LBB137_54
; %bb.51:                               ;   in Loop: Header=BB137_2 Depth=1
	v_mov_b32_e32 v13, v76
	v_mov_b32_e32 v9, v70
	s_mov_b32 s8, 0
.LBB137_52:                             ;   Parent Loop BB137_2 Depth=1
                                        ; =>  This Inner Loop Header: Depth=2
	s_delay_alu instid0(VALU_DEP_1) | instskip(NEXT) | instid1(VALU_DEP_1)
	v_sub_nc_u32_e32 v10, v9, v13
	v_lshrrev_b32_e32 v10, 1, v10
	s_delay_alu instid0(VALU_DEP_1) | instskip(NEXT) | instid1(VALU_DEP_1)
	v_add_nc_u32_e32 v12, v10, v13
	v_not_b32_e32 v10, v12
	v_lshl_add_u32 v11, v12, 3, v48
	s_delay_alu instid0(VALU_DEP_2)
	v_lshl_add_u32 v14, v10, 3, v64
	ds_load_b64 v[10:11], v11
	ds_load_b64 v[14:15], v14
	s_wait_dscnt 0x0
	v_cmp_lt_i64_e64 s6, v[14:15], v[10:11]
	v_add_nc_u32_e32 v10, 1, v12
	s_wait_alu 0xf1ff
	s_delay_alu instid0(VALU_DEP_2) | instskip(NEXT) | instid1(VALU_DEP_2)
	v_cndmask_b32_e64 v9, v9, v12, s6
	v_cndmask_b32_e64 v13, v10, v13, s6
	s_delay_alu instid0(VALU_DEP_1)
	v_cmp_ge_i32_e64 s6, v13, v9
	s_wait_alu 0xfffe
	s_or_b32 s8, s6, s8
	s_wait_alu 0xfffe
	s_and_not1_b32 exec_lo, exec_lo, s8
	s_cbranch_execnz .LBB137_52
; %bb.53:                               ;   in Loop: Header=BB137_2 Depth=1
	s_or_b32 exec_lo, exec_lo, s8
.LBB137_54:                             ;   in Loop: Header=BB137_2 Depth=1
	s_wait_alu 0xfffe
	s_or_b32 exec_lo, exec_lo, s7
	v_sub_nc_u32_e32 v25, v58, v13
	v_lshl_add_u32 v15, v13, 3, v48
	v_add_nc_u32_e32 v26, v13, v31
                                        ; implicit-def: $vgpr13_vgpr14
	s_delay_alu instid0(VALU_DEP_3) | instskip(SKIP_1) | instid1(VALU_DEP_3)
	v_lshlrev_b32_e32 v17, 3, v25
	v_cmp_gt_i32_e64 s8, v47, v25
	v_cmp_le_i32_e64 s7, v46, v26
	ds_load_b64 v[9:10], v15
	ds_load_b64 v[11:12], v17
	s_wait_dscnt 0x0
	v_cmp_lt_i64_e64 s6, v[11:12], v[9:10]
	s_or_b32 s6, s7, s6
	s_wait_alu 0xfffe
	s_and_b32 s6, s8, s6
	s_wait_alu 0xfffe
	s_xor_b32 s7, s6, -1
	s_wait_alu 0xfffe
	s_and_saveexec_b32 s8, s7
	s_wait_alu 0xfffe
	s_xor_b32 s7, exec_lo, s8
; %bb.55:                               ;   in Loop: Header=BB137_2 Depth=1
	ds_load_b64 v[13:14], v15 offset:8
                                        ; implicit-def: $vgpr17
; %bb.56:                               ;   in Loop: Header=BB137_2 Depth=1
	s_wait_alu 0xfffe
	s_or_saveexec_b32 s7, s7
	v_dual_mov_b32 v16, v12 :: v_dual_mov_b32 v15, v11
	s_wait_alu 0xfffe
	s_xor_b32 exec_lo, exec_lo, s7
	s_cbranch_execz .LBB137_58
; %bb.57:                               ;   in Loop: Header=BB137_2 Depth=1
	ds_load_b64 v[15:16], v17 offset:8
	s_wait_dscnt 0x1
	v_dual_mov_b32 v14, v10 :: v_dual_mov_b32 v13, v9
.LBB137_58:                             ;   in Loop: Header=BB137_2 Depth=1
	s_or_b32 exec_lo, exec_lo, s7
	v_add_nc_u32_e32 v17, 1, v26
	v_add_nc_u32_e32 v18, 1, v25
	s_wait_dscnt 0x0
	v_cmp_lt_i64_e64 s7, v[15:16], v[13:14]
	s_delay_alu instid0(VALU_DEP_3) | instskip(NEXT) | instid1(VALU_DEP_3)
	v_cndmask_b32_e64 v80, v17, v26, s6
	v_cndmask_b32_e64 v81, v25, v18, s6
                                        ; implicit-def: $vgpr17_vgpr18
	s_delay_alu instid0(VALU_DEP_2) | instskip(NEXT) | instid1(VALU_DEP_2)
	v_cmp_ge_i32_e64 s8, v80, v46
	v_cmp_lt_i32_e64 s9, v81, v47
	s_or_b32 s7, s8, s7
	s_wait_alu 0xfffe
	s_and_b32 s7, s9, s7
	s_wait_alu 0xfffe
	s_xor_b32 s8, s7, -1
	s_wait_alu 0xfffe
	s_and_saveexec_b32 s9, s8
	s_wait_alu 0xfffe
	s_xor_b32 s8, exec_lo, s9
; %bb.59:                               ;   in Loop: Header=BB137_2 Depth=1
	v_lshlrev_b32_e32 v17, 3, v80
	ds_load_b64 v[17:18], v17 offset:8
; %bb.60:                               ;   in Loop: Header=BB137_2 Depth=1
	s_wait_alu 0xfffe
	s_or_saveexec_b32 s8, s8
	v_dual_mov_b32 v20, v16 :: v_dual_mov_b32 v19, v15
	s_wait_alu 0xfffe
	s_xor_b32 exec_lo, exec_lo, s8
	s_cbranch_execz .LBB137_62
; %bb.61:                               ;   in Loop: Header=BB137_2 Depth=1
	s_wait_dscnt 0x0
	v_lshlrev_b32_e32 v17, 3, v81
	ds_load_b64 v[19:20], v17 offset:8
	v_dual_mov_b32 v18, v14 :: v_dual_mov_b32 v17, v13
.LBB137_62:                             ;   in Loop: Header=BB137_2 Depth=1
	s_or_b32 exec_lo, exec_lo, s8
	v_add_nc_u32_e32 v21, 1, v80
	v_add_nc_u32_e32 v22, 1, v81
	s_wait_dscnt 0x0
	v_cmp_lt_i64_e64 s8, v[19:20], v[17:18]
	s_delay_alu instid0(VALU_DEP_3) | instskip(NEXT) | instid1(VALU_DEP_3)
	v_cndmask_b32_e64 v83, v21, v80, s7
	v_cndmask_b32_e64 v82, v81, v22, s7
                                        ; implicit-def: $vgpr21_vgpr22
	s_delay_alu instid0(VALU_DEP_2) | instskip(NEXT) | instid1(VALU_DEP_2)
	v_cmp_ge_i32_e64 s9, v83, v46
	v_cmp_lt_i32_e64 s10, v82, v47
	s_or_b32 s8, s9, s8
	s_wait_alu 0xfffe
	s_and_b32 s8, s10, s8
	s_wait_alu 0xfffe
	s_xor_b32 s9, s8, -1
	s_wait_alu 0xfffe
	s_and_saveexec_b32 s10, s9
	s_wait_alu 0xfffe
	s_xor_b32 s9, exec_lo, s10
; %bb.63:                               ;   in Loop: Header=BB137_2 Depth=1
	v_lshlrev_b32_e32 v21, 3, v83
	ds_load_b64 v[21:22], v21 offset:8
; %bb.64:                               ;   in Loop: Header=BB137_2 Depth=1
	s_wait_alu 0xfffe
	s_or_saveexec_b32 s9, s9
	v_dual_mov_b32 v24, v20 :: v_dual_mov_b32 v23, v19
	s_wait_alu 0xfffe
	s_xor_b32 exec_lo, exec_lo, s9
	s_cbranch_execz .LBB137_66
; %bb.65:                               ;   in Loop: Header=BB137_2 Depth=1
	s_wait_dscnt 0x0
	v_lshlrev_b32_e32 v21, 3, v82
	ds_load_b64 v[23:24], v21 offset:8
	v_dual_mov_b32 v22, v18 :: v_dual_mov_b32 v21, v17
.LBB137_66:                             ;   in Loop: Header=BB137_2 Depth=1
	s_or_b32 exec_lo, exec_lo, s9
	v_add_nc_u32_e32 v84, 1, v83
	v_add_nc_u32_e32 v85, 1, v82
	v_cndmask_b32_e64 v80, v80, v81, s7
	v_cndmask_b32_e64 v25, v26, v25, s6
	s_wait_dscnt 0x0
	v_cmp_lt_i64_e64 s9, v[23:24], v[21:22]
	v_cndmask_b32_e64 v81, v84, v83, s8
	v_cndmask_b32_e64 v26, v82, v85, s8
	;; [unrolled: 1-line block ×3, first 2 shown]
	s_wait_loadcnt 0x0
	s_barrier_signal -1
	v_cmp_ge_i32_e64 s10, v81, v46
	v_cmp_lt_i32_e64 s11, v26, v47
	s_barrier_wait -1
	global_inv scope:SCOPE_SE
	ds_store_2addr_b64 v27, v[5:6], v[7:8] offset1:1
	ds_store_2addr_b64 v27, v[1:2], v[3:4] offset0:2 offset1:3
	s_or_b32 s9, s10, s9
	v_lshlrev_b32_e32 v2, 3, v25
	s_wait_alu 0xfffe
	s_and_b32 s9, s11, s9
	v_lshlrev_b32_e32 v3, 3, v80
	s_wait_alu 0xfffe
	v_cndmask_b32_e64 v1, v81, v26, s9
	v_lshlrev_b32_e32 v4, 3, v86
	v_cndmask_b32_e64 v22, v22, v24, s9
	s_wait_loadcnt_dscnt 0x0
	s_barrier_signal -1
	v_lshlrev_b32_e32 v24, 3, v1
	s_barrier_wait -1
	global_inv scope:SCOPE_SE
	ds_load_b64 v[5:6], v2
	ds_load_b64 v[7:8], v3
	;; [unrolled: 1-line block ×4, first 2 shown]
	v_cndmask_b32_e64 v14, v14, v16, s7
	v_cndmask_b32_e64 v13, v13, v15, s7
	;; [unrolled: 1-line block ×7, first 2 shown]
	s_wait_loadcnt_dscnt 0x0
	s_barrier_signal -1
	s_barrier_wait -1
	global_inv scope:SCOPE_SE
	ds_store_2addr_b64 v27, v[9:10], v[13:14] offset1:1
	ds_store_2addr_b64 v27, v[17:18], v[21:22] offset0:2 offset1:3
	v_mov_b32_e32 v13, v77
	s_wait_loadcnt_dscnt 0x0
	s_barrier_signal -1
	s_barrier_wait -1
	global_inv scope:SCOPE_SE
	s_and_saveexec_b32 s7, s4
	s_cbranch_execz .LBB137_70
; %bb.67:                               ;   in Loop: Header=BB137_2 Depth=1
	v_mov_b32_e32 v13, v77
	v_mov_b32_e32 v9, v71
	s_mov_b32 s8, 0
.LBB137_68:                             ;   Parent Loop BB137_2 Depth=1
                                        ; =>  This Inner Loop Header: Depth=2
	s_delay_alu instid0(VALU_DEP_1) | instskip(NEXT) | instid1(VALU_DEP_1)
	v_sub_nc_u32_e32 v10, v9, v13
	v_lshrrev_b32_e32 v10, 1, v10
	s_delay_alu instid0(VALU_DEP_1) | instskip(NEXT) | instid1(VALU_DEP_1)
	v_add_nc_u32_e32 v12, v10, v13
	v_not_b32_e32 v10, v12
	v_lshl_add_u32 v11, v12, 3, v51
	s_delay_alu instid0(VALU_DEP_2)
	v_lshl_add_u32 v14, v10, 3, v65
	ds_load_b64 v[10:11], v11
	ds_load_b64 v[14:15], v14
	s_wait_dscnt 0x0
	v_cmp_lt_i64_e64 s6, v[14:15], v[10:11]
	v_add_nc_u32_e32 v10, 1, v12
	s_wait_alu 0xf1ff
	s_delay_alu instid0(VALU_DEP_2) | instskip(NEXT) | instid1(VALU_DEP_2)
	v_cndmask_b32_e64 v9, v9, v12, s6
	v_cndmask_b32_e64 v13, v10, v13, s6
	s_delay_alu instid0(VALU_DEP_1)
	v_cmp_ge_i32_e64 s6, v13, v9
	s_wait_alu 0xfffe
	s_or_b32 s8, s6, s8
	s_wait_alu 0xfffe
	s_and_not1_b32 exec_lo, exec_lo, s8
	s_cbranch_execnz .LBB137_68
; %bb.69:                               ;   in Loop: Header=BB137_2 Depth=1
	s_or_b32 exec_lo, exec_lo, s8
.LBB137_70:                             ;   in Loop: Header=BB137_2 Depth=1
	s_wait_alu 0xfffe
	s_or_b32 exec_lo, exec_lo, s7
	v_sub_nc_u32_e32 v25, v59, v13
	v_lshl_add_u32 v15, v13, 3, v51
	v_add_nc_u32_e32 v26, v13, v32
                                        ; implicit-def: $vgpr13_vgpr14
	s_delay_alu instid0(VALU_DEP_3) | instskip(SKIP_1) | instid1(VALU_DEP_3)
	v_lshlrev_b32_e32 v17, 3, v25
	v_cmp_gt_i32_e64 s8, v50, v25
	v_cmp_le_i32_e64 s7, v49, v26
	ds_load_b64 v[9:10], v15
	ds_load_b64 v[11:12], v17
	s_wait_dscnt 0x0
	v_cmp_lt_i64_e64 s6, v[11:12], v[9:10]
	s_or_b32 s6, s7, s6
	s_wait_alu 0xfffe
	s_and_b32 s6, s8, s6
	s_wait_alu 0xfffe
	s_xor_b32 s7, s6, -1
	s_wait_alu 0xfffe
	s_and_saveexec_b32 s8, s7
	s_wait_alu 0xfffe
	s_xor_b32 s7, exec_lo, s8
; %bb.71:                               ;   in Loop: Header=BB137_2 Depth=1
	ds_load_b64 v[13:14], v15 offset:8
                                        ; implicit-def: $vgpr17
; %bb.72:                               ;   in Loop: Header=BB137_2 Depth=1
	s_wait_alu 0xfffe
	s_or_saveexec_b32 s7, s7
	v_dual_mov_b32 v16, v12 :: v_dual_mov_b32 v15, v11
	s_wait_alu 0xfffe
	s_xor_b32 exec_lo, exec_lo, s7
	s_cbranch_execz .LBB137_74
; %bb.73:                               ;   in Loop: Header=BB137_2 Depth=1
	ds_load_b64 v[15:16], v17 offset:8
	s_wait_dscnt 0x1
	v_dual_mov_b32 v14, v10 :: v_dual_mov_b32 v13, v9
.LBB137_74:                             ;   in Loop: Header=BB137_2 Depth=1
	s_or_b32 exec_lo, exec_lo, s7
	v_add_nc_u32_e32 v17, 1, v26
	v_add_nc_u32_e32 v18, 1, v25
	s_wait_dscnt 0x0
	v_cmp_lt_i64_e64 s7, v[15:16], v[13:14]
	s_delay_alu instid0(VALU_DEP_3) | instskip(NEXT) | instid1(VALU_DEP_3)
	v_cndmask_b32_e64 v80, v17, v26, s6
	v_cndmask_b32_e64 v81, v25, v18, s6
                                        ; implicit-def: $vgpr17_vgpr18
	s_delay_alu instid0(VALU_DEP_2) | instskip(NEXT) | instid1(VALU_DEP_2)
	v_cmp_ge_i32_e64 s8, v80, v49
	v_cmp_lt_i32_e64 s9, v81, v50
	s_or_b32 s7, s8, s7
	s_wait_alu 0xfffe
	s_and_b32 s7, s9, s7
	s_wait_alu 0xfffe
	s_xor_b32 s8, s7, -1
	s_wait_alu 0xfffe
	s_and_saveexec_b32 s9, s8
	s_wait_alu 0xfffe
	s_xor_b32 s8, exec_lo, s9
; %bb.75:                               ;   in Loop: Header=BB137_2 Depth=1
	v_lshlrev_b32_e32 v17, 3, v80
	ds_load_b64 v[17:18], v17 offset:8
; %bb.76:                               ;   in Loop: Header=BB137_2 Depth=1
	s_wait_alu 0xfffe
	s_or_saveexec_b32 s8, s8
	v_dual_mov_b32 v20, v16 :: v_dual_mov_b32 v19, v15
	s_wait_alu 0xfffe
	s_xor_b32 exec_lo, exec_lo, s8
	s_cbranch_execz .LBB137_78
; %bb.77:                               ;   in Loop: Header=BB137_2 Depth=1
	s_wait_dscnt 0x0
	v_lshlrev_b32_e32 v17, 3, v81
	ds_load_b64 v[19:20], v17 offset:8
	v_dual_mov_b32 v18, v14 :: v_dual_mov_b32 v17, v13
.LBB137_78:                             ;   in Loop: Header=BB137_2 Depth=1
	s_or_b32 exec_lo, exec_lo, s8
	v_add_nc_u32_e32 v21, 1, v80
	v_add_nc_u32_e32 v22, 1, v81
	s_wait_dscnt 0x0
	v_cmp_lt_i64_e64 s8, v[19:20], v[17:18]
	s_delay_alu instid0(VALU_DEP_3) | instskip(NEXT) | instid1(VALU_DEP_3)
	v_cndmask_b32_e64 v83, v21, v80, s7
	v_cndmask_b32_e64 v82, v81, v22, s7
                                        ; implicit-def: $vgpr21_vgpr22
	s_delay_alu instid0(VALU_DEP_2) | instskip(NEXT) | instid1(VALU_DEP_2)
	v_cmp_ge_i32_e64 s9, v83, v49
	v_cmp_lt_i32_e64 s10, v82, v50
	s_or_b32 s8, s9, s8
	s_wait_alu 0xfffe
	s_and_b32 s8, s10, s8
	s_wait_alu 0xfffe
	s_xor_b32 s9, s8, -1
	s_wait_alu 0xfffe
	s_and_saveexec_b32 s10, s9
	s_wait_alu 0xfffe
	s_xor_b32 s9, exec_lo, s10
; %bb.79:                               ;   in Loop: Header=BB137_2 Depth=1
	v_lshlrev_b32_e32 v21, 3, v83
	ds_load_b64 v[21:22], v21 offset:8
; %bb.80:                               ;   in Loop: Header=BB137_2 Depth=1
	s_wait_alu 0xfffe
	s_or_saveexec_b32 s9, s9
	v_dual_mov_b32 v24, v20 :: v_dual_mov_b32 v23, v19
	s_wait_alu 0xfffe
	s_xor_b32 exec_lo, exec_lo, s9
	s_cbranch_execz .LBB137_82
; %bb.81:                               ;   in Loop: Header=BB137_2 Depth=1
	s_wait_dscnt 0x0
	v_lshlrev_b32_e32 v21, 3, v82
	ds_load_b64 v[23:24], v21 offset:8
	v_dual_mov_b32 v22, v18 :: v_dual_mov_b32 v21, v17
.LBB137_82:                             ;   in Loop: Header=BB137_2 Depth=1
	s_or_b32 exec_lo, exec_lo, s9
	v_add_nc_u32_e32 v84, 1, v83
	v_add_nc_u32_e32 v85, 1, v82
	v_cndmask_b32_e64 v80, v80, v81, s7
	v_cndmask_b32_e64 v25, v26, v25, s6
	s_wait_dscnt 0x0
	v_cmp_lt_i64_e64 s9, v[23:24], v[21:22]
	v_cndmask_b32_e64 v81, v84, v83, s8
	v_cndmask_b32_e64 v26, v82, v85, s8
	;; [unrolled: 1-line block ×3, first 2 shown]
	s_wait_loadcnt 0x0
	s_barrier_signal -1
	v_cmp_ge_i32_e64 s10, v81, v49
	v_cmp_lt_i32_e64 s11, v26, v50
	s_barrier_wait -1
	global_inv scope:SCOPE_SE
	ds_store_2addr_b64 v27, v[5:6], v[7:8] offset1:1
	ds_store_2addr_b64 v27, v[1:2], v[3:4] offset0:2 offset1:3
	s_or_b32 s9, s10, s9
	v_lshlrev_b32_e32 v2, 3, v25
	s_wait_alu 0xfffe
	s_and_b32 s9, s11, s9
	v_lshlrev_b32_e32 v3, 3, v80
	s_wait_alu 0xfffe
	v_cndmask_b32_e64 v1, v81, v26, s9
	v_lshlrev_b32_e32 v4, 3, v86
	v_cndmask_b32_e64 v22, v22, v24, s9
	s_wait_loadcnt_dscnt 0x0
	s_barrier_signal -1
	v_lshlrev_b32_e32 v24, 3, v1
	s_barrier_wait -1
	global_inv scope:SCOPE_SE
	ds_load_b64 v[5:6], v2
	ds_load_b64 v[7:8], v3
	;; [unrolled: 1-line block ×4, first 2 shown]
	v_cndmask_b32_e64 v14, v14, v16, s7
	v_cndmask_b32_e64 v13, v13, v15, s7
	;; [unrolled: 1-line block ×7, first 2 shown]
	s_wait_loadcnt_dscnt 0x0
	s_barrier_signal -1
	s_barrier_wait -1
	global_inv scope:SCOPE_SE
	ds_store_2addr_b64 v27, v[9:10], v[13:14] offset1:1
	ds_store_2addr_b64 v27, v[17:18], v[21:22] offset0:2 offset1:3
	v_mov_b32_e32 v13, v78
	s_wait_loadcnt_dscnt 0x0
	s_barrier_signal -1
	s_barrier_wait -1
	global_inv scope:SCOPE_SE
	s_and_saveexec_b32 s7, s5
	s_cbranch_execz .LBB137_86
; %bb.83:                               ;   in Loop: Header=BB137_2 Depth=1
	v_mov_b32_e32 v13, v78
	v_mov_b32_e32 v9, v72
	s_mov_b32 s8, 0
.LBB137_84:                             ;   Parent Loop BB137_2 Depth=1
                                        ; =>  This Inner Loop Header: Depth=2
	s_delay_alu instid0(VALU_DEP_1) | instskip(NEXT) | instid1(VALU_DEP_1)
	v_sub_nc_u32_e32 v10, v9, v13
	v_lshrrev_b32_e32 v10, 1, v10
	s_delay_alu instid0(VALU_DEP_1) | instskip(NEXT) | instid1(VALU_DEP_1)
	v_add_nc_u32_e32 v12, v10, v13
	v_not_b32_e32 v10, v12
	v_lshl_add_u32 v11, v12, 3, v54
	s_delay_alu instid0(VALU_DEP_2)
	v_lshl_add_u32 v14, v10, 3, v66
	ds_load_b64 v[10:11], v11
	ds_load_b64 v[14:15], v14
	s_wait_dscnt 0x0
	v_cmp_lt_i64_e64 s6, v[14:15], v[10:11]
	v_add_nc_u32_e32 v10, 1, v12
	s_wait_alu 0xf1ff
	s_delay_alu instid0(VALU_DEP_2) | instskip(NEXT) | instid1(VALU_DEP_2)
	v_cndmask_b32_e64 v9, v9, v12, s6
	v_cndmask_b32_e64 v13, v10, v13, s6
	s_delay_alu instid0(VALU_DEP_1)
	v_cmp_ge_i32_e64 s6, v13, v9
	s_wait_alu 0xfffe
	s_or_b32 s8, s6, s8
	s_wait_alu 0xfffe
	s_and_not1_b32 exec_lo, exec_lo, s8
	s_cbranch_execnz .LBB137_84
; %bb.85:                               ;   in Loop: Header=BB137_2 Depth=1
	s_or_b32 exec_lo, exec_lo, s8
.LBB137_86:                             ;   in Loop: Header=BB137_2 Depth=1
	s_wait_alu 0xfffe
	s_or_b32 exec_lo, exec_lo, s7
	v_sub_nc_u32_e32 v25, v60, v13
	v_lshl_add_u32 v15, v13, 3, v54
	v_add_nc_u32_e32 v26, v13, v33
                                        ; implicit-def: $vgpr13_vgpr14
	s_delay_alu instid0(VALU_DEP_3) | instskip(SKIP_1) | instid1(VALU_DEP_3)
	v_lshlrev_b32_e32 v17, 3, v25
	v_cmp_gt_i32_e64 s8, v53, v25
	v_cmp_le_i32_e64 s7, v52, v26
	ds_load_b64 v[9:10], v15
	ds_load_b64 v[11:12], v17
	s_wait_dscnt 0x0
	v_cmp_lt_i64_e64 s6, v[11:12], v[9:10]
	s_or_b32 s6, s7, s6
	s_wait_alu 0xfffe
	s_and_b32 s6, s8, s6
	s_wait_alu 0xfffe
	s_xor_b32 s7, s6, -1
	s_wait_alu 0xfffe
	s_and_saveexec_b32 s8, s7
	s_wait_alu 0xfffe
	s_xor_b32 s7, exec_lo, s8
; %bb.87:                               ;   in Loop: Header=BB137_2 Depth=1
	ds_load_b64 v[13:14], v15 offset:8
                                        ; implicit-def: $vgpr17
; %bb.88:                               ;   in Loop: Header=BB137_2 Depth=1
	s_wait_alu 0xfffe
	s_or_saveexec_b32 s7, s7
	v_dual_mov_b32 v16, v12 :: v_dual_mov_b32 v15, v11
	s_wait_alu 0xfffe
	s_xor_b32 exec_lo, exec_lo, s7
	s_cbranch_execz .LBB137_90
; %bb.89:                               ;   in Loop: Header=BB137_2 Depth=1
	ds_load_b64 v[15:16], v17 offset:8
	s_wait_dscnt 0x1
	v_dual_mov_b32 v14, v10 :: v_dual_mov_b32 v13, v9
.LBB137_90:                             ;   in Loop: Header=BB137_2 Depth=1
	s_or_b32 exec_lo, exec_lo, s7
	v_add_nc_u32_e32 v17, 1, v26
	v_add_nc_u32_e32 v18, 1, v25
	s_wait_dscnt 0x0
	v_cmp_lt_i64_e64 s7, v[15:16], v[13:14]
	s_delay_alu instid0(VALU_DEP_3) | instskip(NEXT) | instid1(VALU_DEP_3)
	v_cndmask_b32_e64 v80, v17, v26, s6
	v_cndmask_b32_e64 v81, v25, v18, s6
                                        ; implicit-def: $vgpr17_vgpr18
	s_delay_alu instid0(VALU_DEP_2) | instskip(NEXT) | instid1(VALU_DEP_2)
	v_cmp_ge_i32_e64 s8, v80, v52
	v_cmp_lt_i32_e64 s9, v81, v53
	s_or_b32 s7, s8, s7
	s_wait_alu 0xfffe
	s_and_b32 s7, s9, s7
	s_wait_alu 0xfffe
	s_xor_b32 s8, s7, -1
	s_wait_alu 0xfffe
	s_and_saveexec_b32 s9, s8
	s_wait_alu 0xfffe
	s_xor_b32 s8, exec_lo, s9
; %bb.91:                               ;   in Loop: Header=BB137_2 Depth=1
	v_lshlrev_b32_e32 v17, 3, v80
	ds_load_b64 v[17:18], v17 offset:8
; %bb.92:                               ;   in Loop: Header=BB137_2 Depth=1
	s_wait_alu 0xfffe
	s_or_saveexec_b32 s8, s8
	v_dual_mov_b32 v20, v16 :: v_dual_mov_b32 v19, v15
	s_wait_alu 0xfffe
	s_xor_b32 exec_lo, exec_lo, s8
	s_cbranch_execz .LBB137_94
; %bb.93:                               ;   in Loop: Header=BB137_2 Depth=1
	s_wait_dscnt 0x0
	v_lshlrev_b32_e32 v17, 3, v81
	ds_load_b64 v[19:20], v17 offset:8
	v_dual_mov_b32 v18, v14 :: v_dual_mov_b32 v17, v13
.LBB137_94:                             ;   in Loop: Header=BB137_2 Depth=1
	s_or_b32 exec_lo, exec_lo, s8
	v_add_nc_u32_e32 v21, 1, v80
	v_add_nc_u32_e32 v22, 1, v81
	s_wait_dscnt 0x0
	v_cmp_lt_i64_e64 s8, v[19:20], v[17:18]
	s_delay_alu instid0(VALU_DEP_3) | instskip(NEXT) | instid1(VALU_DEP_3)
	v_cndmask_b32_e64 v83, v21, v80, s7
	v_cndmask_b32_e64 v82, v81, v22, s7
                                        ; implicit-def: $vgpr21_vgpr22
	s_delay_alu instid0(VALU_DEP_2) | instskip(NEXT) | instid1(VALU_DEP_2)
	v_cmp_ge_i32_e64 s9, v83, v52
	v_cmp_lt_i32_e64 s10, v82, v53
	s_or_b32 s8, s9, s8
	s_wait_alu 0xfffe
	s_and_b32 s8, s10, s8
	s_wait_alu 0xfffe
	s_xor_b32 s9, s8, -1
	s_wait_alu 0xfffe
	s_and_saveexec_b32 s10, s9
	s_wait_alu 0xfffe
	s_xor_b32 s9, exec_lo, s10
; %bb.95:                               ;   in Loop: Header=BB137_2 Depth=1
	v_lshlrev_b32_e32 v21, 3, v83
	ds_load_b64 v[21:22], v21 offset:8
; %bb.96:                               ;   in Loop: Header=BB137_2 Depth=1
	s_wait_alu 0xfffe
	s_or_saveexec_b32 s9, s9
	v_dual_mov_b32 v24, v20 :: v_dual_mov_b32 v23, v19
	s_wait_alu 0xfffe
	s_xor_b32 exec_lo, exec_lo, s9
	s_cbranch_execz .LBB137_98
; %bb.97:                               ;   in Loop: Header=BB137_2 Depth=1
	s_wait_dscnt 0x0
	v_lshlrev_b32_e32 v21, 3, v82
	ds_load_b64 v[23:24], v21 offset:8
	v_dual_mov_b32 v22, v18 :: v_dual_mov_b32 v21, v17
.LBB137_98:                             ;   in Loop: Header=BB137_2 Depth=1
	s_or_b32 exec_lo, exec_lo, s9
	v_add_nc_u32_e32 v84, 1, v83
	v_add_nc_u32_e32 v85, 1, v82
	v_cndmask_b32_e64 v80, v80, v81, s7
	v_cndmask_b32_e64 v13, v13, v15, s7
	v_mov_b32_e32 v15, v34
	v_cndmask_b32_e64 v81, v84, v83, s8
	v_cndmask_b32_e64 v25, v26, v25, s6
	;; [unrolled: 1-line block ×3, first 2 shown]
	s_wait_dscnt 0x0
	v_cmp_lt_i64_e64 s9, v[23:24], v[21:22]
	v_cndmask_b32_e64 v86, v83, v82, s8
	v_cmp_ge_i32_e64 s10, v81, v52
	s_wait_loadcnt 0x0
	v_cmp_lt_i32_e64 s11, v26, v53
	s_barrier_signal -1
	s_barrier_wait -1
	s_or_b32 s9, s10, s9
	global_inv scope:SCOPE_SE
	s_wait_alu 0xfffe
	s_and_b32 s9, s11, s9
	ds_store_2addr_b64 v27, v[5:6], v[7:8] offset1:1
	ds_store_2addr_b64 v27, v[1:2], v[3:4] offset0:2 offset1:3
	s_wait_alu 0xfffe
	v_cndmask_b32_e64 v1, v81, v26, s9
	v_lshlrev_b32_e32 v2, 3, v25
	v_lshlrev_b32_e32 v3, 3, v80
	;; [unrolled: 1-line block ×3, first 2 shown]
	v_cndmask_b32_e64 v22, v22, v24, s9
	v_lshlrev_b32_e32 v24, 3, v1
	s_wait_loadcnt_dscnt 0x0
	s_barrier_signal -1
	s_barrier_wait -1
	global_inv scope:SCOPE_SE
	ds_load_b64 v[5:6], v2
	ds_load_b64 v[7:8], v3
	;; [unrolled: 1-line block ×4, first 2 shown]
	v_cndmask_b32_e64 v14, v14, v16, s7
	v_cndmask_b32_e64 v10, v10, v12, s6
	v_cndmask_b32_e64 v9, v9, v11, s6
	v_cndmask_b32_e64 v18, v18, v20, s8
	v_cndmask_b32_e64 v17, v17, v19, s8
	v_cndmask_b32_e64 v21, v21, v23, s9
	s_wait_loadcnt_dscnt 0x0
	s_barrier_signal -1
	s_barrier_wait -1
	global_inv scope:SCOPE_SE
	ds_store_2addr_b64 v27, v[9:10], v[13:14] offset1:1
	ds_store_2addr_b64 v27, v[17:18], v[21:22] offset0:2 offset1:3
	s_wait_loadcnt_dscnt 0x0
	s_barrier_signal -1
	s_barrier_wait -1
	global_inv scope:SCOPE_SE
	s_and_saveexec_b32 s7, vcc_lo
	s_cbranch_execz .LBB137_102
; %bb.99:                               ;   in Loop: Header=BB137_2 Depth=1
	v_mov_b32_e32 v15, v34
	v_mov_b32_e32 v9, v35
	s_mov_b32 s8, 0
.LBB137_100:                            ;   Parent Loop BB137_2 Depth=1
                                        ; =>  This Inner Loop Header: Depth=2
	s_delay_alu instid0(VALU_DEP_1) | instskip(NEXT) | instid1(VALU_DEP_1)
	v_sub_nc_u32_e32 v10, v9, v15
	v_lshrrev_b32_e32 v10, 1, v10
	s_delay_alu instid0(VALU_DEP_1) | instskip(NEXT) | instid1(VALU_DEP_1)
	v_add_nc_u32_e32 v14, v10, v15
	v_not_b32_e32 v10, v14
	v_lshlrev_b32_e32 v11, 3, v14
	s_delay_alu instid0(VALU_DEP_2)
	v_lshl_add_u32 v12, v10, 3, v79
	ds_load_b64 v[10:11], v11
	ds_load_b64 v[12:13], v12
	s_wait_dscnt 0x0
	v_cmp_lt_i64_e64 s6, v[12:13], v[10:11]
	v_add_nc_u32_e32 v10, 1, v14
	s_wait_alu 0xf1ff
	s_delay_alu instid0(VALU_DEP_2) | instskip(NEXT) | instid1(VALU_DEP_2)
	v_cndmask_b32_e64 v9, v9, v14, s6
	v_cndmask_b32_e64 v15, v10, v15, s6
	s_delay_alu instid0(VALU_DEP_1)
	v_cmp_ge_i32_e64 s6, v15, v9
	s_wait_alu 0xfffe
	s_or_b32 s8, s6, s8
	s_wait_alu 0xfffe
	s_and_not1_b32 exec_lo, exec_lo, s8
	s_cbranch_execnz .LBB137_100
; %bb.101:                              ;   in Loop: Header=BB137_2 Depth=1
	s_or_b32 exec_lo, exec_lo, s8
.LBB137_102:                            ;   in Loop: Header=BB137_2 Depth=1
	s_wait_alu 0xfffe
	s_or_b32 exec_lo, exec_lo, s7
	v_sub_nc_u32_e32 v16, v36, v15
	v_lshlrev_b32_e32 v10, 3, v15
	v_cmp_le_i32_e64 s7, 0x100, v15
                                        ; implicit-def: $vgpr17_vgpr18
	s_delay_alu instid0(VALU_DEP_3)
	v_lshlrev_b32_e32 v9, 3, v16
	v_cmp_gt_i32_e64 s8, 0x200, v16
	ds_load_b64 v[11:12], v10
	ds_load_b64 v[13:14], v9
	s_wait_dscnt 0x0
	v_cmp_lt_i64_e64 s6, v[13:14], v[11:12]
	s_or_b32 s6, s7, s6
	s_wait_alu 0xfffe
	s_and_b32 s6, s8, s6
	s_wait_alu 0xfffe
	s_xor_b32 s7, s6, -1
	s_wait_alu 0xfffe
	s_and_saveexec_b32 s8, s7
	s_wait_alu 0xfffe
	s_xor_b32 s7, exec_lo, s8
; %bb.103:                              ;   in Loop: Header=BB137_2 Depth=1
	ds_load_b64 v[17:18], v10 offset:8
                                        ; implicit-def: $vgpr9
; %bb.104:                              ;   in Loop: Header=BB137_2 Depth=1
	s_wait_alu 0xfffe
	s_or_saveexec_b32 s7, s7
	v_dual_mov_b32 v20, v14 :: v_dual_mov_b32 v19, v13
	s_wait_alu 0xfffe
	s_xor_b32 exec_lo, exec_lo, s7
	s_cbranch_execz .LBB137_106
; %bb.105:                              ;   in Loop: Header=BB137_2 Depth=1
	ds_load_b64 v[19:20], v9 offset:8
	s_wait_dscnt 0x1
	v_dual_mov_b32 v18, v12 :: v_dual_mov_b32 v17, v11
.LBB137_106:                            ;   in Loop: Header=BB137_2 Depth=1
	s_or_b32 exec_lo, exec_lo, s7
	v_add_nc_u32_e32 v9, 1, v15
	v_add_nc_u32_e32 v10, 1, v16
	s_wait_dscnt 0x0
	v_cmp_lt_i64_e64 s7, v[19:20], v[17:18]
                                        ; implicit-def: $vgpr21_vgpr22
	s_delay_alu instid0(VALU_DEP_3) | instskip(NEXT) | instid1(VALU_DEP_3)
	v_cndmask_b32_e64 v80, v9, v15, s6
	v_cndmask_b32_e64 v81, v16, v10, s6
	s_delay_alu instid0(VALU_DEP_2) | instskip(NEXT) | instid1(VALU_DEP_2)
	v_cmp_le_i32_e64 s8, 0x100, v80
	v_cmp_gt_i32_e64 s9, 0x200, v81
	s_or_b32 s7, s8, s7
	s_wait_alu 0xfffe
	s_and_b32 s7, s9, s7
	s_wait_alu 0xfffe
	s_xor_b32 s8, s7, -1
	s_wait_alu 0xfffe
	s_and_saveexec_b32 s9, s8
	s_wait_alu 0xfffe
	s_xor_b32 s8, exec_lo, s9
; %bb.107:                              ;   in Loop: Header=BB137_2 Depth=1
	v_lshlrev_b32_e32 v9, 3, v80
	ds_load_b64 v[21:22], v9 offset:8
; %bb.108:                              ;   in Loop: Header=BB137_2 Depth=1
	s_wait_alu 0xfffe
	s_or_saveexec_b32 s8, s8
	v_dual_mov_b32 v24, v20 :: v_dual_mov_b32 v23, v19
	s_wait_alu 0xfffe
	s_xor_b32 exec_lo, exec_lo, s8
	s_cbranch_execz .LBB137_110
; %bb.109:                              ;   in Loop: Header=BB137_2 Depth=1
	s_wait_dscnt 0x0
	v_dual_mov_b32 v22, v18 :: v_dual_lshlrev_b32 v9, 3, v81
	v_mov_b32_e32 v21, v17
	ds_load_b64 v[23:24], v9 offset:8
.LBB137_110:                            ;   in Loop: Header=BB137_2 Depth=1
	s_or_b32 exec_lo, exec_lo, s8
	v_add_nc_u32_e32 v9, 1, v80
	v_add_nc_u32_e32 v10, 1, v81
	s_wait_dscnt 0x0
	v_cmp_lt_i64_e64 s8, v[23:24], v[21:22]
                                        ; implicit-def: $vgpr84
	s_delay_alu instid0(VALU_DEP_3) | instskip(NEXT) | instid1(VALU_DEP_3)
	v_cndmask_b32_e64 v85, v9, v80, s7
	v_cndmask_b32_e64 v82, v81, v10, s7
                                        ; implicit-def: $vgpr9_vgpr10
	s_delay_alu instid0(VALU_DEP_2) | instskip(NEXT) | instid1(VALU_DEP_2)
	v_cmp_le_i32_e64 s9, 0x100, v85
	v_cmp_gt_i32_e64 s10, 0x200, v82
	s_or_b32 s8, s9, s8
	s_wait_alu 0xfffe
	s_and_b32 s8, s10, s8
	s_wait_alu 0xfffe
	s_xor_b32 s9, s8, -1
	s_wait_alu 0xfffe
	s_and_saveexec_b32 s10, s9
	s_wait_alu 0xfffe
	s_xor_b32 s9, exec_lo, s10
; %bb.111:                              ;   in Loop: Header=BB137_2 Depth=1
	v_lshlrev_b32_e32 v9, 3, v85
	v_add_nc_u32_e32 v84, 1, v85
	ds_load_b64 v[9:10], v9 offset:8
; %bb.112:                              ;   in Loop: Header=BB137_2 Depth=1
	s_wait_alu 0xfffe
	s_or_saveexec_b32 s9, s9
	v_dual_mov_b32 v83, v85 :: v_dual_mov_b32 v26, v24
	v_mov_b32_e32 v25, v23
	s_wait_alu 0xfffe
	s_xor_b32 exec_lo, exec_lo, s9
	s_cbranch_execz .LBB137_1
; %bb.113:                              ;   in Loop: Header=BB137_2 Depth=1
	s_wait_dscnt 0x0
	v_dual_mov_b32 v84, v85 :: v_dual_lshlrev_b32 v9, 3, v82
	ds_load_b64 v[25:26], v9 offset:8
	v_add_nc_u32_e32 v9, 1, v82
	s_delay_alu instid0(VALU_DEP_1)
	v_dual_mov_b32 v83, v82 :: v_dual_mov_b32 v82, v9
	v_dual_mov_b32 v9, v21 :: v_dual_mov_b32 v10, v22
	s_branch .LBB137_1
.LBB137_114:
	s_wait_dscnt 0x3
	v_add_co_u32 v7, vcc_lo, v15, v7
	s_delay_alu instid0(VALU_DEP_1)
	v_add_co_ci_u32_e64 v8, null, v16, v8, vcc_lo
	s_wait_dscnt 0x2
	v_add_co_u32 v5, vcc_lo, v13, v5
	s_wait_alu 0xfffd
	v_add_co_ci_u32_e64 v6, null, v14, v6, vcc_lo
	s_wait_dscnt 0x1
	v_add_co_u32 v3, vcc_lo, v11, v3
	v_lshlrev_b32_e32 v11, 3, v0
	s_wait_alu 0xfffd
	v_add_co_ci_u32_e64 v4, null, v12, v4, vcc_lo
	s_wait_dscnt 0x0
	v_add_co_u32 v0, vcc_lo, v9, v1
	s_wait_alu 0xfffd
	v_add_co_ci_u32_e64 v1, null, v10, v2, vcc_lo
	s_add_nc_u64 s[0:1], s[18:19], s[20:21]
	s_clause 0x3
	global_store_b64 v11, v[7:8], s[0:1]
	global_store_b64 v11, v[5:6], s[0:1] offset:1024
	global_store_b64 v11, v[3:4], s[0:1] offset:2048
	;; [unrolled: 1-line block ×3, first 2 shown]
	s_endpgm
	.section	.rodata,"a",@progbits
	.p2align	6, 0x0
	.amdhsa_kernel _Z17sort_pairs_kernelIxLj128ELj4EN10test_utils4lessELj10EEvPKT_PS2_T2_
		.amdhsa_group_segment_fixed_size 4104
		.amdhsa_private_segment_fixed_size 0
		.amdhsa_kernarg_size 20
		.amdhsa_user_sgpr_count 2
		.amdhsa_user_sgpr_dispatch_ptr 0
		.amdhsa_user_sgpr_queue_ptr 0
		.amdhsa_user_sgpr_kernarg_segment_ptr 1
		.amdhsa_user_sgpr_dispatch_id 0
		.amdhsa_user_sgpr_private_segment_size 0
		.amdhsa_wavefront_size32 1
		.amdhsa_uses_dynamic_stack 0
		.amdhsa_enable_private_segment 0
		.amdhsa_system_sgpr_workgroup_id_x 1
		.amdhsa_system_sgpr_workgroup_id_y 0
		.amdhsa_system_sgpr_workgroup_id_z 0
		.amdhsa_system_sgpr_workgroup_info 0
		.amdhsa_system_vgpr_workitem_id 0
		.amdhsa_next_free_vgpr 88
		.amdhsa_next_free_sgpr 24
		.amdhsa_reserve_vcc 1
		.amdhsa_float_round_mode_32 0
		.amdhsa_float_round_mode_16_64 0
		.amdhsa_float_denorm_mode_32 3
		.amdhsa_float_denorm_mode_16_64 3
		.amdhsa_fp16_overflow 0
		.amdhsa_workgroup_processor_mode 1
		.amdhsa_memory_ordered 1
		.amdhsa_forward_progress 1
		.amdhsa_inst_pref_size 66
		.amdhsa_round_robin_scheduling 0
		.amdhsa_exception_fp_ieee_invalid_op 0
		.amdhsa_exception_fp_denorm_src 0
		.amdhsa_exception_fp_ieee_div_zero 0
		.amdhsa_exception_fp_ieee_overflow 0
		.amdhsa_exception_fp_ieee_underflow 0
		.amdhsa_exception_fp_ieee_inexact 0
		.amdhsa_exception_int_div_zero 0
	.end_amdhsa_kernel
	.section	.text._Z17sort_pairs_kernelIxLj128ELj4EN10test_utils4lessELj10EEvPKT_PS2_T2_,"axG",@progbits,_Z17sort_pairs_kernelIxLj128ELj4EN10test_utils4lessELj10EEvPKT_PS2_T2_,comdat
.Lfunc_end137:
	.size	_Z17sort_pairs_kernelIxLj128ELj4EN10test_utils4lessELj10EEvPKT_PS2_T2_, .Lfunc_end137-_Z17sort_pairs_kernelIxLj128ELj4EN10test_utils4lessELj10EEvPKT_PS2_T2_
                                        ; -- End function
	.set _Z17sort_pairs_kernelIxLj128ELj4EN10test_utils4lessELj10EEvPKT_PS2_T2_.num_vgpr, 88
	.set _Z17sort_pairs_kernelIxLj128ELj4EN10test_utils4lessELj10EEvPKT_PS2_T2_.num_agpr, 0
	.set _Z17sort_pairs_kernelIxLj128ELj4EN10test_utils4lessELj10EEvPKT_PS2_T2_.numbered_sgpr, 24
	.set _Z17sort_pairs_kernelIxLj128ELj4EN10test_utils4lessELj10EEvPKT_PS2_T2_.num_named_barrier, 0
	.set _Z17sort_pairs_kernelIxLj128ELj4EN10test_utils4lessELj10EEvPKT_PS2_T2_.private_seg_size, 0
	.set _Z17sort_pairs_kernelIxLj128ELj4EN10test_utils4lessELj10EEvPKT_PS2_T2_.uses_vcc, 1
	.set _Z17sort_pairs_kernelIxLj128ELj4EN10test_utils4lessELj10EEvPKT_PS2_T2_.uses_flat_scratch, 0
	.set _Z17sort_pairs_kernelIxLj128ELj4EN10test_utils4lessELj10EEvPKT_PS2_T2_.has_dyn_sized_stack, 0
	.set _Z17sort_pairs_kernelIxLj128ELj4EN10test_utils4lessELj10EEvPKT_PS2_T2_.has_recursion, 0
	.set _Z17sort_pairs_kernelIxLj128ELj4EN10test_utils4lessELj10EEvPKT_PS2_T2_.has_indirect_call, 0
	.section	.AMDGPU.csdata,"",@progbits
; Kernel info:
; codeLenInByte = 8420
; TotalNumSgprs: 26
; NumVgprs: 88
; ScratchSize: 0
; MemoryBound: 0
; FloatMode: 240
; IeeeMode: 1
; LDSByteSize: 4104 bytes/workgroup (compile time only)
; SGPRBlocks: 0
; VGPRBlocks: 10
; NumSGPRsForWavesPerEU: 26
; NumVGPRsForWavesPerEU: 88
; Occupancy: 16
; WaveLimiterHint : 1
; COMPUTE_PGM_RSRC2:SCRATCH_EN: 0
; COMPUTE_PGM_RSRC2:USER_SGPR: 2
; COMPUTE_PGM_RSRC2:TRAP_HANDLER: 0
; COMPUTE_PGM_RSRC2:TGID_X_EN: 1
; COMPUTE_PGM_RSRC2:TGID_Y_EN: 0
; COMPUTE_PGM_RSRC2:TGID_Z_EN: 0
; COMPUTE_PGM_RSRC2:TIDIG_COMP_CNT: 0
	.section	.text._Z16sort_keys_kernelIxLj128ELj8EN10test_utils4lessELj10EEvPKT_PS2_T2_,"axG",@progbits,_Z16sort_keys_kernelIxLj128ELj8EN10test_utils4lessELj10EEvPKT_PS2_T2_,comdat
	.protected	_Z16sort_keys_kernelIxLj128ELj8EN10test_utils4lessELj10EEvPKT_PS2_T2_ ; -- Begin function _Z16sort_keys_kernelIxLj128ELj8EN10test_utils4lessELj10EEvPKT_PS2_T2_
	.globl	_Z16sort_keys_kernelIxLj128ELj8EN10test_utils4lessELj10EEvPKT_PS2_T2_
	.p2align	8
	.type	_Z16sort_keys_kernelIxLj128ELj8EN10test_utils4lessELj10EEvPKT_PS2_T2_,@function
_Z16sort_keys_kernelIxLj128ELj8EN10test_utils4lessELj10EEvPKT_PS2_T2_: ; @_Z16sort_keys_kernelIxLj128ELj8EN10test_utils4lessELj10EEvPKT_PS2_T2_
; %bb.0:
	s_load_b128 s[16:19], s[0:1], 0x0
	s_lshl_b32 s14, ttmp9, 10
	s_mov_b32 s15, 0
	v_lshlrev_b32_e32 v17, 3, v0
	s_lshl_b64 s[20:21], s[14:15], 3
	v_lshlrev_b32_e32 v41, 6, v0
	s_delay_alu instid0(VALU_DEP_2)
	v_and_b32_e32 v37, 0x3f0, v17
	v_and_b32_e32 v18, 8, v17
	;; [unrolled: 1-line block ×5, first 2 shown]
	v_or_b32_e32 v38, 8, v37
	v_add_nc_u32_e32 v39, 16, v37
	v_or_b32_e32 v42, 16, v40
	v_add_nc_u32_e32 v43, 32, v40
	;; [unrolled: 2-line block ×3, first 2 shown]
	v_sub_nc_u32_e32 v19, v39, v38
	s_wait_kmcnt 0x0
	s_add_nc_u64 s[0:1], s[16:17], s[20:21]
	v_sub_nc_u32_e32 v22, v42, v40
	s_clause 0x7
	global_load_b64 v[11:12], v17, s[0:1]
	global_load_b64 v[15:16], v17, s[0:1] offset:1024
	global_load_b64 v[5:6], v17, s[0:1] offset:2048
	global_load_b64 v[9:10], v17, s[0:1] offset:3072
	global_load_b64 v[1:2], v17, s[0:1] offset:4096
	global_load_b64 v[13:14], v17, s[0:1] offset:5120
	global_load_b64 v[3:4], v17, s[0:1] offset:6144
	global_load_b64 v[7:8], v17, s[0:1] offset:7168
	v_or_b32_e32 v56, 64, v54
	v_sub_nc_u32_e32 v20, v18, v19
	v_cmp_ge_i32_e32 vcc_lo, v18, v19
	v_and_b32_e32 v19, 24, v17
	v_add_nc_u32_e32 v57, 0x80, v54
	v_sub_nc_u32_e32 v23, v49, v47
	v_dual_cndmask_b32 v44, 0, v20 :: v_dual_and_b32 v61, 0x300, v17
	v_sub_nc_u32_e32 v21, v38, v37
	v_sub_nc_u32_e32 v20, v43, v42
	v_min_i32_e32 v52, v19, v22
	s_delay_alu instid0(VALU_DEP_4)
	v_or_b32_e32 v63, 0x80, v61
	v_add_nc_u32_e32 v64, 0x100, v61
	v_min_i32_e32 v45, v18, v21
	v_sub_nc_u32_e32 v21, v19, v20
	v_cmp_ge_i32_e64 s0, v19, v20
	v_and_b32_e32 v20, 56, v17
	v_and_b32_e32 v66, 0x200, v17
	v_sub_nc_u32_e32 v24, v56, v54
	v_and_b32_e32 v26, 0x1f8, v17
	v_cndmask_b32_e64 v51, 0, v21, s0
	v_sub_nc_u32_e32 v21, v50, v49
	v_min_i32_e32 v59, v20, v23
	v_or_b32_e32 v69, 0x100, v66
	v_add_nc_u32_e32 v70, 0x200, v66
	v_add_nc_u32_e32 v48, v38, v18
	v_sub_nc_u32_e32 v22, v20, v21
	v_cmp_ge_i32_e64 s1, v20, v21
	v_and_b32_e32 v21, 0x78, v17
	v_sub_nc_u32_e32 v27, v70, v69
	v_sub_nc_u32_e32 v25, v63, v61
	v_lshlrev_b32_e32 v18, 3, v18
	s_wait_alu 0xf1ff
	v_cndmask_b32_e64 v58, 0, v22, s1
	v_sub_nc_u32_e32 v22, v57, v56
	v_min_i32_e32 v67, v21, v24
	v_cmp_ge_i32_e64 s4, v26, v27
	v_add_nc_u32_e32 v55, v42, v19
	v_add_nc_u32_e32 v62, v49, v20
	v_sub_nc_u32_e32 v23, v21, v22
	v_cmp_ge_i32_e64 s2, v21, v22
	v_and_b32_e32 v22, 0xf8, v17
	v_add_nc_u32_e32 v73, v56, v21
	v_subrev_nc_u32_e64 v78, 0x200, v17 clamp
	v_min_i32_e32 v79, 0x200, v17
	v_cndmask_b32_e64 v65, 0, v23, s2
	v_sub_nc_u32_e32 v23, v64, v63
	v_min_i32_e32 v72, v22, v25
	v_add_nc_u32_e32 v82, 0x200, v17
	v_lshl_add_u32 v83, v38, 3, v18
	v_lshlrev_b32_e32 v17, 3, v19
	v_sub_nc_u32_e32 v24, v22, v23
	v_cmp_ge_i32_e64 s3, v22, v23
	v_sub_nc_u32_e32 v23, v26, v27
	v_lshlrev_b32_e32 v18, 3, v20
	v_lshlrev_b32_e32 v19, 3, v21
	;; [unrolled: 1-line block ×3, first 2 shown]
	s_wait_alu 0xf1ff
	v_cndmask_b32_e64 v71, 0, v24, s3
	v_sub_nc_u32_e32 v24, v69, v66
	v_cndmask_b32_e64 v76, 0, v23, s4
	v_lshlrev_b32_e32 v21, 3, v26
	v_lshlrev_b32_e32 v46, 3, v37
	v_lshlrev_b32_e32 v53, 3, v40
	v_min_i32_e32 v77, v26, v24
	v_cmp_lt_i32_e64 s0, v51, v52
	v_lshlrev_b32_e32 v60, 3, v47
	v_cmp_lt_i32_e64 s1, v58, v59
	v_lshlrev_b32_e32 v68, 3, v54
	;; [unrolled: 2-line block ×3, first 2 shown]
	v_cmp_lt_i32_e64 s3, v71, v72
	v_add_nc_u32_e32 v75, v63, v22
	v_lshlrev_b32_e32 v80, 3, v66
	v_cmp_lt_i32_e64 s4, v76, v77
	v_add_nc_u32_e32 v81, v69, v26
	v_cmp_lt_i32_e64 s5, v78, v79
	v_lshl_add_u32 v84, v42, 3, v17
	v_lshl_add_u32 v85, v49, 3, v18
	;; [unrolled: 1-line block ×5, first 2 shown]
	v_add_nc_u32_e32 v89, 0x1000, v41
	v_cmp_lt_i32_e32 vcc_lo, v44, v45
	s_branch .LBB138_2
.LBB138_1:                              ;   in Loop: Header=BB138_2 Depth=1
	s_or_b32 exec_lo, exec_lo, s13
	v_cndmask_b32_e64 v12, v2, v4, s6
	v_cndmask_b32_e64 v11, v1, v3, s6
	s_wait_dscnt 0x0
	v_cmp_lt_i64_e64 s6, v[35:36], v[33:34]
	v_cndmask_b32_e64 v16, v6, v8, s7
	v_cndmask_b32_e64 v15, v5, v7, s7
	v_cmp_le_i32_e64 s7, 0x200, v91
	v_cndmask_b32_e64 v6, v10, v14, s8
	v_cndmask_b32_e64 v5, v9, v13, s8
	v_cmp_gt_i32_e64 s8, 0x400, v90
	v_cndmask_b32_e64 v10, v18, v20, s9
	s_or_b32 s6, s7, s6
	v_cndmask_b32_e64 v9, v17, v19, s9
	v_cndmask_b32_e64 v2, v22, v24, s10
	s_wait_alu 0xfffe
	s_and_b32 s6, s8, s6
	v_cndmask_b32_e64 v1, v21, v23, s10
	v_cndmask_b32_e64 v14, v26, v28, s11
	;; [unrolled: 1-line block ×5, first 2 shown]
	s_wait_alu 0xfffe
	v_cndmask_b32_e64 v8, v34, v36, s6
	v_cndmask_b32_e64 v7, v33, v35, s6
	s_add_co_i32 s15, s15, 1
	s_delay_alu instid0(SALU_CYCLE_1)
	s_cmp_eq_u32 s15, 10
	s_cbranch_scc1 .LBB138_226
.LBB138_2:                              ; =>This Loop Header: Depth=1
                                        ;     Child Loop BB138_4 Depth 2
                                        ;     Child Loop BB138_36 Depth 2
	;; [unrolled: 1-line block ×7, first 2 shown]
	s_wait_loadcnt 0x6
	v_cmp_lt_i64_e64 s6, v[15:16], v[11:12]
	v_cmp_gt_i64_e64 s7, v[15:16], v[11:12]
	s_wait_loadcnt 0x4
	v_cmp_lt_i64_e64 s8, v[9:10], v[5:6]
	s_wait_loadcnt 0x0
	s_barrier_signal -1
	s_barrier_wait -1
	s_wait_alu 0xf1ff
	v_cndmask_b32_e64 v18, v12, v16, s6
	v_cndmask_b32_e64 v17, v11, v15, s6
	;; [unrolled: 1-line block ×4, first 2 shown]
	v_cmp_gt_i64_e64 s6, v[9:10], v[5:6]
	v_cndmask_b32_e64 v12, v12, v16, s7
	v_cndmask_b32_e64 v11, v11, v15, s7
	;; [unrolled: 1-line block ×5, first 2 shown]
	v_cmp_lt_i64_e64 s7, v[13:14], v[1:2]
	v_cndmask_b32_e64 v22, v10, v6, s8
	s_wait_alu 0xf1ff
	v_cndmask_b32_e64 v6, v6, v10, s6
	v_cndmask_b32_e64 v5, v5, v9, s6
	v_cmp_gt_i64_e64 s6, v[13:14], v[1:2]
	v_cmp_lt_i64_e64 s8, v[7:8], v[3:4]
	v_cndmask_b32_e64 v10, v2, v14, s7
	v_cndmask_b32_e64 v9, v1, v13, s7
	;; [unrolled: 1-line block ×4, first 2 shown]
	s_wait_alu 0xf1ff
	v_cndmask_b32_e64 v2, v2, v14, s6
	v_cndmask_b32_e64 v1, v1, v13, s6
	v_cmp_gt_i64_e64 s6, v[7:8], v[3:4]
	v_cndmask_b32_e64 v14, v4, v8, s8
	v_cndmask_b32_e64 v13, v3, v7, s8
	;; [unrolled: 1-line block ×4, first 2 shown]
	v_cmp_lt_i64_e64 s7, v[15:16], v[11:12]
	s_wait_alu 0xf1ff
	v_cndmask_b32_e64 v4, v4, v8, s6
	v_cndmask_b32_e64 v3, v3, v7, s6
	v_cmp_gt_i64_e64 s6, v[15:16], v[11:12]
	v_cmp_lt_i64_e64 s8, v[9:10], v[5:6]
	global_inv scope:SCOPE_SE
	v_cndmask_b32_e64 v27, v16, v12, s7
	v_cndmask_b32_e64 v28, v15, v11, s7
	;; [unrolled: 1-line block ×3, first 2 shown]
	s_wait_alu 0xf1ff
	v_cndmask_b32_e64 v8, v12, v16, s6
	v_cndmask_b32_e64 v7, v11, v15, s6
	v_cmp_gt_i64_e64 s6, v[9:10], v[5:6]
	v_cndmask_b32_e64 v19, v19, v15, s7
	v_cndmask_b32_e64 v29, v11, v15, s7
	;; [unrolled: 1-line block ×3, first 2 shown]
	v_cmp_lt_i64_e64 s7, v[13:14], v[1:2]
	v_cndmask_b32_e64 v31, v10, v6, s8
	s_wait_alu 0xf1ff
	v_cndmask_b32_e64 v12, v6, v10, s6
	v_cndmask_b32_e64 v11, v5, v9, s6
	v_cmp_gt_i64_e64 s6, v[13:14], v[1:2]
	v_cndmask_b32_e64 v32, v9, v5, s8
	v_cndmask_b32_e64 v6, v6, v10, s8
	;; [unrolled: 1-line block ×9, first 2 shown]
	v_cmp_lt_i64_e64 s8, v[15:16], v[17:18]
	s_wait_alu 0xf1ff
	v_cndmask_b32_e64 v35, v1, v13, s6
	v_cndmask_b32_e64 v36, v2, v14, s6
	;; [unrolled: 1-line block ×4, first 2 shown]
	v_cmp_lt_i64_e64 s6, v[5:6], v[7:8]
	v_cmp_gt_i64_e64 s7, v[5:6], v[7:8]
	v_cndmask_b32_e64 v14, v18, v30, s8
	v_cndmask_b32_e64 v13, v17, v29, s8
	;; [unrolled: 1-line block ×6, first 2 shown]
	s_wait_alu 0xf1ff
	v_cndmask_b32_e64 v21, v21, v7, s6
	v_cndmask_b32_e64 v22, v22, v8, s6
	;; [unrolled: 1-line block ×5, first 2 shown]
	v_cmp_lt_i64_e64 s8, v[9:10], v[11:12]
	v_cndmask_b32_e64 v17, v7, v5, s7
	v_cndmask_b32_e64 v6, v8, v6, s6
	;; [unrolled: 1-line block ×3, first 2 shown]
	v_cmp_gt_i64_e64 s6, v[9:10], v[11:12]
	v_cmp_gt_i64_e64 s7, v[1:2], v[3:4]
	s_wait_alu 0xf1ff
	v_cndmask_b32_e64 v29, v32, v9, s8
	v_cndmask_b32_e64 v30, v31, v10, s8
	;; [unrolled: 1-line block ×11, first 2 shown]
	v_cmp_lt_i64_e64 s6, v[5:6], v[15:16]
	v_cndmask_b32_e64 v9, v3, v35, s7
	v_cndmask_b32_e64 v4, v36, v4, s7
	;; [unrolled: 1-line block ×3, first 2 shown]
	v_cmp_gt_i64_e64 s7, v[5:6], v[15:16]
	v_cndmask_b32_e64 v23, v23, v11, s8
	v_cndmask_b32_e64 v24, v24, v12, s8
	s_wait_alu 0xf1ff
	v_cndmask_b32_e64 v27, v27, v16, s6
	v_cndmask_b32_e64 v28, v28, v15, s6
	;; [unrolled: 1-line block ×8, first 2 shown]
	v_cmp_gt_i64_e64 s6, v[7:8], v[17:18]
	v_cmp_lt_i64_e64 s8, v[7:8], v[17:18]
	v_cmp_lt_i64_e64 s7, v[3:4], v[1:2]
	s_wait_alu 0xf1ff
	s_delay_alu instid0(VALU_DEP_3)
	v_cndmask_b32_e64 v16, v18, v8, s6
	v_cndmask_b32_e64 v15, v17, v7, s6
	v_cmp_gt_i64_e64 s6, v[3:4], v[1:2]
	v_cndmask_b32_e64 v30, v30, v18, s8
	v_cndmask_b32_e64 v29, v29, v17, s8
	;; [unrolled: 1-line block ×6, first 2 shown]
	s_wait_alu 0xf1ff
	v_cndmask_b32_e64 v18, v2, v4, s6
	v_cmp_lt_i64_e64 s8, v[5:6], v[13:14]
	v_cndmask_b32_e64 v17, v1, v3, s6
	v_cmp_gt_i64_e64 s6, v[5:6], v[13:14]
	v_cndmask_b32_e64 v32, v32, v2, s7
	v_cndmask_b32_e64 v31, v31, v1, s7
	;; [unrolled: 1-line block ×6, first 2 shown]
	s_wait_alu 0xf1ff
	v_cndmask_b32_e64 v4, v14, v6, s8
	v_cndmask_b32_e64 v3, v13, v5, s8
	;; [unrolled: 1-line block ×4, first 2 shown]
	v_cmp_gt_i64_e64 s6, v[7:8], v[11:12]
	v_cndmask_b32_e64 v19, v19, v13, s8
	v_cndmask_b32_e64 v20, v20, v14, s8
	v_cmp_lt_i64_e64 s7, v[7:8], v[11:12]
	v_cmp_lt_i64_e64 s8, v[1:2], v[15:16]
	s_wait_alu 0xf1ff
	v_cndmask_b32_e64 v14, v12, v8, s6
	v_cndmask_b32_e64 v13, v11, v7, s6
	v_cmp_gt_i64_e64 s6, v[1:2], v[15:16]
	v_cndmask_b32_e64 v21, v21, v11, s7
	v_cndmask_b32_e64 v22, v22, v12, s7
	v_cndmask_b32_e64 v28, v28, v7, s7
	v_cndmask_b32_e64 v27, v27, v8, s7
	v_cndmask_b32_e64 v8, v12, v8, s7
	v_cndmask_b32_e64 v7, v11, v7, s7
	s_wait_alu 0xf1ff
	v_cndmask_b32_e64 v12, v16, v2, s6
	v_cndmask_b32_e64 v11, v15, v1, s6
	v_cmp_gt_i64_e64 s6, v[9:10], v[17:18]
	v_cndmask_b32_e64 v23, v23, v15, s8
	v_cndmask_b32_e64 v24, v24, v16, s8
	;; [unrolled: 1-line block ×4, first 2 shown]
	v_cmp_lt_i64_e64 s7, v[9:10], v[17:18]
	v_cndmask_b32_e64 v2, v16, v2, s8
	v_cndmask_b32_e64 v1, v15, v1, s8
	s_wait_alu 0xf1ff
	v_cndmask_b32_e64 v16, v18, v10, s6
	v_cndmask_b32_e64 v15, v17, v9, s6
	v_cmp_gt_i64_e64 s6, v[7:8], v[5:6]
	v_cndmask_b32_e64 v25, v25, v17, s7
	v_cndmask_b32_e64 v26, v26, v18, s7
	;; [unrolled: 1-line block ×4, first 2 shown]
	v_cmp_lt_i64_e64 s8, v[7:8], v[5:6]
	v_cndmask_b32_e64 v10, v18, v10, s7
	v_cndmask_b32_e64 v9, v17, v9, s7
	s_wait_alu 0xf1ff
	v_cndmask_b32_e64 v18, v6, v8, s6
	v_cmp_lt_i64_e64 s7, v[1:2], v[13:14]
	v_cndmask_b32_e64 v17, v5, v7, s6
	v_cmp_gt_i64_e64 s6, v[1:2], v[13:14]
	v_cndmask_b32_e64 v27, v27, v6, s8
	v_cndmask_b32_e64 v28, v28, v5, s8
	;; [unrolled: 1-line block ×6, first 2 shown]
	s_wait_alu 0xf1ff
	v_cndmask_b32_e64 v30, v30, v14, s7
	v_cndmask_b32_e64 v29, v29, v13, s7
	v_cndmask_b32_e64 v22, v22, v2, s7
	v_cndmask_b32_e64 v21, v21, v1, s7
	v_cndmask_b32_e64 v6, v14, v2, s6
	v_cmp_lt_i64_e64 s8, v[9:10], v[11:12]
	v_cndmask_b32_e64 v5, v13, v1, s6
	v_cndmask_b32_e64 v2, v14, v2, s7
	v_cndmask_b32_e64 v1, v13, v1, s7
	v_cmp_gt_i64_e64 s6, v[9:10], v[11:12]
	v_cmp_lt_i64_e64 s7, v[7:8], v[3:4]
	s_wait_alu 0xf1ff
	v_cndmask_b32_e64 v24, v24, v10, s8
	v_cndmask_b32_e64 v23, v23, v9, s8
	;; [unrolled: 1-line block ×9, first 2 shown]
	v_cmp_lt_i64_e64 s6, v[1:2], v[17:18]
	v_cndmask_b32_e64 v20, v20, v4, s7
	v_cndmask_b32_e64 v4, v34, v4, s7
	;; [unrolled: 1-line block ×3, first 2 shown]
	v_cmp_gt_i64_e64 s7, v[1:2], v[17:18]
	v_cndmask_b32_e64 v32, v32, v12, s8
	v_cndmask_b32_e64 v31, v31, v11, s8
	s_wait_alu 0xf1ff
	v_cndmask_b32_e64 v21, v21, v17, s6
	v_cndmask_b32_e64 v22, v22, v18, s6
	;; [unrolled: 1-line block ×5, first 2 shown]
	v_cmp_lt_i64_e64 s8, v[7:8], v[5:6]
	v_cndmask_b32_e64 v13, v17, v1, s7
	v_cndmask_b32_e64 v2, v18, v2, s6
	;; [unrolled: 1-line block ×3, first 2 shown]
	v_cmp_gt_i64_e64 s6, v[7:8], v[5:6]
	v_cmp_gt_i64_e64 s7, v[11:12], v[15:16]
	s_wait_alu 0xf1ff
	v_cndmask_b32_e64 v17, v23, v5, s8
	v_cndmask_b32_e64 v18, v24, v6, s8
	v_cndmask_b32_e64 v23, v29, v7, s8
	v_cndmask_b32_e64 v24, v30, v8, s8
	v_cndmask_b32_e64 v12, v6, v8, s6
	v_cndmask_b32_e64 v11, v5, v7, s6
	v_cndmask_b32_e64 v6, v6, v8, s8
	v_cndmask_b32_e64 v5, v5, v7, s8
	v_cmp_lt_i64_e64 s6, v[1:2], v[3:4]
	v_cndmask_b32_e64 v8, v26, v36, s7
	v_cndmask_b32_e64 v7, v25, v35, s7
	v_cndmask_b32_e64 v25, v31, v15, s7
	v_cndmask_b32_e64 v26, v32, v16, s7
	v_cndmask_b32_e64 v16, v36, v16, s7
	v_cndmask_b32_e64 v15, v35, v15, s7
	v_cmp_lt_i64_e64 s7, v[5:6], v[13:14]
	s_wait_alu 0xf1ff
	v_cndmask_b32_e64 v4, v27, v4, s6
	v_cndmask_b32_e64 v3, v28, v3, s6
	;; [unrolled: 1-line block ×4, first 2 shown]
	v_cmp_lt_i64_e64 s6, v[15:16], v[11:12]
	v_cndmask_b32_e64 v6, v22, v6, s7
	v_cndmask_b32_e64 v5, v21, v5, s7
	;; [unrolled: 1-line block ×4, first 2 shown]
	s_wait_alu 0xf1ff
	v_cndmask_b32_e64 v16, v18, v16, s6
	v_cndmask_b32_e64 v15, v17, v15, s6
	;; [unrolled: 1-line block ×4, first 2 shown]
	ds_store_2addr_b64 v41, v[9:10], v[1:2] offset1:1
	ds_store_2addr_b64 v41, v[3:4], v[5:6] offset0:2 offset1:3
	ds_store_2addr_b64 v41, v[13:14], v[15:16] offset0:4 offset1:5
	;; [unrolled: 1-line block ×3, first 2 shown]
	v_mov_b32_e32 v5, v44
	s_wait_loadcnt_dscnt 0x0
	s_barrier_signal -1
	s_barrier_wait -1
	global_inv scope:SCOPE_SE
	s_and_saveexec_b32 s7, vcc_lo
	s_cbranch_execz .LBB138_6
; %bb.3:                                ;   in Loop: Header=BB138_2 Depth=1
	v_mov_b32_e32 v5, v44
	v_mov_b32_e32 v1, v45
	s_mov_b32 s8, 0
.LBB138_4:                              ;   Parent Loop BB138_2 Depth=1
                                        ; =>  This Inner Loop Header: Depth=2
	s_delay_alu instid0(VALU_DEP_1) | instskip(NEXT) | instid1(VALU_DEP_1)
	v_sub_nc_u32_e32 v2, v1, v5
	v_lshrrev_b32_e32 v2, 1, v2
	s_delay_alu instid0(VALU_DEP_1) | instskip(NEXT) | instid1(VALU_DEP_1)
	v_add_nc_u32_e32 v4, v2, v5
	v_not_b32_e32 v2, v4
	v_lshl_add_u32 v3, v4, 3, v46
	s_delay_alu instid0(VALU_DEP_2)
	v_lshl_add_u32 v6, v2, 3, v83
	ds_load_b64 v[2:3], v3
	ds_load_b64 v[6:7], v6
	s_wait_dscnt 0x0
	v_cmp_lt_i64_e64 s6, v[6:7], v[2:3]
	v_add_nc_u32_e32 v2, 1, v4
	s_wait_alu 0xf1ff
	s_delay_alu instid0(VALU_DEP_2) | instskip(NEXT) | instid1(VALU_DEP_2)
	v_cndmask_b32_e64 v1, v1, v4, s6
	v_cndmask_b32_e64 v5, v2, v5, s6
	s_delay_alu instid0(VALU_DEP_1)
	v_cmp_ge_i32_e64 s6, v5, v1
	s_wait_alu 0xfffe
	s_or_b32 s8, s6, s8
	s_wait_alu 0xfffe
	s_and_not1_b32 exec_lo, exec_lo, s8
	s_cbranch_execnz .LBB138_4
; %bb.5:                                ;   in Loop: Header=BB138_2 Depth=1
	s_or_b32 exec_lo, exec_lo, s8
.LBB138_6:                              ;   in Loop: Header=BB138_2 Depth=1
	s_wait_alu 0xfffe
	s_or_b32 exec_lo, exec_lo, s7
	v_sub_nc_u32_e32 v9, v48, v5
	v_lshl_add_u32 v7, v5, 3, v46
	v_add_nc_u32_e32 v10, v5, v37
                                        ; implicit-def: $vgpr5_vgpr6
	s_delay_alu instid0(VALU_DEP_3) | instskip(SKIP_1) | instid1(VALU_DEP_3)
	v_lshlrev_b32_e32 v11, 3, v9
	v_cmp_gt_i32_e64 s8, v39, v9
	v_cmp_le_i32_e64 s7, v38, v10
	ds_load_b64 v[1:2], v7
	ds_load_b64 v[3:4], v11
	s_wait_dscnt 0x0
	v_cmp_lt_i64_e64 s6, v[3:4], v[1:2]
	s_or_b32 s6, s7, s6
	s_wait_alu 0xfffe
	s_and_b32 s6, s8, s6
	s_wait_alu 0xfffe
	s_xor_b32 s7, s6, -1
	s_wait_alu 0xfffe
	s_and_saveexec_b32 s8, s7
	s_wait_alu 0xfffe
	s_xor_b32 s7, exec_lo, s8
; %bb.7:                                ;   in Loop: Header=BB138_2 Depth=1
	ds_load_b64 v[5:6], v7 offset:8
                                        ; implicit-def: $vgpr11
; %bb.8:                                ;   in Loop: Header=BB138_2 Depth=1
	s_wait_alu 0xfffe
	s_or_saveexec_b32 s7, s7
	v_dual_mov_b32 v8, v4 :: v_dual_mov_b32 v7, v3
	s_wait_alu 0xfffe
	s_xor_b32 exec_lo, exec_lo, s7
	s_cbranch_execz .LBB138_10
; %bb.9:                                ;   in Loop: Header=BB138_2 Depth=1
	ds_load_b64 v[7:8], v11 offset:8
	s_wait_dscnt 0x1
	v_dual_mov_b32 v6, v2 :: v_dual_mov_b32 v5, v1
.LBB138_10:                             ;   in Loop: Header=BB138_2 Depth=1
	s_or_b32 exec_lo, exec_lo, s7
	v_add_nc_u32_e32 v11, 1, v10
	v_add_nc_u32_e32 v12, 1, v9
	s_wait_dscnt 0x0
	v_cmp_lt_i64_e64 s7, v[7:8], v[5:6]
	s_delay_alu instid0(VALU_DEP_3) | instskip(NEXT) | instid1(VALU_DEP_3)
	v_cndmask_b32_e64 v14, v11, v10, s6
	v_cndmask_b32_e64 v13, v9, v12, s6
                                        ; implicit-def: $vgpr9_vgpr10
	s_delay_alu instid0(VALU_DEP_2) | instskip(NEXT) | instid1(VALU_DEP_2)
	v_cmp_ge_i32_e64 s8, v14, v38
	v_cmp_lt_i32_e64 s9, v13, v39
	s_or_b32 s7, s8, s7
	s_wait_alu 0xfffe
	s_and_b32 s7, s9, s7
	s_wait_alu 0xfffe
	s_xor_b32 s8, s7, -1
	s_wait_alu 0xfffe
	s_and_saveexec_b32 s9, s8
	s_wait_alu 0xfffe
	s_xor_b32 s8, exec_lo, s9
; %bb.11:                               ;   in Loop: Header=BB138_2 Depth=1
	v_lshlrev_b32_e32 v9, 3, v14
	ds_load_b64 v[9:10], v9 offset:8
; %bb.12:                               ;   in Loop: Header=BB138_2 Depth=1
	s_wait_alu 0xfffe
	s_or_saveexec_b32 s8, s8
	v_dual_mov_b32 v12, v8 :: v_dual_mov_b32 v11, v7
	s_wait_alu 0xfffe
	s_xor_b32 exec_lo, exec_lo, s8
	s_cbranch_execz .LBB138_14
; %bb.13:                               ;   in Loop: Header=BB138_2 Depth=1
	s_wait_dscnt 0x0
	v_lshlrev_b32_e32 v9, 3, v13
	ds_load_b64 v[11:12], v9 offset:8
	v_dual_mov_b32 v10, v6 :: v_dual_mov_b32 v9, v5
.LBB138_14:                             ;   in Loop: Header=BB138_2 Depth=1
	s_or_b32 exec_lo, exec_lo, s8
	v_add_nc_u32_e32 v15, 1, v14
	v_add_nc_u32_e32 v16, 1, v13
	s_wait_dscnt 0x0
	v_cmp_lt_i64_e64 s8, v[11:12], v[9:10]
	s_delay_alu instid0(VALU_DEP_3) | instskip(NEXT) | instid1(VALU_DEP_3)
	v_cndmask_b32_e64 v18, v15, v14, s7
	v_cndmask_b32_e64 v17, v13, v16, s7
                                        ; implicit-def: $vgpr13_vgpr14
	s_delay_alu instid0(VALU_DEP_2) | instskip(NEXT) | instid1(VALU_DEP_2)
	v_cmp_ge_i32_e64 s9, v18, v38
	v_cmp_lt_i32_e64 s10, v17, v39
	s_or_b32 s8, s9, s8
	s_wait_alu 0xfffe
	s_and_b32 s8, s10, s8
	s_wait_alu 0xfffe
	s_xor_b32 s9, s8, -1
	s_wait_alu 0xfffe
	s_and_saveexec_b32 s10, s9
	s_wait_alu 0xfffe
	s_xor_b32 s9, exec_lo, s10
; %bb.15:                               ;   in Loop: Header=BB138_2 Depth=1
	v_lshlrev_b32_e32 v13, 3, v18
	ds_load_b64 v[13:14], v13 offset:8
; %bb.16:                               ;   in Loop: Header=BB138_2 Depth=1
	s_wait_alu 0xfffe
	s_or_saveexec_b32 s9, s9
	v_dual_mov_b32 v16, v12 :: v_dual_mov_b32 v15, v11
	s_wait_alu 0xfffe
	s_xor_b32 exec_lo, exec_lo, s9
	s_cbranch_execz .LBB138_18
; %bb.17:                               ;   in Loop: Header=BB138_2 Depth=1
	s_wait_dscnt 0x0
	v_lshlrev_b32_e32 v13, 3, v17
	ds_load_b64 v[15:16], v13 offset:8
	v_dual_mov_b32 v14, v10 :: v_dual_mov_b32 v13, v9
.LBB138_18:                             ;   in Loop: Header=BB138_2 Depth=1
	s_or_b32 exec_lo, exec_lo, s9
	v_add_nc_u32_e32 v19, 1, v18
	v_add_nc_u32_e32 v20, 1, v17
	s_wait_dscnt 0x0
	v_cmp_lt_i64_e64 s9, v[15:16], v[13:14]
	s_delay_alu instid0(VALU_DEP_3) | instskip(NEXT) | instid1(VALU_DEP_3)
	v_cndmask_b32_e64 v22, v19, v18, s8
	v_cndmask_b32_e64 v21, v17, v20, s8
                                        ; implicit-def: $vgpr17_vgpr18
	s_delay_alu instid0(VALU_DEP_2) | instskip(NEXT) | instid1(VALU_DEP_2)
	v_cmp_ge_i32_e64 s10, v22, v38
	v_cmp_lt_i32_e64 s11, v21, v39
	s_or_b32 s9, s10, s9
	s_wait_alu 0xfffe
	s_and_b32 s9, s11, s9
	s_wait_alu 0xfffe
	s_xor_b32 s10, s9, -1
	s_wait_alu 0xfffe
	s_and_saveexec_b32 s11, s10
	s_wait_alu 0xfffe
	s_xor_b32 s10, exec_lo, s11
; %bb.19:                               ;   in Loop: Header=BB138_2 Depth=1
	v_lshlrev_b32_e32 v17, 3, v22
	ds_load_b64 v[17:18], v17 offset:8
; %bb.20:                               ;   in Loop: Header=BB138_2 Depth=1
	s_wait_alu 0xfffe
	s_or_saveexec_b32 s10, s10
	v_dual_mov_b32 v20, v16 :: v_dual_mov_b32 v19, v15
	s_wait_alu 0xfffe
	s_xor_b32 exec_lo, exec_lo, s10
	s_cbranch_execz .LBB138_22
; %bb.21:                               ;   in Loop: Header=BB138_2 Depth=1
	s_wait_dscnt 0x0
	v_lshlrev_b32_e32 v17, 3, v21
	ds_load_b64 v[19:20], v17 offset:8
	v_dual_mov_b32 v18, v14 :: v_dual_mov_b32 v17, v13
.LBB138_22:                             ;   in Loop: Header=BB138_2 Depth=1
	s_or_b32 exec_lo, exec_lo, s10
	v_add_nc_u32_e32 v23, 1, v22
	v_add_nc_u32_e32 v24, 1, v21
	s_wait_dscnt 0x0
	v_cmp_lt_i64_e64 s10, v[19:20], v[17:18]
	s_delay_alu instid0(VALU_DEP_3) | instskip(NEXT) | instid1(VALU_DEP_3)
	v_cndmask_b32_e64 v26, v23, v22, s9
	v_cndmask_b32_e64 v25, v21, v24, s9
                                        ; implicit-def: $vgpr21_vgpr22
	s_delay_alu instid0(VALU_DEP_2) | instskip(NEXT) | instid1(VALU_DEP_2)
	v_cmp_ge_i32_e64 s11, v26, v38
	v_cmp_lt_i32_e64 s12, v25, v39
	s_or_b32 s10, s11, s10
	s_wait_alu 0xfffe
	s_and_b32 s10, s12, s10
	s_wait_alu 0xfffe
	s_xor_b32 s11, s10, -1
	s_wait_alu 0xfffe
	s_and_saveexec_b32 s12, s11
	s_wait_alu 0xfffe
	s_xor_b32 s11, exec_lo, s12
; %bb.23:                               ;   in Loop: Header=BB138_2 Depth=1
	v_lshlrev_b32_e32 v21, 3, v26
	ds_load_b64 v[21:22], v21 offset:8
; %bb.24:                               ;   in Loop: Header=BB138_2 Depth=1
	s_wait_alu 0xfffe
	s_or_saveexec_b32 s11, s11
	v_dual_mov_b32 v24, v20 :: v_dual_mov_b32 v23, v19
	s_wait_alu 0xfffe
	s_xor_b32 exec_lo, exec_lo, s11
	s_cbranch_execz .LBB138_26
; %bb.25:                               ;   in Loop: Header=BB138_2 Depth=1
	s_wait_dscnt 0x0
	v_lshlrev_b32_e32 v21, 3, v25
	ds_load_b64 v[23:24], v21 offset:8
	v_dual_mov_b32 v22, v18 :: v_dual_mov_b32 v21, v17
.LBB138_26:                             ;   in Loop: Header=BB138_2 Depth=1
	s_or_b32 exec_lo, exec_lo, s11
	v_add_nc_u32_e32 v27, 1, v26
	v_add_nc_u32_e32 v28, 1, v25
	s_wait_dscnt 0x0
	v_cmp_lt_i64_e64 s11, v[23:24], v[21:22]
	s_delay_alu instid0(VALU_DEP_3) | instskip(NEXT) | instid1(VALU_DEP_3)
	v_cndmask_b32_e64 v30, v27, v26, s10
	v_cndmask_b32_e64 v29, v25, v28, s10
                                        ; implicit-def: $vgpr25_vgpr26
	s_delay_alu instid0(VALU_DEP_2) | instskip(NEXT) | instid1(VALU_DEP_2)
	v_cmp_ge_i32_e64 s12, v30, v38
	v_cmp_lt_i32_e64 s13, v29, v39
	s_or_b32 s11, s12, s11
	s_wait_alu 0xfffe
	s_and_b32 s11, s13, s11
	s_wait_alu 0xfffe
	s_xor_b32 s12, s11, -1
	s_wait_alu 0xfffe
	s_and_saveexec_b32 s13, s12
	s_wait_alu 0xfffe
	s_xor_b32 s12, exec_lo, s13
; %bb.27:                               ;   in Loop: Header=BB138_2 Depth=1
	v_lshlrev_b32_e32 v25, 3, v30
	ds_load_b64 v[25:26], v25 offset:8
; %bb.28:                               ;   in Loop: Header=BB138_2 Depth=1
	s_wait_alu 0xfffe
	s_or_saveexec_b32 s12, s12
	v_dual_mov_b32 v28, v24 :: v_dual_mov_b32 v27, v23
	s_wait_alu 0xfffe
	s_xor_b32 exec_lo, exec_lo, s12
	s_cbranch_execz .LBB138_30
; %bb.29:                               ;   in Loop: Header=BB138_2 Depth=1
	s_wait_dscnt 0x0
	v_lshlrev_b32_e32 v25, 3, v29
	ds_load_b64 v[27:28], v25 offset:8
	v_dual_mov_b32 v26, v22 :: v_dual_mov_b32 v25, v21
.LBB138_30:                             ;   in Loop: Header=BB138_2 Depth=1
	s_or_b32 exec_lo, exec_lo, s12
	v_add_nc_u32_e32 v31, 1, v30
	v_add_nc_u32_e32 v32, 1, v29
	s_wait_dscnt 0x0
	v_cmp_lt_i64_e64 s12, v[27:28], v[25:26]
	s_delay_alu instid0(VALU_DEP_3) | instskip(NEXT) | instid1(VALU_DEP_3)
	v_cndmask_b32_e64 v33, v31, v30, s11
	v_cndmask_b32_e64 v34, v29, v32, s11
                                        ; implicit-def: $vgpr29_vgpr30
	s_delay_alu instid0(VALU_DEP_2) | instskip(NEXT) | instid1(VALU_DEP_2)
	v_cmp_ge_i32_e64 s13, v33, v38
	v_cmp_lt_i32_e64 s14, v34, v39
	s_or_b32 s12, s13, s12
	s_wait_alu 0xfffe
	s_and_b32 s12, s14, s12
	s_wait_alu 0xfffe
	s_xor_b32 s13, s12, -1
	s_wait_alu 0xfffe
	s_and_saveexec_b32 s14, s13
	s_delay_alu instid0(SALU_CYCLE_1)
	s_xor_b32 s13, exec_lo, s14
; %bb.31:                               ;   in Loop: Header=BB138_2 Depth=1
	v_lshlrev_b32_e32 v29, 3, v33
	ds_load_b64 v[29:30], v29 offset:8
; %bb.32:                               ;   in Loop: Header=BB138_2 Depth=1
	s_wait_alu 0xfffe
	s_or_saveexec_b32 s13, s13
	v_dual_mov_b32 v32, v28 :: v_dual_mov_b32 v31, v27
	s_wait_alu 0xfffe
	s_xor_b32 exec_lo, exec_lo, s13
	s_cbranch_execz .LBB138_34
; %bb.33:                               ;   in Loop: Header=BB138_2 Depth=1
	s_wait_dscnt 0x0
	v_lshlrev_b32_e32 v29, 3, v34
	ds_load_b64 v[31:32], v29 offset:8
	v_dual_mov_b32 v30, v26 :: v_dual_mov_b32 v29, v25
.LBB138_34:                             ;   in Loop: Header=BB138_2 Depth=1
	s_or_b32 exec_lo, exec_lo, s13
	v_add_nc_u32_e32 v36, 1, v33
	v_add_nc_u32_e32 v35, 1, v34
	v_cndmask_b32_e64 v26, v26, v28, s12
	v_cndmask_b32_e64 v25, v25, v27, s12
	;; [unrolled: 1-line block ×6, first 2 shown]
	s_wait_dscnt 0x0
	v_cmp_lt_i64_e64 s8, v[31:32], v[29:30]
	v_cndmask_b32_e64 v14, v14, v16, s9
	v_cndmask_b32_e64 v13, v13, v15, s9
	v_cmp_ge_i32_e64 s9, v28, v38
	v_cndmask_b32_e64 v18, v18, v20, s10
	v_cndmask_b32_e64 v17, v17, v19, s10
	v_cmp_lt_i32_e64 s10, v27, v39
	v_cndmask_b32_e64 v6, v6, v8, s7
	v_cndmask_b32_e64 v5, v5, v7, s7
	s_or_b32 s7, s9, s8
	v_cndmask_b32_e64 v2, v2, v4, s6
	v_cndmask_b32_e64 v1, v1, v3, s6
	s_wait_alu 0xfffe
	s_and_b32 s6, s10, s7
	v_cndmask_b32_e64 v22, v22, v24, s11
	v_cndmask_b32_e64 v21, v21, v23, s11
	s_wait_alu 0xfffe
	v_cndmask_b32_e64 v4, v30, v32, s6
	v_cndmask_b32_e64 v3, v29, v31, s6
	s_wait_loadcnt 0x0
	s_barrier_signal -1
	s_barrier_wait -1
	global_inv scope:SCOPE_SE
	ds_store_2addr_b64 v41, v[1:2], v[5:6] offset1:1
	ds_store_2addr_b64 v41, v[9:10], v[13:14] offset0:2 offset1:3
	ds_store_2addr_b64 v41, v[17:18], v[21:22] offset0:4 offset1:5
	;; [unrolled: 1-line block ×3, first 2 shown]
	v_mov_b32_e32 v5, v51
	s_wait_loadcnt_dscnt 0x0
	s_barrier_signal -1
	s_barrier_wait -1
	global_inv scope:SCOPE_SE
	s_and_saveexec_b32 s7, s0
	s_cbranch_execz .LBB138_38
; %bb.35:                               ;   in Loop: Header=BB138_2 Depth=1
	v_mov_b32_e32 v5, v51
	v_mov_b32_e32 v1, v52
	s_mov_b32 s8, 0
.LBB138_36:                             ;   Parent Loop BB138_2 Depth=1
                                        ; =>  This Inner Loop Header: Depth=2
	s_delay_alu instid0(VALU_DEP_1) | instskip(NEXT) | instid1(VALU_DEP_1)
	v_sub_nc_u32_e32 v2, v1, v5
	v_lshrrev_b32_e32 v2, 1, v2
	s_delay_alu instid0(VALU_DEP_1) | instskip(NEXT) | instid1(VALU_DEP_1)
	v_add_nc_u32_e32 v4, v2, v5
	v_not_b32_e32 v2, v4
	v_lshl_add_u32 v3, v4, 3, v53
	s_delay_alu instid0(VALU_DEP_2)
	v_lshl_add_u32 v6, v2, 3, v84
	ds_load_b64 v[2:3], v3
	ds_load_b64 v[6:7], v6
	s_wait_dscnt 0x0
	v_cmp_lt_i64_e64 s6, v[6:7], v[2:3]
	v_add_nc_u32_e32 v2, 1, v4
	s_wait_alu 0xf1ff
	s_delay_alu instid0(VALU_DEP_2) | instskip(NEXT) | instid1(VALU_DEP_2)
	v_cndmask_b32_e64 v1, v1, v4, s6
	v_cndmask_b32_e64 v5, v2, v5, s6
	s_delay_alu instid0(VALU_DEP_1)
	v_cmp_ge_i32_e64 s6, v5, v1
	s_wait_alu 0xfffe
	s_or_b32 s8, s6, s8
	s_wait_alu 0xfffe
	s_and_not1_b32 exec_lo, exec_lo, s8
	s_cbranch_execnz .LBB138_36
; %bb.37:                               ;   in Loop: Header=BB138_2 Depth=1
	s_or_b32 exec_lo, exec_lo, s8
.LBB138_38:                             ;   in Loop: Header=BB138_2 Depth=1
	s_wait_alu 0xfffe
	s_or_b32 exec_lo, exec_lo, s7
	v_sub_nc_u32_e32 v9, v55, v5
	v_lshl_add_u32 v7, v5, 3, v53
	v_add_nc_u32_e32 v10, v5, v40
                                        ; implicit-def: $vgpr5_vgpr6
	s_delay_alu instid0(VALU_DEP_3) | instskip(SKIP_1) | instid1(VALU_DEP_3)
	v_lshlrev_b32_e32 v11, 3, v9
	v_cmp_gt_i32_e64 s8, v43, v9
	v_cmp_le_i32_e64 s7, v42, v10
	ds_load_b64 v[1:2], v7
	ds_load_b64 v[3:4], v11
	s_wait_dscnt 0x0
	v_cmp_lt_i64_e64 s6, v[3:4], v[1:2]
	s_or_b32 s6, s7, s6
	s_wait_alu 0xfffe
	s_and_b32 s6, s8, s6
	s_wait_alu 0xfffe
	s_xor_b32 s7, s6, -1
	s_wait_alu 0xfffe
	s_and_saveexec_b32 s8, s7
	s_wait_alu 0xfffe
	s_xor_b32 s7, exec_lo, s8
; %bb.39:                               ;   in Loop: Header=BB138_2 Depth=1
	ds_load_b64 v[5:6], v7 offset:8
                                        ; implicit-def: $vgpr11
; %bb.40:                               ;   in Loop: Header=BB138_2 Depth=1
	s_wait_alu 0xfffe
	s_or_saveexec_b32 s7, s7
	v_dual_mov_b32 v8, v4 :: v_dual_mov_b32 v7, v3
	s_wait_alu 0xfffe
	s_xor_b32 exec_lo, exec_lo, s7
	s_cbranch_execz .LBB138_42
; %bb.41:                               ;   in Loop: Header=BB138_2 Depth=1
	ds_load_b64 v[7:8], v11 offset:8
	s_wait_dscnt 0x1
	v_dual_mov_b32 v6, v2 :: v_dual_mov_b32 v5, v1
.LBB138_42:                             ;   in Loop: Header=BB138_2 Depth=1
	s_or_b32 exec_lo, exec_lo, s7
	v_add_nc_u32_e32 v11, 1, v10
	v_add_nc_u32_e32 v12, 1, v9
	s_wait_dscnt 0x0
	v_cmp_lt_i64_e64 s7, v[7:8], v[5:6]
	s_delay_alu instid0(VALU_DEP_3) | instskip(NEXT) | instid1(VALU_DEP_3)
	v_cndmask_b32_e64 v14, v11, v10, s6
	v_cndmask_b32_e64 v13, v9, v12, s6
                                        ; implicit-def: $vgpr9_vgpr10
	s_delay_alu instid0(VALU_DEP_2) | instskip(NEXT) | instid1(VALU_DEP_2)
	v_cmp_ge_i32_e64 s8, v14, v42
	v_cmp_lt_i32_e64 s9, v13, v43
	s_or_b32 s7, s8, s7
	s_wait_alu 0xfffe
	s_and_b32 s7, s9, s7
	s_wait_alu 0xfffe
	s_xor_b32 s8, s7, -1
	s_wait_alu 0xfffe
	s_and_saveexec_b32 s9, s8
	s_wait_alu 0xfffe
	s_xor_b32 s8, exec_lo, s9
; %bb.43:                               ;   in Loop: Header=BB138_2 Depth=1
	v_lshlrev_b32_e32 v9, 3, v14
	ds_load_b64 v[9:10], v9 offset:8
; %bb.44:                               ;   in Loop: Header=BB138_2 Depth=1
	s_wait_alu 0xfffe
	s_or_saveexec_b32 s8, s8
	v_dual_mov_b32 v12, v8 :: v_dual_mov_b32 v11, v7
	s_wait_alu 0xfffe
	s_xor_b32 exec_lo, exec_lo, s8
	s_cbranch_execz .LBB138_46
; %bb.45:                               ;   in Loop: Header=BB138_2 Depth=1
	s_wait_dscnt 0x0
	v_lshlrev_b32_e32 v9, 3, v13
	ds_load_b64 v[11:12], v9 offset:8
	v_dual_mov_b32 v10, v6 :: v_dual_mov_b32 v9, v5
.LBB138_46:                             ;   in Loop: Header=BB138_2 Depth=1
	s_or_b32 exec_lo, exec_lo, s8
	v_add_nc_u32_e32 v15, 1, v14
	v_add_nc_u32_e32 v16, 1, v13
	s_wait_dscnt 0x0
	v_cmp_lt_i64_e64 s8, v[11:12], v[9:10]
	s_delay_alu instid0(VALU_DEP_3) | instskip(NEXT) | instid1(VALU_DEP_3)
	v_cndmask_b32_e64 v18, v15, v14, s7
	v_cndmask_b32_e64 v17, v13, v16, s7
                                        ; implicit-def: $vgpr13_vgpr14
	s_delay_alu instid0(VALU_DEP_2) | instskip(NEXT) | instid1(VALU_DEP_2)
	v_cmp_ge_i32_e64 s9, v18, v42
	v_cmp_lt_i32_e64 s10, v17, v43
	s_or_b32 s8, s9, s8
	s_wait_alu 0xfffe
	s_and_b32 s8, s10, s8
	s_wait_alu 0xfffe
	s_xor_b32 s9, s8, -1
	s_wait_alu 0xfffe
	s_and_saveexec_b32 s10, s9
	s_wait_alu 0xfffe
	s_xor_b32 s9, exec_lo, s10
; %bb.47:                               ;   in Loop: Header=BB138_2 Depth=1
	v_lshlrev_b32_e32 v13, 3, v18
	ds_load_b64 v[13:14], v13 offset:8
; %bb.48:                               ;   in Loop: Header=BB138_2 Depth=1
	s_wait_alu 0xfffe
	s_or_saveexec_b32 s9, s9
	v_dual_mov_b32 v16, v12 :: v_dual_mov_b32 v15, v11
	s_wait_alu 0xfffe
	s_xor_b32 exec_lo, exec_lo, s9
	s_cbranch_execz .LBB138_50
; %bb.49:                               ;   in Loop: Header=BB138_2 Depth=1
	s_wait_dscnt 0x0
	v_lshlrev_b32_e32 v13, 3, v17
	ds_load_b64 v[15:16], v13 offset:8
	v_dual_mov_b32 v14, v10 :: v_dual_mov_b32 v13, v9
.LBB138_50:                             ;   in Loop: Header=BB138_2 Depth=1
	s_or_b32 exec_lo, exec_lo, s9
	v_add_nc_u32_e32 v19, 1, v18
	v_add_nc_u32_e32 v20, 1, v17
	s_wait_dscnt 0x0
	v_cmp_lt_i64_e64 s9, v[15:16], v[13:14]
	s_delay_alu instid0(VALU_DEP_3) | instskip(NEXT) | instid1(VALU_DEP_3)
	v_cndmask_b32_e64 v22, v19, v18, s8
	v_cndmask_b32_e64 v21, v17, v20, s8
                                        ; implicit-def: $vgpr17_vgpr18
	s_delay_alu instid0(VALU_DEP_2) | instskip(NEXT) | instid1(VALU_DEP_2)
	v_cmp_ge_i32_e64 s10, v22, v42
	v_cmp_lt_i32_e64 s11, v21, v43
	s_or_b32 s9, s10, s9
	s_wait_alu 0xfffe
	s_and_b32 s9, s11, s9
	s_wait_alu 0xfffe
	s_xor_b32 s10, s9, -1
	s_wait_alu 0xfffe
	s_and_saveexec_b32 s11, s10
	s_wait_alu 0xfffe
	s_xor_b32 s10, exec_lo, s11
; %bb.51:                               ;   in Loop: Header=BB138_2 Depth=1
	v_lshlrev_b32_e32 v17, 3, v22
	ds_load_b64 v[17:18], v17 offset:8
; %bb.52:                               ;   in Loop: Header=BB138_2 Depth=1
	s_wait_alu 0xfffe
	s_or_saveexec_b32 s10, s10
	v_dual_mov_b32 v20, v16 :: v_dual_mov_b32 v19, v15
	s_wait_alu 0xfffe
	s_xor_b32 exec_lo, exec_lo, s10
	s_cbranch_execz .LBB138_54
; %bb.53:                               ;   in Loop: Header=BB138_2 Depth=1
	s_wait_dscnt 0x0
	v_lshlrev_b32_e32 v17, 3, v21
	ds_load_b64 v[19:20], v17 offset:8
	v_dual_mov_b32 v18, v14 :: v_dual_mov_b32 v17, v13
.LBB138_54:                             ;   in Loop: Header=BB138_2 Depth=1
	s_or_b32 exec_lo, exec_lo, s10
	v_add_nc_u32_e32 v23, 1, v22
	v_add_nc_u32_e32 v24, 1, v21
	s_wait_dscnt 0x0
	v_cmp_lt_i64_e64 s10, v[19:20], v[17:18]
	s_delay_alu instid0(VALU_DEP_3) | instskip(NEXT) | instid1(VALU_DEP_3)
	v_cndmask_b32_e64 v26, v23, v22, s9
	v_cndmask_b32_e64 v25, v21, v24, s9
                                        ; implicit-def: $vgpr21_vgpr22
	s_delay_alu instid0(VALU_DEP_2) | instskip(NEXT) | instid1(VALU_DEP_2)
	v_cmp_ge_i32_e64 s11, v26, v42
	v_cmp_lt_i32_e64 s12, v25, v43
	s_or_b32 s10, s11, s10
	s_wait_alu 0xfffe
	s_and_b32 s10, s12, s10
	s_wait_alu 0xfffe
	s_xor_b32 s11, s10, -1
	s_wait_alu 0xfffe
	s_and_saveexec_b32 s12, s11
	s_wait_alu 0xfffe
	s_xor_b32 s11, exec_lo, s12
; %bb.55:                               ;   in Loop: Header=BB138_2 Depth=1
	v_lshlrev_b32_e32 v21, 3, v26
	ds_load_b64 v[21:22], v21 offset:8
; %bb.56:                               ;   in Loop: Header=BB138_2 Depth=1
	s_wait_alu 0xfffe
	s_or_saveexec_b32 s11, s11
	v_dual_mov_b32 v24, v20 :: v_dual_mov_b32 v23, v19
	s_wait_alu 0xfffe
	s_xor_b32 exec_lo, exec_lo, s11
	s_cbranch_execz .LBB138_58
; %bb.57:                               ;   in Loop: Header=BB138_2 Depth=1
	s_wait_dscnt 0x0
	v_lshlrev_b32_e32 v21, 3, v25
	ds_load_b64 v[23:24], v21 offset:8
	v_dual_mov_b32 v22, v18 :: v_dual_mov_b32 v21, v17
.LBB138_58:                             ;   in Loop: Header=BB138_2 Depth=1
	s_or_b32 exec_lo, exec_lo, s11
	v_add_nc_u32_e32 v27, 1, v26
	v_add_nc_u32_e32 v28, 1, v25
	s_wait_dscnt 0x0
	v_cmp_lt_i64_e64 s11, v[23:24], v[21:22]
	s_delay_alu instid0(VALU_DEP_3) | instskip(NEXT) | instid1(VALU_DEP_3)
	v_cndmask_b32_e64 v30, v27, v26, s10
	v_cndmask_b32_e64 v29, v25, v28, s10
                                        ; implicit-def: $vgpr25_vgpr26
	s_delay_alu instid0(VALU_DEP_2) | instskip(NEXT) | instid1(VALU_DEP_2)
	v_cmp_ge_i32_e64 s12, v30, v42
	v_cmp_lt_i32_e64 s13, v29, v43
	s_or_b32 s11, s12, s11
	s_wait_alu 0xfffe
	s_and_b32 s11, s13, s11
	s_wait_alu 0xfffe
	s_xor_b32 s12, s11, -1
	s_wait_alu 0xfffe
	s_and_saveexec_b32 s13, s12
	s_wait_alu 0xfffe
	s_xor_b32 s12, exec_lo, s13
; %bb.59:                               ;   in Loop: Header=BB138_2 Depth=1
	v_lshlrev_b32_e32 v25, 3, v30
	ds_load_b64 v[25:26], v25 offset:8
; %bb.60:                               ;   in Loop: Header=BB138_2 Depth=1
	s_wait_alu 0xfffe
	s_or_saveexec_b32 s12, s12
	v_dual_mov_b32 v28, v24 :: v_dual_mov_b32 v27, v23
	s_wait_alu 0xfffe
	s_xor_b32 exec_lo, exec_lo, s12
	s_cbranch_execz .LBB138_62
; %bb.61:                               ;   in Loop: Header=BB138_2 Depth=1
	s_wait_dscnt 0x0
	v_lshlrev_b32_e32 v25, 3, v29
	ds_load_b64 v[27:28], v25 offset:8
	v_dual_mov_b32 v26, v22 :: v_dual_mov_b32 v25, v21
.LBB138_62:                             ;   in Loop: Header=BB138_2 Depth=1
	s_or_b32 exec_lo, exec_lo, s12
	v_add_nc_u32_e32 v31, 1, v30
	v_add_nc_u32_e32 v32, 1, v29
	s_wait_dscnt 0x0
	v_cmp_lt_i64_e64 s12, v[27:28], v[25:26]
	s_delay_alu instid0(VALU_DEP_3) | instskip(NEXT) | instid1(VALU_DEP_3)
	v_cndmask_b32_e64 v33, v31, v30, s11
	v_cndmask_b32_e64 v34, v29, v32, s11
                                        ; implicit-def: $vgpr29_vgpr30
	s_delay_alu instid0(VALU_DEP_2) | instskip(NEXT) | instid1(VALU_DEP_2)
	v_cmp_ge_i32_e64 s13, v33, v42
	v_cmp_lt_i32_e64 s14, v34, v43
	s_or_b32 s12, s13, s12
	s_wait_alu 0xfffe
	s_and_b32 s12, s14, s12
	s_wait_alu 0xfffe
	s_xor_b32 s13, s12, -1
	s_wait_alu 0xfffe
	s_and_saveexec_b32 s14, s13
	s_delay_alu instid0(SALU_CYCLE_1)
	s_xor_b32 s13, exec_lo, s14
; %bb.63:                               ;   in Loop: Header=BB138_2 Depth=1
	v_lshlrev_b32_e32 v29, 3, v33
	ds_load_b64 v[29:30], v29 offset:8
; %bb.64:                               ;   in Loop: Header=BB138_2 Depth=1
	s_wait_alu 0xfffe
	s_or_saveexec_b32 s13, s13
	v_dual_mov_b32 v32, v28 :: v_dual_mov_b32 v31, v27
	s_wait_alu 0xfffe
	s_xor_b32 exec_lo, exec_lo, s13
	s_cbranch_execz .LBB138_66
; %bb.65:                               ;   in Loop: Header=BB138_2 Depth=1
	s_wait_dscnt 0x0
	v_lshlrev_b32_e32 v29, 3, v34
	ds_load_b64 v[31:32], v29 offset:8
	v_dual_mov_b32 v30, v26 :: v_dual_mov_b32 v29, v25
.LBB138_66:                             ;   in Loop: Header=BB138_2 Depth=1
	s_or_b32 exec_lo, exec_lo, s13
	v_add_nc_u32_e32 v36, 1, v33
	v_add_nc_u32_e32 v35, 1, v34
	v_cndmask_b32_e64 v26, v26, v28, s12
	v_cndmask_b32_e64 v25, v25, v27, s12
	;; [unrolled: 1-line block ×6, first 2 shown]
	s_wait_dscnt 0x0
	v_cmp_lt_i64_e64 s8, v[31:32], v[29:30]
	v_cndmask_b32_e64 v14, v14, v16, s9
	v_cndmask_b32_e64 v13, v13, v15, s9
	v_cmp_ge_i32_e64 s9, v28, v42
	v_cndmask_b32_e64 v18, v18, v20, s10
	v_cndmask_b32_e64 v17, v17, v19, s10
	v_cmp_lt_i32_e64 s10, v27, v43
	v_cndmask_b32_e64 v6, v6, v8, s7
	v_cndmask_b32_e64 v5, v5, v7, s7
	s_or_b32 s7, s9, s8
	v_cndmask_b32_e64 v2, v2, v4, s6
	v_cndmask_b32_e64 v1, v1, v3, s6
	s_wait_alu 0xfffe
	s_and_b32 s6, s10, s7
	v_cndmask_b32_e64 v22, v22, v24, s11
	v_cndmask_b32_e64 v21, v21, v23, s11
	s_wait_alu 0xfffe
	v_cndmask_b32_e64 v4, v30, v32, s6
	v_cndmask_b32_e64 v3, v29, v31, s6
	s_wait_loadcnt 0x0
	s_barrier_signal -1
	s_barrier_wait -1
	global_inv scope:SCOPE_SE
	ds_store_2addr_b64 v41, v[1:2], v[5:6] offset1:1
	ds_store_2addr_b64 v41, v[9:10], v[13:14] offset0:2 offset1:3
	ds_store_2addr_b64 v41, v[17:18], v[21:22] offset0:4 offset1:5
	;; [unrolled: 1-line block ×3, first 2 shown]
	v_mov_b32_e32 v5, v58
	s_wait_loadcnt_dscnt 0x0
	s_barrier_signal -1
	s_barrier_wait -1
	global_inv scope:SCOPE_SE
	s_and_saveexec_b32 s7, s1
	s_cbranch_execz .LBB138_70
; %bb.67:                               ;   in Loop: Header=BB138_2 Depth=1
	v_mov_b32_e32 v5, v58
	v_mov_b32_e32 v1, v59
	s_mov_b32 s8, 0
.LBB138_68:                             ;   Parent Loop BB138_2 Depth=1
                                        ; =>  This Inner Loop Header: Depth=2
	s_delay_alu instid0(VALU_DEP_1) | instskip(NEXT) | instid1(VALU_DEP_1)
	v_sub_nc_u32_e32 v2, v1, v5
	v_lshrrev_b32_e32 v2, 1, v2
	s_delay_alu instid0(VALU_DEP_1) | instskip(NEXT) | instid1(VALU_DEP_1)
	v_add_nc_u32_e32 v4, v2, v5
	v_not_b32_e32 v2, v4
	v_lshl_add_u32 v3, v4, 3, v60
	s_delay_alu instid0(VALU_DEP_2)
	v_lshl_add_u32 v6, v2, 3, v85
	ds_load_b64 v[2:3], v3
	ds_load_b64 v[6:7], v6
	s_wait_dscnt 0x0
	v_cmp_lt_i64_e64 s6, v[6:7], v[2:3]
	v_add_nc_u32_e32 v2, 1, v4
	s_wait_alu 0xf1ff
	s_delay_alu instid0(VALU_DEP_2) | instskip(NEXT) | instid1(VALU_DEP_2)
	v_cndmask_b32_e64 v1, v1, v4, s6
	v_cndmask_b32_e64 v5, v2, v5, s6
	s_delay_alu instid0(VALU_DEP_1)
	v_cmp_ge_i32_e64 s6, v5, v1
	s_wait_alu 0xfffe
	s_or_b32 s8, s6, s8
	s_wait_alu 0xfffe
	s_and_not1_b32 exec_lo, exec_lo, s8
	s_cbranch_execnz .LBB138_68
; %bb.69:                               ;   in Loop: Header=BB138_2 Depth=1
	s_or_b32 exec_lo, exec_lo, s8
.LBB138_70:                             ;   in Loop: Header=BB138_2 Depth=1
	s_wait_alu 0xfffe
	s_or_b32 exec_lo, exec_lo, s7
	v_sub_nc_u32_e32 v9, v62, v5
	v_lshl_add_u32 v7, v5, 3, v60
	v_add_nc_u32_e32 v10, v5, v47
                                        ; implicit-def: $vgpr5_vgpr6
	s_delay_alu instid0(VALU_DEP_3) | instskip(SKIP_1) | instid1(VALU_DEP_3)
	v_lshlrev_b32_e32 v11, 3, v9
	v_cmp_gt_i32_e64 s8, v50, v9
	v_cmp_le_i32_e64 s7, v49, v10
	ds_load_b64 v[1:2], v7
	ds_load_b64 v[3:4], v11
	s_wait_dscnt 0x0
	v_cmp_lt_i64_e64 s6, v[3:4], v[1:2]
	s_or_b32 s6, s7, s6
	s_wait_alu 0xfffe
	s_and_b32 s6, s8, s6
	s_wait_alu 0xfffe
	s_xor_b32 s7, s6, -1
	s_wait_alu 0xfffe
	s_and_saveexec_b32 s8, s7
	s_wait_alu 0xfffe
	s_xor_b32 s7, exec_lo, s8
; %bb.71:                               ;   in Loop: Header=BB138_2 Depth=1
	ds_load_b64 v[5:6], v7 offset:8
                                        ; implicit-def: $vgpr11
; %bb.72:                               ;   in Loop: Header=BB138_2 Depth=1
	s_wait_alu 0xfffe
	s_or_saveexec_b32 s7, s7
	v_dual_mov_b32 v8, v4 :: v_dual_mov_b32 v7, v3
	s_wait_alu 0xfffe
	s_xor_b32 exec_lo, exec_lo, s7
	s_cbranch_execz .LBB138_74
; %bb.73:                               ;   in Loop: Header=BB138_2 Depth=1
	ds_load_b64 v[7:8], v11 offset:8
	s_wait_dscnt 0x1
	v_dual_mov_b32 v6, v2 :: v_dual_mov_b32 v5, v1
.LBB138_74:                             ;   in Loop: Header=BB138_2 Depth=1
	s_or_b32 exec_lo, exec_lo, s7
	v_add_nc_u32_e32 v11, 1, v10
	v_add_nc_u32_e32 v12, 1, v9
	s_wait_dscnt 0x0
	v_cmp_lt_i64_e64 s7, v[7:8], v[5:6]
	s_delay_alu instid0(VALU_DEP_3) | instskip(NEXT) | instid1(VALU_DEP_3)
	v_cndmask_b32_e64 v14, v11, v10, s6
	v_cndmask_b32_e64 v13, v9, v12, s6
                                        ; implicit-def: $vgpr9_vgpr10
	s_delay_alu instid0(VALU_DEP_2) | instskip(NEXT) | instid1(VALU_DEP_2)
	v_cmp_ge_i32_e64 s8, v14, v49
	v_cmp_lt_i32_e64 s9, v13, v50
	s_or_b32 s7, s8, s7
	s_wait_alu 0xfffe
	s_and_b32 s7, s9, s7
	s_wait_alu 0xfffe
	s_xor_b32 s8, s7, -1
	s_wait_alu 0xfffe
	s_and_saveexec_b32 s9, s8
	s_wait_alu 0xfffe
	s_xor_b32 s8, exec_lo, s9
; %bb.75:                               ;   in Loop: Header=BB138_2 Depth=1
	v_lshlrev_b32_e32 v9, 3, v14
	ds_load_b64 v[9:10], v9 offset:8
; %bb.76:                               ;   in Loop: Header=BB138_2 Depth=1
	s_wait_alu 0xfffe
	s_or_saveexec_b32 s8, s8
	v_dual_mov_b32 v12, v8 :: v_dual_mov_b32 v11, v7
	s_wait_alu 0xfffe
	s_xor_b32 exec_lo, exec_lo, s8
	s_cbranch_execz .LBB138_78
; %bb.77:                               ;   in Loop: Header=BB138_2 Depth=1
	s_wait_dscnt 0x0
	v_lshlrev_b32_e32 v9, 3, v13
	ds_load_b64 v[11:12], v9 offset:8
	v_dual_mov_b32 v10, v6 :: v_dual_mov_b32 v9, v5
.LBB138_78:                             ;   in Loop: Header=BB138_2 Depth=1
	s_or_b32 exec_lo, exec_lo, s8
	v_add_nc_u32_e32 v15, 1, v14
	v_add_nc_u32_e32 v16, 1, v13
	s_wait_dscnt 0x0
	v_cmp_lt_i64_e64 s8, v[11:12], v[9:10]
	s_delay_alu instid0(VALU_DEP_3) | instskip(NEXT) | instid1(VALU_DEP_3)
	v_cndmask_b32_e64 v18, v15, v14, s7
	v_cndmask_b32_e64 v17, v13, v16, s7
                                        ; implicit-def: $vgpr13_vgpr14
	s_delay_alu instid0(VALU_DEP_2) | instskip(NEXT) | instid1(VALU_DEP_2)
	v_cmp_ge_i32_e64 s9, v18, v49
	v_cmp_lt_i32_e64 s10, v17, v50
	s_or_b32 s8, s9, s8
	s_wait_alu 0xfffe
	s_and_b32 s8, s10, s8
	s_wait_alu 0xfffe
	s_xor_b32 s9, s8, -1
	s_wait_alu 0xfffe
	s_and_saveexec_b32 s10, s9
	s_wait_alu 0xfffe
	s_xor_b32 s9, exec_lo, s10
; %bb.79:                               ;   in Loop: Header=BB138_2 Depth=1
	v_lshlrev_b32_e32 v13, 3, v18
	ds_load_b64 v[13:14], v13 offset:8
; %bb.80:                               ;   in Loop: Header=BB138_2 Depth=1
	s_wait_alu 0xfffe
	s_or_saveexec_b32 s9, s9
	v_dual_mov_b32 v16, v12 :: v_dual_mov_b32 v15, v11
	s_wait_alu 0xfffe
	s_xor_b32 exec_lo, exec_lo, s9
	s_cbranch_execz .LBB138_82
; %bb.81:                               ;   in Loop: Header=BB138_2 Depth=1
	s_wait_dscnt 0x0
	v_lshlrev_b32_e32 v13, 3, v17
	ds_load_b64 v[15:16], v13 offset:8
	v_dual_mov_b32 v14, v10 :: v_dual_mov_b32 v13, v9
.LBB138_82:                             ;   in Loop: Header=BB138_2 Depth=1
	s_or_b32 exec_lo, exec_lo, s9
	v_add_nc_u32_e32 v19, 1, v18
	v_add_nc_u32_e32 v20, 1, v17
	s_wait_dscnt 0x0
	v_cmp_lt_i64_e64 s9, v[15:16], v[13:14]
	s_delay_alu instid0(VALU_DEP_3) | instskip(NEXT) | instid1(VALU_DEP_3)
	v_cndmask_b32_e64 v22, v19, v18, s8
	v_cndmask_b32_e64 v21, v17, v20, s8
                                        ; implicit-def: $vgpr17_vgpr18
	s_delay_alu instid0(VALU_DEP_2) | instskip(NEXT) | instid1(VALU_DEP_2)
	v_cmp_ge_i32_e64 s10, v22, v49
	v_cmp_lt_i32_e64 s11, v21, v50
	s_or_b32 s9, s10, s9
	s_wait_alu 0xfffe
	s_and_b32 s9, s11, s9
	s_wait_alu 0xfffe
	s_xor_b32 s10, s9, -1
	s_wait_alu 0xfffe
	s_and_saveexec_b32 s11, s10
	s_wait_alu 0xfffe
	s_xor_b32 s10, exec_lo, s11
; %bb.83:                               ;   in Loop: Header=BB138_2 Depth=1
	v_lshlrev_b32_e32 v17, 3, v22
	ds_load_b64 v[17:18], v17 offset:8
; %bb.84:                               ;   in Loop: Header=BB138_2 Depth=1
	s_wait_alu 0xfffe
	s_or_saveexec_b32 s10, s10
	v_dual_mov_b32 v20, v16 :: v_dual_mov_b32 v19, v15
	s_wait_alu 0xfffe
	s_xor_b32 exec_lo, exec_lo, s10
	s_cbranch_execz .LBB138_86
; %bb.85:                               ;   in Loop: Header=BB138_2 Depth=1
	s_wait_dscnt 0x0
	v_lshlrev_b32_e32 v17, 3, v21
	ds_load_b64 v[19:20], v17 offset:8
	v_dual_mov_b32 v18, v14 :: v_dual_mov_b32 v17, v13
.LBB138_86:                             ;   in Loop: Header=BB138_2 Depth=1
	s_or_b32 exec_lo, exec_lo, s10
	v_add_nc_u32_e32 v23, 1, v22
	v_add_nc_u32_e32 v24, 1, v21
	s_wait_dscnt 0x0
	v_cmp_lt_i64_e64 s10, v[19:20], v[17:18]
	s_delay_alu instid0(VALU_DEP_3) | instskip(NEXT) | instid1(VALU_DEP_3)
	v_cndmask_b32_e64 v26, v23, v22, s9
	v_cndmask_b32_e64 v25, v21, v24, s9
                                        ; implicit-def: $vgpr21_vgpr22
	s_delay_alu instid0(VALU_DEP_2) | instskip(NEXT) | instid1(VALU_DEP_2)
	v_cmp_ge_i32_e64 s11, v26, v49
	v_cmp_lt_i32_e64 s12, v25, v50
	s_or_b32 s10, s11, s10
	s_wait_alu 0xfffe
	s_and_b32 s10, s12, s10
	s_wait_alu 0xfffe
	s_xor_b32 s11, s10, -1
	s_wait_alu 0xfffe
	s_and_saveexec_b32 s12, s11
	s_wait_alu 0xfffe
	s_xor_b32 s11, exec_lo, s12
; %bb.87:                               ;   in Loop: Header=BB138_2 Depth=1
	v_lshlrev_b32_e32 v21, 3, v26
	ds_load_b64 v[21:22], v21 offset:8
; %bb.88:                               ;   in Loop: Header=BB138_2 Depth=1
	s_wait_alu 0xfffe
	s_or_saveexec_b32 s11, s11
	v_dual_mov_b32 v24, v20 :: v_dual_mov_b32 v23, v19
	s_wait_alu 0xfffe
	s_xor_b32 exec_lo, exec_lo, s11
	s_cbranch_execz .LBB138_90
; %bb.89:                               ;   in Loop: Header=BB138_2 Depth=1
	s_wait_dscnt 0x0
	v_lshlrev_b32_e32 v21, 3, v25
	ds_load_b64 v[23:24], v21 offset:8
	v_dual_mov_b32 v22, v18 :: v_dual_mov_b32 v21, v17
.LBB138_90:                             ;   in Loop: Header=BB138_2 Depth=1
	s_or_b32 exec_lo, exec_lo, s11
	v_add_nc_u32_e32 v27, 1, v26
	v_add_nc_u32_e32 v28, 1, v25
	s_wait_dscnt 0x0
	v_cmp_lt_i64_e64 s11, v[23:24], v[21:22]
	s_delay_alu instid0(VALU_DEP_3) | instskip(NEXT) | instid1(VALU_DEP_3)
	v_cndmask_b32_e64 v30, v27, v26, s10
	v_cndmask_b32_e64 v29, v25, v28, s10
                                        ; implicit-def: $vgpr25_vgpr26
	s_delay_alu instid0(VALU_DEP_2) | instskip(NEXT) | instid1(VALU_DEP_2)
	v_cmp_ge_i32_e64 s12, v30, v49
	v_cmp_lt_i32_e64 s13, v29, v50
	s_or_b32 s11, s12, s11
	s_wait_alu 0xfffe
	s_and_b32 s11, s13, s11
	s_wait_alu 0xfffe
	s_xor_b32 s12, s11, -1
	s_wait_alu 0xfffe
	s_and_saveexec_b32 s13, s12
	s_wait_alu 0xfffe
	s_xor_b32 s12, exec_lo, s13
; %bb.91:                               ;   in Loop: Header=BB138_2 Depth=1
	v_lshlrev_b32_e32 v25, 3, v30
	ds_load_b64 v[25:26], v25 offset:8
; %bb.92:                               ;   in Loop: Header=BB138_2 Depth=1
	s_wait_alu 0xfffe
	s_or_saveexec_b32 s12, s12
	v_dual_mov_b32 v28, v24 :: v_dual_mov_b32 v27, v23
	s_wait_alu 0xfffe
	s_xor_b32 exec_lo, exec_lo, s12
	s_cbranch_execz .LBB138_94
; %bb.93:                               ;   in Loop: Header=BB138_2 Depth=1
	s_wait_dscnt 0x0
	v_lshlrev_b32_e32 v25, 3, v29
	ds_load_b64 v[27:28], v25 offset:8
	v_dual_mov_b32 v26, v22 :: v_dual_mov_b32 v25, v21
.LBB138_94:                             ;   in Loop: Header=BB138_2 Depth=1
	s_or_b32 exec_lo, exec_lo, s12
	v_add_nc_u32_e32 v31, 1, v30
	v_add_nc_u32_e32 v32, 1, v29
	s_wait_dscnt 0x0
	v_cmp_lt_i64_e64 s12, v[27:28], v[25:26]
	s_delay_alu instid0(VALU_DEP_3) | instskip(NEXT) | instid1(VALU_DEP_3)
	v_cndmask_b32_e64 v33, v31, v30, s11
	v_cndmask_b32_e64 v34, v29, v32, s11
                                        ; implicit-def: $vgpr29_vgpr30
	s_delay_alu instid0(VALU_DEP_2) | instskip(NEXT) | instid1(VALU_DEP_2)
	v_cmp_ge_i32_e64 s13, v33, v49
	v_cmp_lt_i32_e64 s14, v34, v50
	s_or_b32 s12, s13, s12
	s_wait_alu 0xfffe
	s_and_b32 s12, s14, s12
	s_wait_alu 0xfffe
	s_xor_b32 s13, s12, -1
	s_wait_alu 0xfffe
	s_and_saveexec_b32 s14, s13
	s_delay_alu instid0(SALU_CYCLE_1)
	s_xor_b32 s13, exec_lo, s14
; %bb.95:                               ;   in Loop: Header=BB138_2 Depth=1
	v_lshlrev_b32_e32 v29, 3, v33
	ds_load_b64 v[29:30], v29 offset:8
; %bb.96:                               ;   in Loop: Header=BB138_2 Depth=1
	s_wait_alu 0xfffe
	s_or_saveexec_b32 s13, s13
	v_dual_mov_b32 v32, v28 :: v_dual_mov_b32 v31, v27
	s_wait_alu 0xfffe
	s_xor_b32 exec_lo, exec_lo, s13
	s_cbranch_execz .LBB138_98
; %bb.97:                               ;   in Loop: Header=BB138_2 Depth=1
	s_wait_dscnt 0x0
	v_lshlrev_b32_e32 v29, 3, v34
	ds_load_b64 v[31:32], v29 offset:8
	v_dual_mov_b32 v30, v26 :: v_dual_mov_b32 v29, v25
.LBB138_98:                             ;   in Loop: Header=BB138_2 Depth=1
	s_or_b32 exec_lo, exec_lo, s13
	v_add_nc_u32_e32 v36, 1, v33
	v_add_nc_u32_e32 v35, 1, v34
	v_cndmask_b32_e64 v26, v26, v28, s12
	v_cndmask_b32_e64 v25, v25, v27, s12
	v_cndmask_b32_e64 v10, v10, v12, s8
	v_cndmask_b32_e64 v28, v36, v33, s12
	v_cndmask_b32_e64 v27, v34, v35, s12
	v_cndmask_b32_e64 v9, v9, v11, s8
	s_wait_dscnt 0x0
	v_cmp_lt_i64_e64 s8, v[31:32], v[29:30]
	v_cndmask_b32_e64 v14, v14, v16, s9
	v_cndmask_b32_e64 v13, v13, v15, s9
	v_cmp_ge_i32_e64 s9, v28, v49
	v_cndmask_b32_e64 v18, v18, v20, s10
	v_cndmask_b32_e64 v17, v17, v19, s10
	v_cmp_lt_i32_e64 s10, v27, v50
	v_cndmask_b32_e64 v6, v6, v8, s7
	v_cndmask_b32_e64 v5, v5, v7, s7
	s_or_b32 s7, s9, s8
	v_cndmask_b32_e64 v2, v2, v4, s6
	v_cndmask_b32_e64 v1, v1, v3, s6
	s_wait_alu 0xfffe
	s_and_b32 s6, s10, s7
	v_cndmask_b32_e64 v22, v22, v24, s11
	v_cndmask_b32_e64 v21, v21, v23, s11
	s_wait_alu 0xfffe
	v_cndmask_b32_e64 v4, v30, v32, s6
	v_cndmask_b32_e64 v3, v29, v31, s6
	s_wait_loadcnt 0x0
	s_barrier_signal -1
	s_barrier_wait -1
	global_inv scope:SCOPE_SE
	ds_store_2addr_b64 v41, v[1:2], v[5:6] offset1:1
	ds_store_2addr_b64 v41, v[9:10], v[13:14] offset0:2 offset1:3
	ds_store_2addr_b64 v41, v[17:18], v[21:22] offset0:4 offset1:5
	;; [unrolled: 1-line block ×3, first 2 shown]
	v_mov_b32_e32 v5, v65
	s_wait_loadcnt_dscnt 0x0
	s_barrier_signal -1
	s_barrier_wait -1
	global_inv scope:SCOPE_SE
	s_and_saveexec_b32 s7, s2
	s_cbranch_execz .LBB138_102
; %bb.99:                               ;   in Loop: Header=BB138_2 Depth=1
	v_mov_b32_e32 v5, v65
	v_mov_b32_e32 v1, v67
	s_mov_b32 s8, 0
.LBB138_100:                            ;   Parent Loop BB138_2 Depth=1
                                        ; =>  This Inner Loop Header: Depth=2
	s_delay_alu instid0(VALU_DEP_1) | instskip(NEXT) | instid1(VALU_DEP_1)
	v_sub_nc_u32_e32 v2, v1, v5
	v_lshrrev_b32_e32 v2, 1, v2
	s_delay_alu instid0(VALU_DEP_1) | instskip(NEXT) | instid1(VALU_DEP_1)
	v_add_nc_u32_e32 v4, v2, v5
	v_not_b32_e32 v2, v4
	v_lshl_add_u32 v3, v4, 3, v68
	s_delay_alu instid0(VALU_DEP_2)
	v_lshl_add_u32 v6, v2, 3, v86
	ds_load_b64 v[2:3], v3
	ds_load_b64 v[6:7], v6
	s_wait_dscnt 0x0
	v_cmp_lt_i64_e64 s6, v[6:7], v[2:3]
	v_add_nc_u32_e32 v2, 1, v4
	s_wait_alu 0xf1ff
	s_delay_alu instid0(VALU_DEP_2) | instskip(NEXT) | instid1(VALU_DEP_2)
	v_cndmask_b32_e64 v1, v1, v4, s6
	v_cndmask_b32_e64 v5, v2, v5, s6
	s_delay_alu instid0(VALU_DEP_1)
	v_cmp_ge_i32_e64 s6, v5, v1
	s_wait_alu 0xfffe
	s_or_b32 s8, s6, s8
	s_wait_alu 0xfffe
	s_and_not1_b32 exec_lo, exec_lo, s8
	s_cbranch_execnz .LBB138_100
; %bb.101:                              ;   in Loop: Header=BB138_2 Depth=1
	s_or_b32 exec_lo, exec_lo, s8
.LBB138_102:                            ;   in Loop: Header=BB138_2 Depth=1
	s_wait_alu 0xfffe
	s_or_b32 exec_lo, exec_lo, s7
	v_sub_nc_u32_e32 v9, v73, v5
	v_lshl_add_u32 v7, v5, 3, v68
	v_add_nc_u32_e32 v10, v5, v54
                                        ; implicit-def: $vgpr5_vgpr6
	s_delay_alu instid0(VALU_DEP_3) | instskip(SKIP_1) | instid1(VALU_DEP_3)
	v_lshlrev_b32_e32 v11, 3, v9
	v_cmp_gt_i32_e64 s8, v57, v9
	v_cmp_le_i32_e64 s7, v56, v10
	ds_load_b64 v[1:2], v7
	ds_load_b64 v[3:4], v11
	s_wait_dscnt 0x0
	v_cmp_lt_i64_e64 s6, v[3:4], v[1:2]
	s_or_b32 s6, s7, s6
	s_wait_alu 0xfffe
	s_and_b32 s6, s8, s6
	s_wait_alu 0xfffe
	s_xor_b32 s7, s6, -1
	s_wait_alu 0xfffe
	s_and_saveexec_b32 s8, s7
	s_wait_alu 0xfffe
	s_xor_b32 s7, exec_lo, s8
; %bb.103:                              ;   in Loop: Header=BB138_2 Depth=1
	ds_load_b64 v[5:6], v7 offset:8
                                        ; implicit-def: $vgpr11
; %bb.104:                              ;   in Loop: Header=BB138_2 Depth=1
	s_wait_alu 0xfffe
	s_or_saveexec_b32 s7, s7
	v_dual_mov_b32 v8, v4 :: v_dual_mov_b32 v7, v3
	s_wait_alu 0xfffe
	s_xor_b32 exec_lo, exec_lo, s7
	s_cbranch_execz .LBB138_106
; %bb.105:                              ;   in Loop: Header=BB138_2 Depth=1
	ds_load_b64 v[7:8], v11 offset:8
	s_wait_dscnt 0x1
	v_dual_mov_b32 v6, v2 :: v_dual_mov_b32 v5, v1
.LBB138_106:                            ;   in Loop: Header=BB138_2 Depth=1
	s_or_b32 exec_lo, exec_lo, s7
	v_add_nc_u32_e32 v11, 1, v10
	v_add_nc_u32_e32 v12, 1, v9
	s_wait_dscnt 0x0
	v_cmp_lt_i64_e64 s7, v[7:8], v[5:6]
	s_delay_alu instid0(VALU_DEP_3) | instskip(NEXT) | instid1(VALU_DEP_3)
	v_cndmask_b32_e64 v14, v11, v10, s6
	v_cndmask_b32_e64 v13, v9, v12, s6
                                        ; implicit-def: $vgpr9_vgpr10
	s_delay_alu instid0(VALU_DEP_2) | instskip(NEXT) | instid1(VALU_DEP_2)
	v_cmp_ge_i32_e64 s8, v14, v56
	v_cmp_lt_i32_e64 s9, v13, v57
	s_or_b32 s7, s8, s7
	s_wait_alu 0xfffe
	s_and_b32 s7, s9, s7
	s_wait_alu 0xfffe
	s_xor_b32 s8, s7, -1
	s_wait_alu 0xfffe
	s_and_saveexec_b32 s9, s8
	s_wait_alu 0xfffe
	s_xor_b32 s8, exec_lo, s9
; %bb.107:                              ;   in Loop: Header=BB138_2 Depth=1
	v_lshlrev_b32_e32 v9, 3, v14
	ds_load_b64 v[9:10], v9 offset:8
; %bb.108:                              ;   in Loop: Header=BB138_2 Depth=1
	s_wait_alu 0xfffe
	s_or_saveexec_b32 s8, s8
	v_dual_mov_b32 v12, v8 :: v_dual_mov_b32 v11, v7
	s_wait_alu 0xfffe
	s_xor_b32 exec_lo, exec_lo, s8
	s_cbranch_execz .LBB138_110
; %bb.109:                              ;   in Loop: Header=BB138_2 Depth=1
	s_wait_dscnt 0x0
	v_lshlrev_b32_e32 v9, 3, v13
	ds_load_b64 v[11:12], v9 offset:8
	v_dual_mov_b32 v10, v6 :: v_dual_mov_b32 v9, v5
.LBB138_110:                            ;   in Loop: Header=BB138_2 Depth=1
	s_or_b32 exec_lo, exec_lo, s8
	v_add_nc_u32_e32 v15, 1, v14
	v_add_nc_u32_e32 v16, 1, v13
	s_wait_dscnt 0x0
	v_cmp_lt_i64_e64 s8, v[11:12], v[9:10]
	s_delay_alu instid0(VALU_DEP_3) | instskip(NEXT) | instid1(VALU_DEP_3)
	v_cndmask_b32_e64 v18, v15, v14, s7
	v_cndmask_b32_e64 v17, v13, v16, s7
                                        ; implicit-def: $vgpr13_vgpr14
	s_delay_alu instid0(VALU_DEP_2) | instskip(NEXT) | instid1(VALU_DEP_2)
	v_cmp_ge_i32_e64 s9, v18, v56
	v_cmp_lt_i32_e64 s10, v17, v57
	s_or_b32 s8, s9, s8
	s_wait_alu 0xfffe
	s_and_b32 s8, s10, s8
	s_wait_alu 0xfffe
	s_xor_b32 s9, s8, -1
	s_wait_alu 0xfffe
	s_and_saveexec_b32 s10, s9
	s_wait_alu 0xfffe
	s_xor_b32 s9, exec_lo, s10
; %bb.111:                              ;   in Loop: Header=BB138_2 Depth=1
	v_lshlrev_b32_e32 v13, 3, v18
	ds_load_b64 v[13:14], v13 offset:8
; %bb.112:                              ;   in Loop: Header=BB138_2 Depth=1
	s_wait_alu 0xfffe
	s_or_saveexec_b32 s9, s9
	v_dual_mov_b32 v16, v12 :: v_dual_mov_b32 v15, v11
	s_wait_alu 0xfffe
	s_xor_b32 exec_lo, exec_lo, s9
	s_cbranch_execz .LBB138_114
; %bb.113:                              ;   in Loop: Header=BB138_2 Depth=1
	s_wait_dscnt 0x0
	v_lshlrev_b32_e32 v13, 3, v17
	ds_load_b64 v[15:16], v13 offset:8
	v_dual_mov_b32 v14, v10 :: v_dual_mov_b32 v13, v9
.LBB138_114:                            ;   in Loop: Header=BB138_2 Depth=1
	s_or_b32 exec_lo, exec_lo, s9
	v_add_nc_u32_e32 v19, 1, v18
	v_add_nc_u32_e32 v20, 1, v17
	s_wait_dscnt 0x0
	v_cmp_lt_i64_e64 s9, v[15:16], v[13:14]
	s_delay_alu instid0(VALU_DEP_3) | instskip(NEXT) | instid1(VALU_DEP_3)
	v_cndmask_b32_e64 v22, v19, v18, s8
	v_cndmask_b32_e64 v21, v17, v20, s8
                                        ; implicit-def: $vgpr17_vgpr18
	s_delay_alu instid0(VALU_DEP_2) | instskip(NEXT) | instid1(VALU_DEP_2)
	v_cmp_ge_i32_e64 s10, v22, v56
	v_cmp_lt_i32_e64 s11, v21, v57
	s_or_b32 s9, s10, s9
	s_wait_alu 0xfffe
	s_and_b32 s9, s11, s9
	s_wait_alu 0xfffe
	s_xor_b32 s10, s9, -1
	s_wait_alu 0xfffe
	s_and_saveexec_b32 s11, s10
	s_wait_alu 0xfffe
	s_xor_b32 s10, exec_lo, s11
; %bb.115:                              ;   in Loop: Header=BB138_2 Depth=1
	v_lshlrev_b32_e32 v17, 3, v22
	ds_load_b64 v[17:18], v17 offset:8
; %bb.116:                              ;   in Loop: Header=BB138_2 Depth=1
	s_wait_alu 0xfffe
	s_or_saveexec_b32 s10, s10
	v_dual_mov_b32 v20, v16 :: v_dual_mov_b32 v19, v15
	s_wait_alu 0xfffe
	s_xor_b32 exec_lo, exec_lo, s10
	s_cbranch_execz .LBB138_118
; %bb.117:                              ;   in Loop: Header=BB138_2 Depth=1
	s_wait_dscnt 0x0
	v_lshlrev_b32_e32 v17, 3, v21
	ds_load_b64 v[19:20], v17 offset:8
	v_dual_mov_b32 v18, v14 :: v_dual_mov_b32 v17, v13
.LBB138_118:                            ;   in Loop: Header=BB138_2 Depth=1
	s_or_b32 exec_lo, exec_lo, s10
	v_add_nc_u32_e32 v23, 1, v22
	v_add_nc_u32_e32 v24, 1, v21
	s_wait_dscnt 0x0
	v_cmp_lt_i64_e64 s10, v[19:20], v[17:18]
	s_delay_alu instid0(VALU_DEP_3) | instskip(NEXT) | instid1(VALU_DEP_3)
	v_cndmask_b32_e64 v26, v23, v22, s9
	v_cndmask_b32_e64 v25, v21, v24, s9
                                        ; implicit-def: $vgpr21_vgpr22
	s_delay_alu instid0(VALU_DEP_2) | instskip(NEXT) | instid1(VALU_DEP_2)
	v_cmp_ge_i32_e64 s11, v26, v56
	v_cmp_lt_i32_e64 s12, v25, v57
	s_or_b32 s10, s11, s10
	s_wait_alu 0xfffe
	s_and_b32 s10, s12, s10
	s_wait_alu 0xfffe
	s_xor_b32 s11, s10, -1
	s_wait_alu 0xfffe
	s_and_saveexec_b32 s12, s11
	s_wait_alu 0xfffe
	s_xor_b32 s11, exec_lo, s12
; %bb.119:                              ;   in Loop: Header=BB138_2 Depth=1
	v_lshlrev_b32_e32 v21, 3, v26
	ds_load_b64 v[21:22], v21 offset:8
; %bb.120:                              ;   in Loop: Header=BB138_2 Depth=1
	s_wait_alu 0xfffe
	s_or_saveexec_b32 s11, s11
	v_dual_mov_b32 v24, v20 :: v_dual_mov_b32 v23, v19
	s_wait_alu 0xfffe
	s_xor_b32 exec_lo, exec_lo, s11
	s_cbranch_execz .LBB138_122
; %bb.121:                              ;   in Loop: Header=BB138_2 Depth=1
	s_wait_dscnt 0x0
	v_lshlrev_b32_e32 v21, 3, v25
	ds_load_b64 v[23:24], v21 offset:8
	v_dual_mov_b32 v22, v18 :: v_dual_mov_b32 v21, v17
.LBB138_122:                            ;   in Loop: Header=BB138_2 Depth=1
	s_or_b32 exec_lo, exec_lo, s11
	v_add_nc_u32_e32 v27, 1, v26
	v_add_nc_u32_e32 v28, 1, v25
	s_wait_dscnt 0x0
	v_cmp_lt_i64_e64 s11, v[23:24], v[21:22]
	s_delay_alu instid0(VALU_DEP_3) | instskip(NEXT) | instid1(VALU_DEP_3)
	v_cndmask_b32_e64 v30, v27, v26, s10
	v_cndmask_b32_e64 v29, v25, v28, s10
                                        ; implicit-def: $vgpr25_vgpr26
	s_delay_alu instid0(VALU_DEP_2) | instskip(NEXT) | instid1(VALU_DEP_2)
	v_cmp_ge_i32_e64 s12, v30, v56
	v_cmp_lt_i32_e64 s13, v29, v57
	s_or_b32 s11, s12, s11
	s_wait_alu 0xfffe
	s_and_b32 s11, s13, s11
	s_wait_alu 0xfffe
	s_xor_b32 s12, s11, -1
	s_wait_alu 0xfffe
	s_and_saveexec_b32 s13, s12
	s_wait_alu 0xfffe
	s_xor_b32 s12, exec_lo, s13
; %bb.123:                              ;   in Loop: Header=BB138_2 Depth=1
	v_lshlrev_b32_e32 v25, 3, v30
	ds_load_b64 v[25:26], v25 offset:8
; %bb.124:                              ;   in Loop: Header=BB138_2 Depth=1
	s_wait_alu 0xfffe
	s_or_saveexec_b32 s12, s12
	v_dual_mov_b32 v28, v24 :: v_dual_mov_b32 v27, v23
	s_wait_alu 0xfffe
	s_xor_b32 exec_lo, exec_lo, s12
	s_cbranch_execz .LBB138_126
; %bb.125:                              ;   in Loop: Header=BB138_2 Depth=1
	s_wait_dscnt 0x0
	v_lshlrev_b32_e32 v25, 3, v29
	ds_load_b64 v[27:28], v25 offset:8
	v_dual_mov_b32 v26, v22 :: v_dual_mov_b32 v25, v21
.LBB138_126:                            ;   in Loop: Header=BB138_2 Depth=1
	s_or_b32 exec_lo, exec_lo, s12
	v_add_nc_u32_e32 v31, 1, v30
	v_add_nc_u32_e32 v32, 1, v29
	s_wait_dscnt 0x0
	v_cmp_lt_i64_e64 s12, v[27:28], v[25:26]
	s_delay_alu instid0(VALU_DEP_3) | instskip(NEXT) | instid1(VALU_DEP_3)
	v_cndmask_b32_e64 v33, v31, v30, s11
	v_cndmask_b32_e64 v34, v29, v32, s11
                                        ; implicit-def: $vgpr29_vgpr30
	s_delay_alu instid0(VALU_DEP_2) | instskip(NEXT) | instid1(VALU_DEP_2)
	v_cmp_ge_i32_e64 s13, v33, v56
	v_cmp_lt_i32_e64 s14, v34, v57
	s_or_b32 s12, s13, s12
	s_wait_alu 0xfffe
	s_and_b32 s12, s14, s12
	s_wait_alu 0xfffe
	s_xor_b32 s13, s12, -1
	s_wait_alu 0xfffe
	s_and_saveexec_b32 s14, s13
	s_delay_alu instid0(SALU_CYCLE_1)
	s_xor_b32 s13, exec_lo, s14
; %bb.127:                              ;   in Loop: Header=BB138_2 Depth=1
	v_lshlrev_b32_e32 v29, 3, v33
	ds_load_b64 v[29:30], v29 offset:8
; %bb.128:                              ;   in Loop: Header=BB138_2 Depth=1
	s_wait_alu 0xfffe
	s_or_saveexec_b32 s13, s13
	v_dual_mov_b32 v32, v28 :: v_dual_mov_b32 v31, v27
	s_wait_alu 0xfffe
	s_xor_b32 exec_lo, exec_lo, s13
	s_cbranch_execz .LBB138_130
; %bb.129:                              ;   in Loop: Header=BB138_2 Depth=1
	s_wait_dscnt 0x0
	v_lshlrev_b32_e32 v29, 3, v34
	ds_load_b64 v[31:32], v29 offset:8
	v_dual_mov_b32 v30, v26 :: v_dual_mov_b32 v29, v25
.LBB138_130:                            ;   in Loop: Header=BB138_2 Depth=1
	s_or_b32 exec_lo, exec_lo, s13
	v_add_nc_u32_e32 v36, 1, v33
	v_add_nc_u32_e32 v35, 1, v34
	v_cndmask_b32_e64 v26, v26, v28, s12
	v_cndmask_b32_e64 v25, v25, v27, s12
	;; [unrolled: 1-line block ×6, first 2 shown]
	s_wait_dscnt 0x0
	v_cmp_lt_i64_e64 s8, v[31:32], v[29:30]
	v_cndmask_b32_e64 v14, v14, v16, s9
	v_cndmask_b32_e64 v13, v13, v15, s9
	v_cmp_ge_i32_e64 s9, v28, v56
	v_cndmask_b32_e64 v18, v18, v20, s10
	v_cndmask_b32_e64 v17, v17, v19, s10
	v_cmp_lt_i32_e64 s10, v27, v57
	v_cndmask_b32_e64 v6, v6, v8, s7
	v_cndmask_b32_e64 v5, v5, v7, s7
	s_or_b32 s7, s9, s8
	v_cndmask_b32_e64 v2, v2, v4, s6
	v_cndmask_b32_e64 v1, v1, v3, s6
	s_wait_alu 0xfffe
	s_and_b32 s6, s10, s7
	v_cndmask_b32_e64 v22, v22, v24, s11
	v_cndmask_b32_e64 v21, v21, v23, s11
	s_wait_alu 0xfffe
	v_cndmask_b32_e64 v4, v30, v32, s6
	v_cndmask_b32_e64 v3, v29, v31, s6
	s_wait_loadcnt 0x0
	s_barrier_signal -1
	s_barrier_wait -1
	global_inv scope:SCOPE_SE
	ds_store_2addr_b64 v41, v[1:2], v[5:6] offset1:1
	ds_store_2addr_b64 v41, v[9:10], v[13:14] offset0:2 offset1:3
	ds_store_2addr_b64 v41, v[17:18], v[21:22] offset0:4 offset1:5
	;; [unrolled: 1-line block ×3, first 2 shown]
	v_mov_b32_e32 v5, v71
	s_wait_loadcnt_dscnt 0x0
	s_barrier_signal -1
	s_barrier_wait -1
	global_inv scope:SCOPE_SE
	s_and_saveexec_b32 s7, s3
	s_cbranch_execz .LBB138_134
; %bb.131:                              ;   in Loop: Header=BB138_2 Depth=1
	v_mov_b32_e32 v5, v71
	v_mov_b32_e32 v1, v72
	s_mov_b32 s8, 0
.LBB138_132:                            ;   Parent Loop BB138_2 Depth=1
                                        ; =>  This Inner Loop Header: Depth=2
	s_delay_alu instid0(VALU_DEP_1) | instskip(NEXT) | instid1(VALU_DEP_1)
	v_sub_nc_u32_e32 v2, v1, v5
	v_lshrrev_b32_e32 v2, 1, v2
	s_delay_alu instid0(VALU_DEP_1) | instskip(NEXT) | instid1(VALU_DEP_1)
	v_add_nc_u32_e32 v4, v2, v5
	v_not_b32_e32 v2, v4
	v_lshl_add_u32 v3, v4, 3, v74
	s_delay_alu instid0(VALU_DEP_2)
	v_lshl_add_u32 v6, v2, 3, v87
	ds_load_b64 v[2:3], v3
	ds_load_b64 v[6:7], v6
	s_wait_dscnt 0x0
	v_cmp_lt_i64_e64 s6, v[6:7], v[2:3]
	v_add_nc_u32_e32 v2, 1, v4
	s_wait_alu 0xf1ff
	s_delay_alu instid0(VALU_DEP_2) | instskip(NEXT) | instid1(VALU_DEP_2)
	v_cndmask_b32_e64 v1, v1, v4, s6
	v_cndmask_b32_e64 v5, v2, v5, s6
	s_delay_alu instid0(VALU_DEP_1)
	v_cmp_ge_i32_e64 s6, v5, v1
	s_wait_alu 0xfffe
	s_or_b32 s8, s6, s8
	s_wait_alu 0xfffe
	s_and_not1_b32 exec_lo, exec_lo, s8
	s_cbranch_execnz .LBB138_132
; %bb.133:                              ;   in Loop: Header=BB138_2 Depth=1
	s_or_b32 exec_lo, exec_lo, s8
.LBB138_134:                            ;   in Loop: Header=BB138_2 Depth=1
	s_wait_alu 0xfffe
	s_or_b32 exec_lo, exec_lo, s7
	v_sub_nc_u32_e32 v9, v75, v5
	v_lshl_add_u32 v7, v5, 3, v74
	v_add_nc_u32_e32 v10, v5, v61
                                        ; implicit-def: $vgpr5_vgpr6
	s_delay_alu instid0(VALU_DEP_3) | instskip(SKIP_1) | instid1(VALU_DEP_3)
	v_lshlrev_b32_e32 v11, 3, v9
	v_cmp_gt_i32_e64 s8, v64, v9
	v_cmp_le_i32_e64 s7, v63, v10
	ds_load_b64 v[1:2], v7
	ds_load_b64 v[3:4], v11
	s_wait_dscnt 0x0
	v_cmp_lt_i64_e64 s6, v[3:4], v[1:2]
	s_or_b32 s6, s7, s6
	s_wait_alu 0xfffe
	s_and_b32 s6, s8, s6
	s_wait_alu 0xfffe
	s_xor_b32 s7, s6, -1
	s_wait_alu 0xfffe
	s_and_saveexec_b32 s8, s7
	s_wait_alu 0xfffe
	s_xor_b32 s7, exec_lo, s8
; %bb.135:                              ;   in Loop: Header=BB138_2 Depth=1
	ds_load_b64 v[5:6], v7 offset:8
                                        ; implicit-def: $vgpr11
; %bb.136:                              ;   in Loop: Header=BB138_2 Depth=1
	s_wait_alu 0xfffe
	s_or_saveexec_b32 s7, s7
	v_dual_mov_b32 v8, v4 :: v_dual_mov_b32 v7, v3
	s_wait_alu 0xfffe
	s_xor_b32 exec_lo, exec_lo, s7
	s_cbranch_execz .LBB138_138
; %bb.137:                              ;   in Loop: Header=BB138_2 Depth=1
	ds_load_b64 v[7:8], v11 offset:8
	s_wait_dscnt 0x1
	v_dual_mov_b32 v6, v2 :: v_dual_mov_b32 v5, v1
.LBB138_138:                            ;   in Loop: Header=BB138_2 Depth=1
	s_or_b32 exec_lo, exec_lo, s7
	v_add_nc_u32_e32 v11, 1, v10
	v_add_nc_u32_e32 v12, 1, v9
	s_wait_dscnt 0x0
	v_cmp_lt_i64_e64 s7, v[7:8], v[5:6]
	s_delay_alu instid0(VALU_DEP_3) | instskip(NEXT) | instid1(VALU_DEP_3)
	v_cndmask_b32_e64 v14, v11, v10, s6
	v_cndmask_b32_e64 v13, v9, v12, s6
                                        ; implicit-def: $vgpr9_vgpr10
	s_delay_alu instid0(VALU_DEP_2) | instskip(NEXT) | instid1(VALU_DEP_2)
	v_cmp_ge_i32_e64 s8, v14, v63
	v_cmp_lt_i32_e64 s9, v13, v64
	s_or_b32 s7, s8, s7
	s_wait_alu 0xfffe
	s_and_b32 s7, s9, s7
	s_wait_alu 0xfffe
	s_xor_b32 s8, s7, -1
	s_wait_alu 0xfffe
	s_and_saveexec_b32 s9, s8
	s_wait_alu 0xfffe
	s_xor_b32 s8, exec_lo, s9
; %bb.139:                              ;   in Loop: Header=BB138_2 Depth=1
	v_lshlrev_b32_e32 v9, 3, v14
	ds_load_b64 v[9:10], v9 offset:8
; %bb.140:                              ;   in Loop: Header=BB138_2 Depth=1
	s_wait_alu 0xfffe
	s_or_saveexec_b32 s8, s8
	v_dual_mov_b32 v12, v8 :: v_dual_mov_b32 v11, v7
	s_wait_alu 0xfffe
	s_xor_b32 exec_lo, exec_lo, s8
	s_cbranch_execz .LBB138_142
; %bb.141:                              ;   in Loop: Header=BB138_2 Depth=1
	s_wait_dscnt 0x0
	v_lshlrev_b32_e32 v9, 3, v13
	ds_load_b64 v[11:12], v9 offset:8
	v_dual_mov_b32 v10, v6 :: v_dual_mov_b32 v9, v5
.LBB138_142:                            ;   in Loop: Header=BB138_2 Depth=1
	s_or_b32 exec_lo, exec_lo, s8
	v_add_nc_u32_e32 v15, 1, v14
	v_add_nc_u32_e32 v16, 1, v13
	s_wait_dscnt 0x0
	v_cmp_lt_i64_e64 s8, v[11:12], v[9:10]
	s_delay_alu instid0(VALU_DEP_3) | instskip(NEXT) | instid1(VALU_DEP_3)
	v_cndmask_b32_e64 v18, v15, v14, s7
	v_cndmask_b32_e64 v17, v13, v16, s7
                                        ; implicit-def: $vgpr13_vgpr14
	s_delay_alu instid0(VALU_DEP_2) | instskip(NEXT) | instid1(VALU_DEP_2)
	v_cmp_ge_i32_e64 s9, v18, v63
	v_cmp_lt_i32_e64 s10, v17, v64
	s_or_b32 s8, s9, s8
	s_wait_alu 0xfffe
	s_and_b32 s8, s10, s8
	s_wait_alu 0xfffe
	s_xor_b32 s9, s8, -1
	s_wait_alu 0xfffe
	s_and_saveexec_b32 s10, s9
	s_wait_alu 0xfffe
	s_xor_b32 s9, exec_lo, s10
; %bb.143:                              ;   in Loop: Header=BB138_2 Depth=1
	v_lshlrev_b32_e32 v13, 3, v18
	ds_load_b64 v[13:14], v13 offset:8
; %bb.144:                              ;   in Loop: Header=BB138_2 Depth=1
	s_wait_alu 0xfffe
	s_or_saveexec_b32 s9, s9
	v_dual_mov_b32 v16, v12 :: v_dual_mov_b32 v15, v11
	s_wait_alu 0xfffe
	s_xor_b32 exec_lo, exec_lo, s9
	s_cbranch_execz .LBB138_146
; %bb.145:                              ;   in Loop: Header=BB138_2 Depth=1
	s_wait_dscnt 0x0
	v_lshlrev_b32_e32 v13, 3, v17
	ds_load_b64 v[15:16], v13 offset:8
	v_dual_mov_b32 v14, v10 :: v_dual_mov_b32 v13, v9
.LBB138_146:                            ;   in Loop: Header=BB138_2 Depth=1
	s_or_b32 exec_lo, exec_lo, s9
	v_add_nc_u32_e32 v19, 1, v18
	v_add_nc_u32_e32 v20, 1, v17
	s_wait_dscnt 0x0
	v_cmp_lt_i64_e64 s9, v[15:16], v[13:14]
	s_delay_alu instid0(VALU_DEP_3) | instskip(NEXT) | instid1(VALU_DEP_3)
	v_cndmask_b32_e64 v22, v19, v18, s8
	v_cndmask_b32_e64 v21, v17, v20, s8
                                        ; implicit-def: $vgpr17_vgpr18
	s_delay_alu instid0(VALU_DEP_2) | instskip(NEXT) | instid1(VALU_DEP_2)
	v_cmp_ge_i32_e64 s10, v22, v63
	v_cmp_lt_i32_e64 s11, v21, v64
	s_or_b32 s9, s10, s9
	s_wait_alu 0xfffe
	s_and_b32 s9, s11, s9
	s_wait_alu 0xfffe
	s_xor_b32 s10, s9, -1
	s_wait_alu 0xfffe
	s_and_saveexec_b32 s11, s10
	s_wait_alu 0xfffe
	s_xor_b32 s10, exec_lo, s11
; %bb.147:                              ;   in Loop: Header=BB138_2 Depth=1
	v_lshlrev_b32_e32 v17, 3, v22
	ds_load_b64 v[17:18], v17 offset:8
; %bb.148:                              ;   in Loop: Header=BB138_2 Depth=1
	s_wait_alu 0xfffe
	s_or_saveexec_b32 s10, s10
	v_dual_mov_b32 v20, v16 :: v_dual_mov_b32 v19, v15
	s_wait_alu 0xfffe
	s_xor_b32 exec_lo, exec_lo, s10
	s_cbranch_execz .LBB138_150
; %bb.149:                              ;   in Loop: Header=BB138_2 Depth=1
	s_wait_dscnt 0x0
	v_lshlrev_b32_e32 v17, 3, v21
	ds_load_b64 v[19:20], v17 offset:8
	v_dual_mov_b32 v18, v14 :: v_dual_mov_b32 v17, v13
.LBB138_150:                            ;   in Loop: Header=BB138_2 Depth=1
	s_or_b32 exec_lo, exec_lo, s10
	v_add_nc_u32_e32 v23, 1, v22
	v_add_nc_u32_e32 v24, 1, v21
	s_wait_dscnt 0x0
	v_cmp_lt_i64_e64 s10, v[19:20], v[17:18]
	s_delay_alu instid0(VALU_DEP_3) | instskip(NEXT) | instid1(VALU_DEP_3)
	v_cndmask_b32_e64 v26, v23, v22, s9
	v_cndmask_b32_e64 v25, v21, v24, s9
                                        ; implicit-def: $vgpr21_vgpr22
	s_delay_alu instid0(VALU_DEP_2) | instskip(NEXT) | instid1(VALU_DEP_2)
	v_cmp_ge_i32_e64 s11, v26, v63
	v_cmp_lt_i32_e64 s12, v25, v64
	s_or_b32 s10, s11, s10
	s_wait_alu 0xfffe
	s_and_b32 s10, s12, s10
	s_wait_alu 0xfffe
	s_xor_b32 s11, s10, -1
	s_wait_alu 0xfffe
	s_and_saveexec_b32 s12, s11
	s_wait_alu 0xfffe
	s_xor_b32 s11, exec_lo, s12
; %bb.151:                              ;   in Loop: Header=BB138_2 Depth=1
	v_lshlrev_b32_e32 v21, 3, v26
	ds_load_b64 v[21:22], v21 offset:8
; %bb.152:                              ;   in Loop: Header=BB138_2 Depth=1
	s_wait_alu 0xfffe
	s_or_saveexec_b32 s11, s11
	v_dual_mov_b32 v24, v20 :: v_dual_mov_b32 v23, v19
	s_wait_alu 0xfffe
	s_xor_b32 exec_lo, exec_lo, s11
	s_cbranch_execz .LBB138_154
; %bb.153:                              ;   in Loop: Header=BB138_2 Depth=1
	s_wait_dscnt 0x0
	v_lshlrev_b32_e32 v21, 3, v25
	ds_load_b64 v[23:24], v21 offset:8
	v_dual_mov_b32 v22, v18 :: v_dual_mov_b32 v21, v17
.LBB138_154:                            ;   in Loop: Header=BB138_2 Depth=1
	s_or_b32 exec_lo, exec_lo, s11
	v_add_nc_u32_e32 v27, 1, v26
	v_add_nc_u32_e32 v28, 1, v25
	s_wait_dscnt 0x0
	v_cmp_lt_i64_e64 s11, v[23:24], v[21:22]
	s_delay_alu instid0(VALU_DEP_3) | instskip(NEXT) | instid1(VALU_DEP_3)
	v_cndmask_b32_e64 v30, v27, v26, s10
	v_cndmask_b32_e64 v29, v25, v28, s10
                                        ; implicit-def: $vgpr25_vgpr26
	s_delay_alu instid0(VALU_DEP_2) | instskip(NEXT) | instid1(VALU_DEP_2)
	v_cmp_ge_i32_e64 s12, v30, v63
	v_cmp_lt_i32_e64 s13, v29, v64
	s_or_b32 s11, s12, s11
	s_wait_alu 0xfffe
	s_and_b32 s11, s13, s11
	s_wait_alu 0xfffe
	s_xor_b32 s12, s11, -1
	s_wait_alu 0xfffe
	s_and_saveexec_b32 s13, s12
	s_wait_alu 0xfffe
	s_xor_b32 s12, exec_lo, s13
; %bb.155:                              ;   in Loop: Header=BB138_2 Depth=1
	v_lshlrev_b32_e32 v25, 3, v30
	ds_load_b64 v[25:26], v25 offset:8
; %bb.156:                              ;   in Loop: Header=BB138_2 Depth=1
	s_wait_alu 0xfffe
	s_or_saveexec_b32 s12, s12
	v_dual_mov_b32 v28, v24 :: v_dual_mov_b32 v27, v23
	s_wait_alu 0xfffe
	s_xor_b32 exec_lo, exec_lo, s12
	s_cbranch_execz .LBB138_158
; %bb.157:                              ;   in Loop: Header=BB138_2 Depth=1
	s_wait_dscnt 0x0
	v_lshlrev_b32_e32 v25, 3, v29
	ds_load_b64 v[27:28], v25 offset:8
	v_dual_mov_b32 v26, v22 :: v_dual_mov_b32 v25, v21
.LBB138_158:                            ;   in Loop: Header=BB138_2 Depth=1
	s_or_b32 exec_lo, exec_lo, s12
	v_add_nc_u32_e32 v31, 1, v30
	v_add_nc_u32_e32 v32, 1, v29
	s_wait_dscnt 0x0
	v_cmp_lt_i64_e64 s12, v[27:28], v[25:26]
	s_delay_alu instid0(VALU_DEP_3) | instskip(NEXT) | instid1(VALU_DEP_3)
	v_cndmask_b32_e64 v33, v31, v30, s11
	v_cndmask_b32_e64 v34, v29, v32, s11
                                        ; implicit-def: $vgpr29_vgpr30
	s_delay_alu instid0(VALU_DEP_2) | instskip(NEXT) | instid1(VALU_DEP_2)
	v_cmp_ge_i32_e64 s13, v33, v63
	v_cmp_lt_i32_e64 s14, v34, v64
	s_or_b32 s12, s13, s12
	s_wait_alu 0xfffe
	s_and_b32 s12, s14, s12
	s_wait_alu 0xfffe
	s_xor_b32 s13, s12, -1
	s_wait_alu 0xfffe
	s_and_saveexec_b32 s14, s13
	s_delay_alu instid0(SALU_CYCLE_1)
	s_xor_b32 s13, exec_lo, s14
; %bb.159:                              ;   in Loop: Header=BB138_2 Depth=1
	v_lshlrev_b32_e32 v29, 3, v33
	ds_load_b64 v[29:30], v29 offset:8
; %bb.160:                              ;   in Loop: Header=BB138_2 Depth=1
	s_wait_alu 0xfffe
	s_or_saveexec_b32 s13, s13
	v_dual_mov_b32 v32, v28 :: v_dual_mov_b32 v31, v27
	s_wait_alu 0xfffe
	s_xor_b32 exec_lo, exec_lo, s13
	s_cbranch_execz .LBB138_162
; %bb.161:                              ;   in Loop: Header=BB138_2 Depth=1
	s_wait_dscnt 0x0
	v_lshlrev_b32_e32 v29, 3, v34
	ds_load_b64 v[31:32], v29 offset:8
	v_dual_mov_b32 v30, v26 :: v_dual_mov_b32 v29, v25
.LBB138_162:                            ;   in Loop: Header=BB138_2 Depth=1
	s_or_b32 exec_lo, exec_lo, s13
	v_add_nc_u32_e32 v36, 1, v33
	v_add_nc_u32_e32 v35, 1, v34
	v_cndmask_b32_e64 v26, v26, v28, s12
	v_cndmask_b32_e64 v25, v25, v27, s12
	;; [unrolled: 1-line block ×6, first 2 shown]
	s_wait_dscnt 0x0
	v_cmp_lt_i64_e64 s8, v[31:32], v[29:30]
	v_cndmask_b32_e64 v14, v14, v16, s9
	v_cndmask_b32_e64 v13, v13, v15, s9
	v_cmp_ge_i32_e64 s9, v28, v63
	v_cndmask_b32_e64 v18, v18, v20, s10
	v_cndmask_b32_e64 v17, v17, v19, s10
	v_cmp_lt_i32_e64 s10, v27, v64
	v_cndmask_b32_e64 v6, v6, v8, s7
	v_cndmask_b32_e64 v5, v5, v7, s7
	s_or_b32 s7, s9, s8
	v_cndmask_b32_e64 v2, v2, v4, s6
	v_cndmask_b32_e64 v1, v1, v3, s6
	s_wait_alu 0xfffe
	s_and_b32 s6, s10, s7
	v_cndmask_b32_e64 v22, v22, v24, s11
	v_cndmask_b32_e64 v21, v21, v23, s11
	s_wait_alu 0xfffe
	v_cndmask_b32_e64 v4, v30, v32, s6
	v_cndmask_b32_e64 v3, v29, v31, s6
	s_wait_loadcnt 0x0
	s_barrier_signal -1
	s_barrier_wait -1
	global_inv scope:SCOPE_SE
	ds_store_2addr_b64 v41, v[1:2], v[5:6] offset1:1
	ds_store_2addr_b64 v41, v[9:10], v[13:14] offset0:2 offset1:3
	ds_store_2addr_b64 v41, v[17:18], v[21:22] offset0:4 offset1:5
	;; [unrolled: 1-line block ×3, first 2 shown]
	v_mov_b32_e32 v5, v76
	s_wait_loadcnt_dscnt 0x0
	s_barrier_signal -1
	s_barrier_wait -1
	global_inv scope:SCOPE_SE
	s_and_saveexec_b32 s7, s4
	s_cbranch_execz .LBB138_166
; %bb.163:                              ;   in Loop: Header=BB138_2 Depth=1
	v_mov_b32_e32 v5, v76
	v_mov_b32_e32 v1, v77
	s_mov_b32 s8, 0
.LBB138_164:                            ;   Parent Loop BB138_2 Depth=1
                                        ; =>  This Inner Loop Header: Depth=2
	s_delay_alu instid0(VALU_DEP_1) | instskip(NEXT) | instid1(VALU_DEP_1)
	v_sub_nc_u32_e32 v2, v1, v5
	v_lshrrev_b32_e32 v2, 1, v2
	s_delay_alu instid0(VALU_DEP_1) | instskip(NEXT) | instid1(VALU_DEP_1)
	v_add_nc_u32_e32 v4, v2, v5
	v_not_b32_e32 v2, v4
	v_lshl_add_u32 v3, v4, 3, v80
	s_delay_alu instid0(VALU_DEP_2)
	v_lshl_add_u32 v6, v2, 3, v88
	ds_load_b64 v[2:3], v3
	ds_load_b64 v[6:7], v6
	s_wait_dscnt 0x0
	v_cmp_lt_i64_e64 s6, v[6:7], v[2:3]
	v_add_nc_u32_e32 v2, 1, v4
	s_wait_alu 0xf1ff
	s_delay_alu instid0(VALU_DEP_2) | instskip(NEXT) | instid1(VALU_DEP_2)
	v_cndmask_b32_e64 v1, v1, v4, s6
	v_cndmask_b32_e64 v5, v2, v5, s6
	s_delay_alu instid0(VALU_DEP_1)
	v_cmp_ge_i32_e64 s6, v5, v1
	s_wait_alu 0xfffe
	s_or_b32 s8, s6, s8
	s_wait_alu 0xfffe
	s_and_not1_b32 exec_lo, exec_lo, s8
	s_cbranch_execnz .LBB138_164
; %bb.165:                              ;   in Loop: Header=BB138_2 Depth=1
	s_or_b32 exec_lo, exec_lo, s8
.LBB138_166:                            ;   in Loop: Header=BB138_2 Depth=1
	s_wait_alu 0xfffe
	s_or_b32 exec_lo, exec_lo, s7
	v_sub_nc_u32_e32 v9, v81, v5
	v_lshl_add_u32 v7, v5, 3, v80
	v_add_nc_u32_e32 v10, v5, v66
                                        ; implicit-def: $vgpr5_vgpr6
	s_delay_alu instid0(VALU_DEP_3) | instskip(SKIP_1) | instid1(VALU_DEP_3)
	v_lshlrev_b32_e32 v11, 3, v9
	v_cmp_gt_i32_e64 s8, v70, v9
	v_cmp_le_i32_e64 s7, v69, v10
	ds_load_b64 v[1:2], v7
	ds_load_b64 v[3:4], v11
	s_wait_dscnt 0x0
	v_cmp_lt_i64_e64 s6, v[3:4], v[1:2]
	s_or_b32 s6, s7, s6
	s_wait_alu 0xfffe
	s_and_b32 s6, s8, s6
	s_wait_alu 0xfffe
	s_xor_b32 s7, s6, -1
	s_wait_alu 0xfffe
	s_and_saveexec_b32 s8, s7
	s_wait_alu 0xfffe
	s_xor_b32 s7, exec_lo, s8
; %bb.167:                              ;   in Loop: Header=BB138_2 Depth=1
	ds_load_b64 v[5:6], v7 offset:8
                                        ; implicit-def: $vgpr11
; %bb.168:                              ;   in Loop: Header=BB138_2 Depth=1
	s_wait_alu 0xfffe
	s_or_saveexec_b32 s7, s7
	v_dual_mov_b32 v8, v4 :: v_dual_mov_b32 v7, v3
	s_wait_alu 0xfffe
	s_xor_b32 exec_lo, exec_lo, s7
	s_cbranch_execz .LBB138_170
; %bb.169:                              ;   in Loop: Header=BB138_2 Depth=1
	ds_load_b64 v[7:8], v11 offset:8
	s_wait_dscnt 0x1
	v_dual_mov_b32 v6, v2 :: v_dual_mov_b32 v5, v1
.LBB138_170:                            ;   in Loop: Header=BB138_2 Depth=1
	s_or_b32 exec_lo, exec_lo, s7
	v_add_nc_u32_e32 v11, 1, v10
	v_add_nc_u32_e32 v12, 1, v9
	s_wait_dscnt 0x0
	v_cmp_lt_i64_e64 s7, v[7:8], v[5:6]
	s_delay_alu instid0(VALU_DEP_3) | instskip(NEXT) | instid1(VALU_DEP_3)
	v_cndmask_b32_e64 v14, v11, v10, s6
	v_cndmask_b32_e64 v13, v9, v12, s6
                                        ; implicit-def: $vgpr9_vgpr10
	s_delay_alu instid0(VALU_DEP_2) | instskip(NEXT) | instid1(VALU_DEP_2)
	v_cmp_ge_i32_e64 s8, v14, v69
	v_cmp_lt_i32_e64 s9, v13, v70
	s_or_b32 s7, s8, s7
	s_wait_alu 0xfffe
	s_and_b32 s7, s9, s7
	s_wait_alu 0xfffe
	s_xor_b32 s8, s7, -1
	s_wait_alu 0xfffe
	s_and_saveexec_b32 s9, s8
	s_wait_alu 0xfffe
	s_xor_b32 s8, exec_lo, s9
; %bb.171:                              ;   in Loop: Header=BB138_2 Depth=1
	v_lshlrev_b32_e32 v9, 3, v14
	ds_load_b64 v[9:10], v9 offset:8
; %bb.172:                              ;   in Loop: Header=BB138_2 Depth=1
	s_wait_alu 0xfffe
	s_or_saveexec_b32 s8, s8
	v_dual_mov_b32 v12, v8 :: v_dual_mov_b32 v11, v7
	s_wait_alu 0xfffe
	s_xor_b32 exec_lo, exec_lo, s8
	s_cbranch_execz .LBB138_174
; %bb.173:                              ;   in Loop: Header=BB138_2 Depth=1
	s_wait_dscnt 0x0
	v_lshlrev_b32_e32 v9, 3, v13
	ds_load_b64 v[11:12], v9 offset:8
	v_dual_mov_b32 v10, v6 :: v_dual_mov_b32 v9, v5
.LBB138_174:                            ;   in Loop: Header=BB138_2 Depth=1
	s_or_b32 exec_lo, exec_lo, s8
	v_add_nc_u32_e32 v15, 1, v14
	v_add_nc_u32_e32 v16, 1, v13
	s_wait_dscnt 0x0
	v_cmp_lt_i64_e64 s8, v[11:12], v[9:10]
	s_delay_alu instid0(VALU_DEP_3) | instskip(NEXT) | instid1(VALU_DEP_3)
	v_cndmask_b32_e64 v18, v15, v14, s7
	v_cndmask_b32_e64 v17, v13, v16, s7
                                        ; implicit-def: $vgpr13_vgpr14
	s_delay_alu instid0(VALU_DEP_2) | instskip(NEXT) | instid1(VALU_DEP_2)
	v_cmp_ge_i32_e64 s9, v18, v69
	v_cmp_lt_i32_e64 s10, v17, v70
	s_or_b32 s8, s9, s8
	s_wait_alu 0xfffe
	s_and_b32 s8, s10, s8
	s_wait_alu 0xfffe
	s_xor_b32 s9, s8, -1
	s_wait_alu 0xfffe
	s_and_saveexec_b32 s10, s9
	s_wait_alu 0xfffe
	s_xor_b32 s9, exec_lo, s10
; %bb.175:                              ;   in Loop: Header=BB138_2 Depth=1
	v_lshlrev_b32_e32 v13, 3, v18
	ds_load_b64 v[13:14], v13 offset:8
; %bb.176:                              ;   in Loop: Header=BB138_2 Depth=1
	s_wait_alu 0xfffe
	s_or_saveexec_b32 s9, s9
	v_dual_mov_b32 v16, v12 :: v_dual_mov_b32 v15, v11
	s_wait_alu 0xfffe
	s_xor_b32 exec_lo, exec_lo, s9
	s_cbranch_execz .LBB138_178
; %bb.177:                              ;   in Loop: Header=BB138_2 Depth=1
	s_wait_dscnt 0x0
	v_lshlrev_b32_e32 v13, 3, v17
	ds_load_b64 v[15:16], v13 offset:8
	v_dual_mov_b32 v14, v10 :: v_dual_mov_b32 v13, v9
.LBB138_178:                            ;   in Loop: Header=BB138_2 Depth=1
	s_or_b32 exec_lo, exec_lo, s9
	v_add_nc_u32_e32 v19, 1, v18
	v_add_nc_u32_e32 v20, 1, v17
	s_wait_dscnt 0x0
	v_cmp_lt_i64_e64 s9, v[15:16], v[13:14]
	s_delay_alu instid0(VALU_DEP_3) | instskip(NEXT) | instid1(VALU_DEP_3)
	v_cndmask_b32_e64 v22, v19, v18, s8
	v_cndmask_b32_e64 v21, v17, v20, s8
                                        ; implicit-def: $vgpr17_vgpr18
	s_delay_alu instid0(VALU_DEP_2) | instskip(NEXT) | instid1(VALU_DEP_2)
	v_cmp_ge_i32_e64 s10, v22, v69
	v_cmp_lt_i32_e64 s11, v21, v70
	s_or_b32 s9, s10, s9
	s_wait_alu 0xfffe
	s_and_b32 s9, s11, s9
	s_wait_alu 0xfffe
	s_xor_b32 s10, s9, -1
	s_wait_alu 0xfffe
	s_and_saveexec_b32 s11, s10
	s_wait_alu 0xfffe
	s_xor_b32 s10, exec_lo, s11
; %bb.179:                              ;   in Loop: Header=BB138_2 Depth=1
	v_lshlrev_b32_e32 v17, 3, v22
	ds_load_b64 v[17:18], v17 offset:8
; %bb.180:                              ;   in Loop: Header=BB138_2 Depth=1
	s_wait_alu 0xfffe
	s_or_saveexec_b32 s10, s10
	v_dual_mov_b32 v20, v16 :: v_dual_mov_b32 v19, v15
	s_wait_alu 0xfffe
	s_xor_b32 exec_lo, exec_lo, s10
	s_cbranch_execz .LBB138_182
; %bb.181:                              ;   in Loop: Header=BB138_2 Depth=1
	s_wait_dscnt 0x0
	v_lshlrev_b32_e32 v17, 3, v21
	ds_load_b64 v[19:20], v17 offset:8
	v_dual_mov_b32 v18, v14 :: v_dual_mov_b32 v17, v13
.LBB138_182:                            ;   in Loop: Header=BB138_2 Depth=1
	s_or_b32 exec_lo, exec_lo, s10
	v_add_nc_u32_e32 v23, 1, v22
	v_add_nc_u32_e32 v24, 1, v21
	s_wait_dscnt 0x0
	v_cmp_lt_i64_e64 s10, v[19:20], v[17:18]
	s_delay_alu instid0(VALU_DEP_3) | instskip(NEXT) | instid1(VALU_DEP_3)
	v_cndmask_b32_e64 v26, v23, v22, s9
	v_cndmask_b32_e64 v25, v21, v24, s9
                                        ; implicit-def: $vgpr21_vgpr22
	s_delay_alu instid0(VALU_DEP_2) | instskip(NEXT) | instid1(VALU_DEP_2)
	v_cmp_ge_i32_e64 s11, v26, v69
	v_cmp_lt_i32_e64 s12, v25, v70
	s_or_b32 s10, s11, s10
	s_wait_alu 0xfffe
	s_and_b32 s10, s12, s10
	s_wait_alu 0xfffe
	s_xor_b32 s11, s10, -1
	s_wait_alu 0xfffe
	s_and_saveexec_b32 s12, s11
	s_wait_alu 0xfffe
	s_xor_b32 s11, exec_lo, s12
; %bb.183:                              ;   in Loop: Header=BB138_2 Depth=1
	v_lshlrev_b32_e32 v21, 3, v26
	ds_load_b64 v[21:22], v21 offset:8
; %bb.184:                              ;   in Loop: Header=BB138_2 Depth=1
	s_wait_alu 0xfffe
	s_or_saveexec_b32 s11, s11
	v_dual_mov_b32 v24, v20 :: v_dual_mov_b32 v23, v19
	s_wait_alu 0xfffe
	s_xor_b32 exec_lo, exec_lo, s11
	s_cbranch_execz .LBB138_186
; %bb.185:                              ;   in Loop: Header=BB138_2 Depth=1
	s_wait_dscnt 0x0
	v_lshlrev_b32_e32 v21, 3, v25
	ds_load_b64 v[23:24], v21 offset:8
	v_dual_mov_b32 v22, v18 :: v_dual_mov_b32 v21, v17
.LBB138_186:                            ;   in Loop: Header=BB138_2 Depth=1
	s_or_b32 exec_lo, exec_lo, s11
	v_add_nc_u32_e32 v27, 1, v26
	v_add_nc_u32_e32 v28, 1, v25
	s_wait_dscnt 0x0
	v_cmp_lt_i64_e64 s11, v[23:24], v[21:22]
	s_delay_alu instid0(VALU_DEP_3) | instskip(NEXT) | instid1(VALU_DEP_3)
	v_cndmask_b32_e64 v30, v27, v26, s10
	v_cndmask_b32_e64 v29, v25, v28, s10
                                        ; implicit-def: $vgpr25_vgpr26
	s_delay_alu instid0(VALU_DEP_2) | instskip(NEXT) | instid1(VALU_DEP_2)
	v_cmp_ge_i32_e64 s12, v30, v69
	v_cmp_lt_i32_e64 s13, v29, v70
	s_or_b32 s11, s12, s11
	s_wait_alu 0xfffe
	s_and_b32 s11, s13, s11
	s_wait_alu 0xfffe
	s_xor_b32 s12, s11, -1
	s_wait_alu 0xfffe
	s_and_saveexec_b32 s13, s12
	s_wait_alu 0xfffe
	s_xor_b32 s12, exec_lo, s13
; %bb.187:                              ;   in Loop: Header=BB138_2 Depth=1
	v_lshlrev_b32_e32 v25, 3, v30
	ds_load_b64 v[25:26], v25 offset:8
; %bb.188:                              ;   in Loop: Header=BB138_2 Depth=1
	s_wait_alu 0xfffe
	s_or_saveexec_b32 s12, s12
	v_dual_mov_b32 v28, v24 :: v_dual_mov_b32 v27, v23
	s_wait_alu 0xfffe
	s_xor_b32 exec_lo, exec_lo, s12
	s_cbranch_execz .LBB138_190
; %bb.189:                              ;   in Loop: Header=BB138_2 Depth=1
	s_wait_dscnt 0x0
	v_lshlrev_b32_e32 v25, 3, v29
	ds_load_b64 v[27:28], v25 offset:8
	v_dual_mov_b32 v26, v22 :: v_dual_mov_b32 v25, v21
.LBB138_190:                            ;   in Loop: Header=BB138_2 Depth=1
	s_or_b32 exec_lo, exec_lo, s12
	v_add_nc_u32_e32 v31, 1, v30
	v_add_nc_u32_e32 v32, 1, v29
	s_wait_dscnt 0x0
	v_cmp_lt_i64_e64 s12, v[27:28], v[25:26]
	s_delay_alu instid0(VALU_DEP_3) | instskip(NEXT) | instid1(VALU_DEP_3)
	v_cndmask_b32_e64 v33, v31, v30, s11
	v_cndmask_b32_e64 v34, v29, v32, s11
                                        ; implicit-def: $vgpr29_vgpr30
	s_delay_alu instid0(VALU_DEP_2) | instskip(NEXT) | instid1(VALU_DEP_2)
	v_cmp_ge_i32_e64 s13, v33, v69
	v_cmp_lt_i32_e64 s14, v34, v70
	s_or_b32 s12, s13, s12
	s_wait_alu 0xfffe
	s_and_b32 s12, s14, s12
	s_wait_alu 0xfffe
	s_xor_b32 s13, s12, -1
	s_wait_alu 0xfffe
	s_and_saveexec_b32 s14, s13
	s_delay_alu instid0(SALU_CYCLE_1)
	s_xor_b32 s13, exec_lo, s14
; %bb.191:                              ;   in Loop: Header=BB138_2 Depth=1
	v_lshlrev_b32_e32 v29, 3, v33
	ds_load_b64 v[29:30], v29 offset:8
; %bb.192:                              ;   in Loop: Header=BB138_2 Depth=1
	s_wait_alu 0xfffe
	s_or_saveexec_b32 s13, s13
	v_dual_mov_b32 v32, v28 :: v_dual_mov_b32 v31, v27
	s_wait_alu 0xfffe
	s_xor_b32 exec_lo, exec_lo, s13
	s_cbranch_execz .LBB138_194
; %bb.193:                              ;   in Loop: Header=BB138_2 Depth=1
	s_wait_dscnt 0x0
	v_lshlrev_b32_e32 v29, 3, v34
	ds_load_b64 v[31:32], v29 offset:8
	v_dual_mov_b32 v30, v26 :: v_dual_mov_b32 v29, v25
.LBB138_194:                            ;   in Loop: Header=BB138_2 Depth=1
	s_or_b32 exec_lo, exec_lo, s13
	v_add_nc_u32_e32 v36, 1, v33
	v_add_nc_u32_e32 v35, 1, v34
	v_cndmask_b32_e64 v26, v26, v28, s12
	v_cndmask_b32_e64 v25, v25, v27, s12
	;; [unrolled: 1-line block ×6, first 2 shown]
	s_wait_dscnt 0x0
	v_cmp_lt_i64_e64 s8, v[31:32], v[29:30]
	v_cndmask_b32_e64 v14, v14, v16, s9
	v_cndmask_b32_e64 v13, v13, v15, s9
	v_cmp_ge_i32_e64 s9, v28, v69
	v_cndmask_b32_e64 v18, v18, v20, s10
	v_cndmask_b32_e64 v17, v17, v19, s10
	v_cmp_lt_i32_e64 s10, v27, v70
	v_cndmask_b32_e64 v6, v6, v8, s7
	v_cndmask_b32_e64 v5, v5, v7, s7
	s_or_b32 s7, s9, s8
	v_cndmask_b32_e64 v2, v2, v4, s6
	v_cndmask_b32_e64 v1, v1, v3, s6
	s_wait_alu 0xfffe
	s_and_b32 s6, s10, s7
	v_cndmask_b32_e64 v22, v22, v24, s11
	v_cndmask_b32_e64 v21, v21, v23, s11
	s_wait_alu 0xfffe
	v_cndmask_b32_e64 v4, v30, v32, s6
	v_cndmask_b32_e64 v3, v29, v31, s6
	s_wait_loadcnt 0x0
	s_barrier_signal -1
	s_barrier_wait -1
	global_inv scope:SCOPE_SE
	ds_store_2addr_b64 v41, v[1:2], v[5:6] offset1:1
	ds_store_2addr_b64 v41, v[9:10], v[13:14] offset0:2 offset1:3
	ds_store_2addr_b64 v41, v[17:18], v[21:22] offset0:4 offset1:5
	;; [unrolled: 1-line block ×3, first 2 shown]
	v_mov_b32_e32 v9, v78
	s_wait_loadcnt_dscnt 0x0
	s_barrier_signal -1
	s_barrier_wait -1
	global_inv scope:SCOPE_SE
	s_and_saveexec_b32 s7, s5
	s_cbranch_execz .LBB138_198
; %bb.195:                              ;   in Loop: Header=BB138_2 Depth=1
	v_mov_b32_e32 v9, v78
	v_mov_b32_e32 v1, v79
	s_mov_b32 s8, 0
.LBB138_196:                            ;   Parent Loop BB138_2 Depth=1
                                        ; =>  This Inner Loop Header: Depth=2
	s_delay_alu instid0(VALU_DEP_1) | instskip(NEXT) | instid1(VALU_DEP_1)
	v_sub_nc_u32_e32 v2, v1, v9
	v_lshrrev_b32_e32 v2, 1, v2
	s_delay_alu instid0(VALU_DEP_1) | instskip(NEXT) | instid1(VALU_DEP_1)
	v_add_nc_u32_e32 v6, v2, v9
	v_not_b32_e32 v2, v6
	v_lshlrev_b32_e32 v3, 3, v6
	s_delay_alu instid0(VALU_DEP_2)
	v_lshl_add_u32 v4, v2, 3, v89
	ds_load_b64 v[2:3], v3
	ds_load_b64 v[4:5], v4
	s_wait_dscnt 0x0
	v_cmp_lt_i64_e64 s6, v[4:5], v[2:3]
	v_add_nc_u32_e32 v2, 1, v6
	s_wait_alu 0xf1ff
	s_delay_alu instid0(VALU_DEP_2) | instskip(NEXT) | instid1(VALU_DEP_2)
	v_cndmask_b32_e64 v1, v1, v6, s6
	v_cndmask_b32_e64 v9, v2, v9, s6
	s_delay_alu instid0(VALU_DEP_1)
	v_cmp_ge_i32_e64 s6, v9, v1
	s_wait_alu 0xfffe
	s_or_b32 s8, s6, s8
	s_wait_alu 0xfffe
	s_and_not1_b32 exec_lo, exec_lo, s8
	s_cbranch_execnz .LBB138_196
; %bb.197:                              ;   in Loop: Header=BB138_2 Depth=1
	s_or_b32 exec_lo, exec_lo, s8
.LBB138_198:                            ;   in Loop: Header=BB138_2 Depth=1
	s_wait_alu 0xfffe
	s_or_b32 exec_lo, exec_lo, s7
	v_sub_nc_u32_e32 v10, v82, v9
	v_lshlrev_b32_e32 v7, 3, v9
	v_cmp_le_i32_e64 s7, 0x200, v9
                                        ; implicit-def: $vgpr5_vgpr6
	s_delay_alu instid0(VALU_DEP_3)
	v_lshlrev_b32_e32 v11, 3, v10
	v_cmp_gt_i32_e64 s8, 0x400, v10
	ds_load_b64 v[1:2], v7
	ds_load_b64 v[3:4], v11
	s_wait_dscnt 0x0
	v_cmp_lt_i64_e64 s6, v[3:4], v[1:2]
	s_or_b32 s6, s7, s6
	s_wait_alu 0xfffe
	s_and_b32 s6, s8, s6
	s_wait_alu 0xfffe
	s_xor_b32 s7, s6, -1
	s_wait_alu 0xfffe
	s_and_saveexec_b32 s8, s7
	s_wait_alu 0xfffe
	s_xor_b32 s7, exec_lo, s8
; %bb.199:                              ;   in Loop: Header=BB138_2 Depth=1
	ds_load_b64 v[5:6], v7 offset:8
                                        ; implicit-def: $vgpr11
; %bb.200:                              ;   in Loop: Header=BB138_2 Depth=1
	s_wait_alu 0xfffe
	s_or_saveexec_b32 s7, s7
	v_dual_mov_b32 v8, v4 :: v_dual_mov_b32 v7, v3
	s_wait_alu 0xfffe
	s_xor_b32 exec_lo, exec_lo, s7
	s_cbranch_execz .LBB138_202
; %bb.201:                              ;   in Loop: Header=BB138_2 Depth=1
	ds_load_b64 v[7:8], v11 offset:8
	s_wait_dscnt 0x1
	v_dual_mov_b32 v6, v2 :: v_dual_mov_b32 v5, v1
.LBB138_202:                            ;   in Loop: Header=BB138_2 Depth=1
	s_or_b32 exec_lo, exec_lo, s7
	v_add_nc_u32_e32 v11, 1, v9
	v_add_nc_u32_e32 v13, 1, v10
	s_wait_dscnt 0x0
	v_cmp_lt_i64_e64 s7, v[7:8], v[5:6]
	s_delay_alu instid0(VALU_DEP_3) | instskip(NEXT) | instid1(VALU_DEP_3)
	v_cndmask_b32_e64 v12, v11, v9, s6
	v_cndmask_b32_e64 v11, v10, v13, s6
                                        ; implicit-def: $vgpr9_vgpr10
	s_delay_alu instid0(VALU_DEP_2) | instskip(NEXT) | instid1(VALU_DEP_2)
	v_cmp_le_i32_e64 s8, 0x200, v12
	v_cmp_gt_i32_e64 s9, 0x400, v11
	s_or_b32 s7, s8, s7
	s_wait_alu 0xfffe
	s_and_b32 s7, s9, s7
	s_wait_alu 0xfffe
	s_xor_b32 s8, s7, -1
	s_wait_alu 0xfffe
	s_and_saveexec_b32 s9, s8
	s_wait_alu 0xfffe
	s_xor_b32 s8, exec_lo, s9
; %bb.203:                              ;   in Loop: Header=BB138_2 Depth=1
	v_lshlrev_b32_e32 v9, 3, v12
	ds_load_b64 v[9:10], v9 offset:8
; %bb.204:                              ;   in Loop: Header=BB138_2 Depth=1
	s_wait_alu 0xfffe
	s_or_saveexec_b32 s8, s8
	v_dual_mov_b32 v14, v8 :: v_dual_mov_b32 v13, v7
	s_wait_alu 0xfffe
	s_xor_b32 exec_lo, exec_lo, s8
	s_cbranch_execz .LBB138_206
; %bb.205:                              ;   in Loop: Header=BB138_2 Depth=1
	s_wait_dscnt 0x0
	v_lshlrev_b32_e32 v9, 3, v11
	ds_load_b64 v[13:14], v9 offset:8
	v_dual_mov_b32 v10, v6 :: v_dual_mov_b32 v9, v5
.LBB138_206:                            ;   in Loop: Header=BB138_2 Depth=1
	s_or_b32 exec_lo, exec_lo, s8
	v_add_nc_u32_e32 v15, 1, v12
	v_add_nc_u32_e32 v16, 1, v11
	s_wait_dscnt 0x0
	v_cmp_lt_i64_e64 s8, v[13:14], v[9:10]
                                        ; implicit-def: $vgpr17_vgpr18
	s_delay_alu instid0(VALU_DEP_3) | instskip(NEXT) | instid1(VALU_DEP_3)
	v_cndmask_b32_e64 v12, v15, v12, s7
	v_cndmask_b32_e64 v11, v11, v16, s7
	s_delay_alu instid0(VALU_DEP_2) | instskip(NEXT) | instid1(VALU_DEP_2)
	v_cmp_le_i32_e64 s9, 0x200, v12
	v_cmp_gt_i32_e64 s10, 0x400, v11
	s_or_b32 s8, s9, s8
	s_wait_alu 0xfffe
	s_and_b32 s8, s10, s8
	s_wait_alu 0xfffe
	s_xor_b32 s9, s8, -1
	s_wait_alu 0xfffe
	s_and_saveexec_b32 s10, s9
	s_wait_alu 0xfffe
	s_xor_b32 s9, exec_lo, s10
; %bb.207:                              ;   in Loop: Header=BB138_2 Depth=1
	v_lshlrev_b32_e32 v15, 3, v12
	ds_load_b64 v[17:18], v15 offset:8
; %bb.208:                              ;   in Loop: Header=BB138_2 Depth=1
	s_wait_alu 0xfffe
	s_or_saveexec_b32 s9, s9
	v_dual_mov_b32 v20, v14 :: v_dual_mov_b32 v19, v13
	s_wait_alu 0xfffe
	s_xor_b32 exec_lo, exec_lo, s9
	s_cbranch_execz .LBB138_210
; %bb.209:                              ;   in Loop: Header=BB138_2 Depth=1
	s_wait_dscnt 0x0
	v_dual_mov_b32 v18, v10 :: v_dual_lshlrev_b32 v15, 3, v11
	v_mov_b32_e32 v17, v9
	ds_load_b64 v[19:20], v15 offset:8
.LBB138_210:                            ;   in Loop: Header=BB138_2 Depth=1
	s_or_b32 exec_lo, exec_lo, s9
	v_add_nc_u32_e32 v15, 1, v12
	v_add_nc_u32_e32 v16, 1, v11
	s_wait_dscnt 0x0
	v_cmp_lt_i64_e64 s9, v[19:20], v[17:18]
                                        ; implicit-def: $vgpr21_vgpr22
	s_delay_alu instid0(VALU_DEP_3) | instskip(NEXT) | instid1(VALU_DEP_3)
	v_cndmask_b32_e64 v12, v15, v12, s8
	v_cndmask_b32_e64 v11, v11, v16, s8
	s_delay_alu instid0(VALU_DEP_2) | instskip(NEXT) | instid1(VALU_DEP_2)
	v_cmp_le_i32_e64 s10, 0x200, v12
	v_cmp_gt_i32_e64 s11, 0x400, v11
	s_or_b32 s9, s10, s9
	s_wait_alu 0xfffe
	s_and_b32 s9, s11, s9
	s_wait_alu 0xfffe
	s_xor_b32 s10, s9, -1
	s_wait_alu 0xfffe
	s_and_saveexec_b32 s11, s10
	s_wait_alu 0xfffe
	s_xor_b32 s10, exec_lo, s11
; %bb.211:                              ;   in Loop: Header=BB138_2 Depth=1
	v_lshlrev_b32_e32 v15, 3, v12
	ds_load_b64 v[21:22], v15 offset:8
; %bb.212:                              ;   in Loop: Header=BB138_2 Depth=1
	s_wait_alu 0xfffe
	s_or_saveexec_b32 s10, s10
	v_dual_mov_b32 v24, v20 :: v_dual_mov_b32 v23, v19
	s_wait_alu 0xfffe
	s_xor_b32 exec_lo, exec_lo, s10
	s_cbranch_execz .LBB138_214
; %bb.213:                              ;   in Loop: Header=BB138_2 Depth=1
	s_wait_dscnt 0x0
	v_dual_mov_b32 v22, v18 :: v_dual_lshlrev_b32 v15, 3, v11
	v_mov_b32_e32 v21, v17
	ds_load_b64 v[23:24], v15 offset:8
.LBB138_214:                            ;   in Loop: Header=BB138_2 Depth=1
	s_or_b32 exec_lo, exec_lo, s10
	v_add_nc_u32_e32 v15, 1, v12
	v_add_nc_u32_e32 v16, 1, v11
	s_wait_dscnt 0x0
	v_cmp_lt_i64_e64 s10, v[23:24], v[21:22]
                                        ; implicit-def: $vgpr25_vgpr26
	s_delay_alu instid0(VALU_DEP_3) | instskip(NEXT) | instid1(VALU_DEP_3)
	v_cndmask_b32_e64 v12, v15, v12, s9
	v_cndmask_b32_e64 v11, v11, v16, s9
	s_delay_alu instid0(VALU_DEP_2) | instskip(NEXT) | instid1(VALU_DEP_2)
	v_cmp_le_i32_e64 s11, 0x200, v12
	v_cmp_gt_i32_e64 s12, 0x400, v11
	s_or_b32 s10, s11, s10
	s_wait_alu 0xfffe
	s_and_b32 s10, s12, s10
	s_wait_alu 0xfffe
	s_xor_b32 s11, s10, -1
	s_wait_alu 0xfffe
	s_and_saveexec_b32 s12, s11
	s_wait_alu 0xfffe
	s_xor_b32 s11, exec_lo, s12
; %bb.215:                              ;   in Loop: Header=BB138_2 Depth=1
	v_lshlrev_b32_e32 v15, 3, v12
	ds_load_b64 v[25:26], v15 offset:8
; %bb.216:                              ;   in Loop: Header=BB138_2 Depth=1
	s_wait_alu 0xfffe
	s_or_saveexec_b32 s11, s11
	v_dual_mov_b32 v28, v24 :: v_dual_mov_b32 v27, v23
	s_wait_alu 0xfffe
	s_xor_b32 exec_lo, exec_lo, s11
	s_cbranch_execz .LBB138_218
; %bb.217:                              ;   in Loop: Header=BB138_2 Depth=1
	s_wait_dscnt 0x0
	v_dual_mov_b32 v26, v22 :: v_dual_lshlrev_b32 v15, 3, v11
	v_mov_b32_e32 v25, v21
	ds_load_b64 v[27:28], v15 offset:8
.LBB138_218:                            ;   in Loop: Header=BB138_2 Depth=1
	s_or_b32 exec_lo, exec_lo, s11
	v_add_nc_u32_e32 v15, 1, v12
	v_add_nc_u32_e32 v16, 1, v11
	s_wait_dscnt 0x0
	v_cmp_lt_i64_e64 s11, v[27:28], v[25:26]
                                        ; implicit-def: $vgpr29_vgpr30
	s_delay_alu instid0(VALU_DEP_3) | instskip(NEXT) | instid1(VALU_DEP_3)
	v_cndmask_b32_e64 v12, v15, v12, s10
	v_cndmask_b32_e64 v11, v11, v16, s10
	s_delay_alu instid0(VALU_DEP_2) | instskip(NEXT) | instid1(VALU_DEP_2)
	v_cmp_le_i32_e64 s12, 0x200, v12
	v_cmp_gt_i32_e64 s13, 0x400, v11
	s_or_b32 s11, s12, s11
	s_wait_alu 0xfffe
	s_and_b32 s11, s13, s11
	s_wait_alu 0xfffe
	s_xor_b32 s12, s11, -1
	s_wait_alu 0xfffe
	s_and_saveexec_b32 s13, s12
	s_wait_alu 0xfffe
	s_xor_b32 s12, exec_lo, s13
; %bb.219:                              ;   in Loop: Header=BB138_2 Depth=1
	v_lshlrev_b32_e32 v15, 3, v12
	ds_load_b64 v[29:30], v15 offset:8
; %bb.220:                              ;   in Loop: Header=BB138_2 Depth=1
	s_wait_alu 0xfffe
	s_or_saveexec_b32 s12, s12
	v_dual_mov_b32 v32, v28 :: v_dual_mov_b32 v31, v27
	s_wait_alu 0xfffe
	s_xor_b32 exec_lo, exec_lo, s12
	s_cbranch_execz .LBB138_222
; %bb.221:                              ;   in Loop: Header=BB138_2 Depth=1
	s_wait_dscnt 0x0
	v_dual_mov_b32 v30, v26 :: v_dual_lshlrev_b32 v15, 3, v11
	v_mov_b32_e32 v29, v25
	ds_load_b64 v[31:32], v15 offset:8
.LBB138_222:                            ;   in Loop: Header=BB138_2 Depth=1
	s_or_b32 exec_lo, exec_lo, s12
	v_add_nc_u32_e32 v15, 1, v12
	v_add_nc_u32_e32 v16, 1, v11
	s_wait_dscnt 0x0
	v_cmp_lt_i64_e64 s12, v[31:32], v[29:30]
                                        ; implicit-def: $vgpr33_vgpr34
                                        ; implicit-def: $vgpr91
	s_delay_alu instid0(VALU_DEP_3) | instskip(NEXT) | instid1(VALU_DEP_3)
	v_cndmask_b32_e64 v12, v15, v12, s11
	v_cndmask_b32_e64 v90, v11, v16, s11
	s_delay_alu instid0(VALU_DEP_2) | instskip(NEXT) | instid1(VALU_DEP_2)
	v_cmp_le_i32_e64 s13, 0x200, v12
	v_cmp_gt_i32_e64 s14, 0x400, v90
	s_or_b32 s12, s13, s12
	s_wait_alu 0xfffe
	s_and_b32 s12, s14, s12
	s_wait_alu 0xfffe
	s_xor_b32 s13, s12, -1
	s_wait_alu 0xfffe
	s_and_saveexec_b32 s14, s13
	s_delay_alu instid0(SALU_CYCLE_1)
	s_xor_b32 s13, exec_lo, s14
; %bb.223:                              ;   in Loop: Header=BB138_2 Depth=1
	v_lshlrev_b32_e32 v11, 3, v12
	v_add_nc_u32_e32 v91, 1, v12
                                        ; implicit-def: $vgpr12
	ds_load_b64 v[33:34], v11 offset:8
; %bb.224:                              ;   in Loop: Header=BB138_2 Depth=1
	s_wait_alu 0xfffe
	s_or_saveexec_b32 s13, s13
	v_dual_mov_b32 v36, v32 :: v_dual_mov_b32 v35, v31
	s_wait_alu 0xfffe
	s_xor_b32 exec_lo, exec_lo, s13
	s_cbranch_execz .LBB138_1
; %bb.225:                              ;   in Loop: Header=BB138_2 Depth=1
	s_wait_dscnt 0x0
	v_dual_mov_b32 v34, v30 :: v_dual_lshlrev_b32 v11, 3, v90
	v_dual_mov_b32 v91, v12 :: v_dual_add_nc_u32 v90, 1, v90
	v_mov_b32_e32 v33, v29
	ds_load_b64 v[35:36], v11 offset:8
	s_branch .LBB138_1
.LBB138_226:
	v_lshlrev_b32_e32 v0, 3, v0
	s_add_nc_u64 s[0:1], s[18:19], s[20:21]
	s_clause 0x7
	global_store_b64 v0, v[11:12], s[0:1]
	global_store_b64 v0, v[15:16], s[0:1] offset:1024
	global_store_b64 v0, v[5:6], s[0:1] offset:2048
	;; [unrolled: 1-line block ×7, first 2 shown]
	s_endpgm
	.section	.rodata,"a",@progbits
	.p2align	6, 0x0
	.amdhsa_kernel _Z16sort_keys_kernelIxLj128ELj8EN10test_utils4lessELj10EEvPKT_PS2_T2_
		.amdhsa_group_segment_fixed_size 8200
		.amdhsa_private_segment_fixed_size 0
		.amdhsa_kernarg_size 20
		.amdhsa_user_sgpr_count 2
		.amdhsa_user_sgpr_dispatch_ptr 0
		.amdhsa_user_sgpr_queue_ptr 0
		.amdhsa_user_sgpr_kernarg_segment_ptr 1
		.amdhsa_user_sgpr_dispatch_id 0
		.amdhsa_user_sgpr_private_segment_size 0
		.amdhsa_wavefront_size32 1
		.amdhsa_uses_dynamic_stack 0
		.amdhsa_enable_private_segment 0
		.amdhsa_system_sgpr_workgroup_id_x 1
		.amdhsa_system_sgpr_workgroup_id_y 0
		.amdhsa_system_sgpr_workgroup_id_z 0
		.amdhsa_system_sgpr_workgroup_info 0
		.amdhsa_system_vgpr_workitem_id 0
		.amdhsa_next_free_vgpr 92
		.amdhsa_next_free_sgpr 22
		.amdhsa_reserve_vcc 1
		.amdhsa_float_round_mode_32 0
		.amdhsa_float_round_mode_16_64 0
		.amdhsa_float_denorm_mode_32 3
		.amdhsa_float_denorm_mode_16_64 3
		.amdhsa_fp16_overflow 0
		.amdhsa_workgroup_processor_mode 1
		.amdhsa_memory_ordered 1
		.amdhsa_forward_progress 1
		.amdhsa_inst_pref_size 110
		.amdhsa_round_robin_scheduling 0
		.amdhsa_exception_fp_ieee_invalid_op 0
		.amdhsa_exception_fp_denorm_src 0
		.amdhsa_exception_fp_ieee_div_zero 0
		.amdhsa_exception_fp_ieee_overflow 0
		.amdhsa_exception_fp_ieee_underflow 0
		.amdhsa_exception_fp_ieee_inexact 0
		.amdhsa_exception_int_div_zero 0
	.end_amdhsa_kernel
	.section	.text._Z16sort_keys_kernelIxLj128ELj8EN10test_utils4lessELj10EEvPKT_PS2_T2_,"axG",@progbits,_Z16sort_keys_kernelIxLj128ELj8EN10test_utils4lessELj10EEvPKT_PS2_T2_,comdat
.Lfunc_end138:
	.size	_Z16sort_keys_kernelIxLj128ELj8EN10test_utils4lessELj10EEvPKT_PS2_T2_, .Lfunc_end138-_Z16sort_keys_kernelIxLj128ELj8EN10test_utils4lessELj10EEvPKT_PS2_T2_
                                        ; -- End function
	.set _Z16sort_keys_kernelIxLj128ELj8EN10test_utils4lessELj10EEvPKT_PS2_T2_.num_vgpr, 92
	.set _Z16sort_keys_kernelIxLj128ELj8EN10test_utils4lessELj10EEvPKT_PS2_T2_.num_agpr, 0
	.set _Z16sort_keys_kernelIxLj128ELj8EN10test_utils4lessELj10EEvPKT_PS2_T2_.numbered_sgpr, 22
	.set _Z16sort_keys_kernelIxLj128ELj8EN10test_utils4lessELj10EEvPKT_PS2_T2_.num_named_barrier, 0
	.set _Z16sort_keys_kernelIxLj128ELj8EN10test_utils4lessELj10EEvPKT_PS2_T2_.private_seg_size, 0
	.set _Z16sort_keys_kernelIxLj128ELj8EN10test_utils4lessELj10EEvPKT_PS2_T2_.uses_vcc, 1
	.set _Z16sort_keys_kernelIxLj128ELj8EN10test_utils4lessELj10EEvPKT_PS2_T2_.uses_flat_scratch, 0
	.set _Z16sort_keys_kernelIxLj128ELj8EN10test_utils4lessELj10EEvPKT_PS2_T2_.has_dyn_sized_stack, 0
	.set _Z16sort_keys_kernelIxLj128ELj8EN10test_utils4lessELj10EEvPKT_PS2_T2_.has_recursion, 0
	.set _Z16sort_keys_kernelIxLj128ELj8EN10test_utils4lessELj10EEvPKT_PS2_T2_.has_indirect_call, 0
	.section	.AMDGPU.csdata,"",@progbits
; Kernel info:
; codeLenInByte = 14080
; TotalNumSgprs: 24
; NumVgprs: 92
; ScratchSize: 0
; MemoryBound: 0
; FloatMode: 240
; IeeeMode: 1
; LDSByteSize: 8200 bytes/workgroup (compile time only)
; SGPRBlocks: 0
; VGPRBlocks: 11
; NumSGPRsForWavesPerEU: 24
; NumVGPRsForWavesPerEU: 92
; Occupancy: 15
; WaveLimiterHint : 1
; COMPUTE_PGM_RSRC2:SCRATCH_EN: 0
; COMPUTE_PGM_RSRC2:USER_SGPR: 2
; COMPUTE_PGM_RSRC2:TRAP_HANDLER: 0
; COMPUTE_PGM_RSRC2:TGID_X_EN: 1
; COMPUTE_PGM_RSRC2:TGID_Y_EN: 0
; COMPUTE_PGM_RSRC2:TGID_Z_EN: 0
; COMPUTE_PGM_RSRC2:TIDIG_COMP_CNT: 0
	.section	.text._Z17sort_pairs_kernelIxLj128ELj8EN10test_utils4lessELj10EEvPKT_PS2_T2_,"axG",@progbits,_Z17sort_pairs_kernelIxLj128ELj8EN10test_utils4lessELj10EEvPKT_PS2_T2_,comdat
	.protected	_Z17sort_pairs_kernelIxLj128ELj8EN10test_utils4lessELj10EEvPKT_PS2_T2_ ; -- Begin function _Z17sort_pairs_kernelIxLj128ELj8EN10test_utils4lessELj10EEvPKT_PS2_T2_
	.globl	_Z17sort_pairs_kernelIxLj128ELj8EN10test_utils4lessELj10EEvPKT_PS2_T2_
	.p2align	8
	.type	_Z17sort_pairs_kernelIxLj128ELj8EN10test_utils4lessELj10EEvPKT_PS2_T2_,@function
_Z17sort_pairs_kernelIxLj128ELj8EN10test_utils4lessELj10EEvPKT_PS2_T2_: ; @_Z17sort_pairs_kernelIxLj128ELj8EN10test_utils4lessELj10EEvPKT_PS2_T2_
; %bb.0:
	s_load_b128 s[44:47], s[0:1], 0x0
	s_lshl_b32 s50, ttmp9, 10
	s_mov_b32 s51, 0
	v_lshlrev_b32_e32 v1, 3, v0
	s_lshl_b64 s[48:49], s[50:51], 3
	v_lshlrev_b32_e32 v53, 6, v0
	s_delay_alu instid0(VALU_DEP_2)
	v_and_b32_e32 v54, 0x3f0, v1
	v_and_b32_e32 v2, 8, v1
	;; [unrolled: 1-line block ×5, first 2 shown]
	v_or_b32_e32 v63, 8, v54
	v_add_nc_u32_e32 v64, 16, v54
	v_and_b32_e32 v4, 56, v1
	v_and_b32_e32 v57, 0x380, v1
	;; [unrolled: 1-line block ×5, first 2 shown]
	s_wait_kmcnt 0x0
	s_add_nc_u64 s[0:1], s[44:45], s[48:49]
	v_and_b32_e32 v59, 0x200, v1
	s_clause 0x7
	global_load_b64 v[19:20], v1, s[0:1]
	global_load_b64 v[33:34], v1, s[0:1] offset:1024
	global_load_b64 v[29:30], v1, s[0:1] offset:2048
	;; [unrolled: 1-line block ×7, first 2 shown]
	v_and_b32_e32 v7, 0x1f8, v1
	v_subrev_nc_u32_e64 v60, 0x200, v1 clamp
	v_min_i32_e32 v61, 0x200, v1
	v_add_nc_u32_e32 v62, 0x200, v1
	v_or_b32_e32 v66, 16, v55
	v_add_nc_u32_e32 v67, 32, v55
	v_lshlrev_b32_e32 v1, 3, v2
	v_sub_nc_u32_e32 v14, v64, v63
	v_or_b32_e32 v69, 32, v56
	v_add_nc_u32_e32 v70, 64, v56
	v_lshlrev_b32_e32 v8, 3, v3
	v_sub_nc_u32_e32 v16, v67, v66
	v_lshl_add_u32 v87, v63, 3, v1
	v_sub_nc_u32_e32 v1, v2, v14
	v_cmp_ge_i32_e64 s0, v2, v14
	v_or_b32_e32 v72, 64, v57
	v_add_nc_u32_e32 v73, 0x80, v57
	v_lshlrev_b32_e32 v9, 3, v4
	v_sub_nc_u32_e32 v32, v70, v69
	v_lshl_add_u32 v88, v66, 3, v8
	v_sub_nc_u32_e32 v8, v3, v16
	v_cndmask_b32_e64 v99, 0, v1, s0
	v_cmp_ge_i32_e64 s0, v3, v16
	v_or_b32_e32 v75, 0x80, v58
	v_add_nc_u32_e32 v76, 0x100, v58
	v_lshlrev_b32_e32 v10, 3, v5
	v_sub_nc_u32_e32 v36, v73, v72
	v_lshl_add_u32 v89, v69, 3, v9
	v_sub_nc_u32_e32 v9, v4, v32
	s_wait_alu 0xf1ff
	v_cndmask_b32_e64 v100, 0, v8, s0
	v_cmp_ge_i32_e64 s0, v4, v32
	v_or_b32_e32 v78, 0x100, v59
	v_add_nc_u32_e32 v79, 0x200, v59
	v_lshlrev_b32_e32 v11, 3, v6
	v_sub_nc_u32_e32 v38, v76, v75
	v_lshl_add_u32 v90, v72, 3, v10
	v_sub_nc_u32_e32 v10, v5, v36
	s_wait_alu 0xf1ff
	v_cndmask_b32_e64 v101, 0, v9, s0
	v_cmp_ge_i32_e64 s0, v5, v36
	v_sub_nc_u32_e32 v15, v66, v55
	v_lshlrev_b32_e32 v12, 3, v7
	v_sub_nc_u32_e32 v40, v79, v78
	v_lshl_add_u32 v91, v75, 3, v11
	v_sub_nc_u32_e32 v11, v6, v38
	s_wait_alu 0xf1ff
	v_cndmask_b32_e64 v102, 0, v10, s0
	v_cmp_ge_i32_e64 s0, v6, v38
	v_sub_nc_u32_e32 v13, v63, v54
	v_min_i32_e32 v94, v3, v15
	v_lshl_add_u32 v92, v78, 3, v12
	v_sub_nc_u32_e32 v12, v7, v40
	s_wait_alu 0xf1ff
	v_cndmask_b32_e64 v103, 0, v11, s0
	v_cmp_ge_i32_e64 s0, v7, v40
	v_min_i32_e32 v93, v2, v13
	v_sub_nc_u32_e32 v39, v78, v59
	v_sub_nc_u32_e32 v35, v72, v57
	;; [unrolled: 1-line block ×4, first 2 shown]
	s_wait_alu 0xf1ff
	v_cndmask_b32_e64 v104, 0, v12, s0
	v_add_nc_u32_e32 v86, v78, v7
	v_min_i32_e32 v98, v7, v39
	v_add_nc_u32_e32 v84, v72, v5
	v_min_i32_e32 v96, v5, v35
	v_min_i32_e32 v95, v4, v31
	;; [unrolled: 1-line block ×3, first 2 shown]
	v_add_nc_u32_e32 v82, v66, v3
	v_add_nc_u32_e32 v85, v75, v6
	;; [unrolled: 1-line block ×3, first 2 shown]
	v_lshlrev_b32_e32 v65, 3, v54
	v_lshlrev_b32_e32 v68, 3, v55
	;; [unrolled: 1-line block ×6, first 2 shown]
	v_add_nc_u32_e32 v81, v63, v2
	v_cmp_lt_i32_e64 s0, v99, v93
	v_cmp_lt_i32_e64 s1, v100, v94
	;; [unrolled: 1-line block ×6, first 2 shown]
	v_add_nc_u32_e32 v105, 0x1000, v53
	v_cmp_lt_i32_e32 vcc_lo, v60, v61
	s_wait_loadcnt 0x7
	v_add_co_u32 v15, s6, v19, 1
	s_delay_alu instid0(VALU_DEP_1)
	v_add_co_ci_u32_e64 v16, null, 0, v20, s6
	s_wait_loadcnt 0x6
	v_add_co_u32 v13, s6, v33, 1
	s_wait_alu 0xf1ff
	v_add_co_ci_u32_e64 v14, null, 0, v34, s6
	s_wait_loadcnt 0x5
	v_add_co_u32 v11, s6, v29, 1
	s_wait_alu 0xf1ff
	v_add_co_ci_u32_e64 v12, null, 0, v30, s6
	s_wait_loadcnt 0x4
	v_add_co_u32 v9, s6, v27, 1
	s_wait_alu 0xf1ff
	v_add_co_ci_u32_e64 v10, null, 0, v28, s6
	s_wait_loadcnt 0x3
	v_add_co_u32 v7, s6, v25, 1
	s_wait_alu 0xf1ff
	v_add_co_ci_u32_e64 v8, null, 0, v26, s6
	s_wait_loadcnt 0x2
	v_add_co_u32 v5, s6, v23, 1
	s_wait_alu 0xf1ff
	v_add_co_ci_u32_e64 v6, null, 0, v24, s6
	s_wait_loadcnt 0x1
	v_add_co_u32 v3, s6, v21, 1
	s_wait_alu 0xf1ff
	v_add_co_ci_u32_e64 v4, null, 0, v22, s6
	s_wait_loadcnt 0x0
	v_add_co_u32 v1, s6, v17, 1
	s_wait_alu 0xf1ff
	v_add_co_ci_u32_e64 v2, null, 0, v18, s6
	s_branch .LBB139_2
.LBB139_1:                              ;   in Loop: Header=BB139_2 Depth=1
	s_or_b32 exec_lo, exec_lo, s13
	s_wait_dscnt 0x0
	s_delay_alu instid0(VALU_DEP_1)
	v_cmp_lt_i64_e64 s13, v[51:52], v[49:50]
	v_cmp_le_i32_e64 s14, 0x200, v116
	v_cmp_gt_i32_e64 s15, 0x400, v115
	v_cndmask_b32_e64 v29, v29, v30, s6
	v_cndmask_b32_e64 v33, v33, v34, s7
	;; [unrolled: 1-line block ×3, first 2 shown]
	s_or_b32 s13, s14, s13
	v_cndmask_b32_e64 v108, v108, v109, s9
	s_wait_alu 0xfffe
	s_and_b32 s13, s15, s13
	v_cndmask_b32_e64 v112, v112, v113, s11
	v_cndmask_b32_e64 v110, v110, v111, s10
	s_wait_alu 0xfffe
	v_cndmask_b32_e64 v30, v116, v115, s13
	s_wait_loadcnt 0x0
	s_barrier_signal -1
	s_barrier_wait -1
	global_inv scope:SCOPE_SE
	ds_store_2addr_b64 v53, v[13:14], v[15:16] offset1:1
	ds_store_2addr_b64 v53, v[9:10], v[11:12] offset0:2 offset1:3
	ds_store_2addr_b64 v53, v[5:6], v[7:8] offset0:4 offset1:5
	;; [unrolled: 1-line block ×3, first 2 shown]
	v_lshlrev_b32_e32 v1, 3, v29
	v_lshlrev_b32_e32 v2, 3, v33
	;; [unrolled: 1-line block ×6, first 2 shown]
	s_wait_loadcnt_dscnt 0x0
	s_barrier_signal -1
	s_barrier_wait -1
	global_inv scope:SCOPE_SE
	v_lshlrev_b32_e32 v29, 3, v114
	v_lshlrev_b32_e32 v30, 3, v30
	ds_load_b64 v[15:16], v1
	ds_load_b64 v[13:14], v2
	ds_load_b64 v[11:12], v3
	ds_load_b64 v[9:10], v4
	ds_load_b64 v[7:8], v5
	ds_load_b64 v[5:6], v6
	ds_load_b64 v[3:4], v29
	ds_load_b64 v[1:2], v30
	v_cndmask_b32_e64 v20, v18, v20, s6
	v_cndmask_b32_e64 v18, v50, v52, s13
	;; [unrolled: 1-line block ×16, first 2 shown]
	s_add_co_i32 s51, s51, 1
	s_delay_alu instid0(SALU_CYCLE_1)
	s_cmp_eq_u32 s51, 10
	s_cbranch_scc1 .LBB139_226
.LBB139_2:                              ; =>This Loop Header: Depth=1
                                        ;     Child Loop BB139_4 Depth 2
                                        ;     Child Loop BB139_36 Depth 2
	;; [unrolled: 1-line block ×7, first 2 shown]
	v_cmp_lt_i64_e64 s6, v[33:34], v[19:20]
	v_cmp_lt_i64_e64 s7, v[27:28], v[29:30]
	;; [unrolled: 1-line block ×4, first 2 shown]
	s_barrier_signal -1
	s_wait_alu 0xf1ff
	v_cndmask_b32_e64 v32, v20, v34, s6
	v_cndmask_b32_e64 v35, v28, v30, s7
	;; [unrolled: 1-line block ×16, first 2 shown]
	v_cmp_lt_i64_e64 s10, v[27:28], v[19:20]
	v_cmp_lt_i64_e64 s11, v[23:24], v[34:35]
	s_barrier_wait -1
	global_inv scope:SCOPE_SE
	v_cmp_lt_i64_e64 s12, v[17:18], v[29:30]
	s_wait_alu 0xf1ff
	v_cndmask_b32_e64 v22, v28, v20, s10
	v_cndmask_b32_e64 v21, v27, v19, s10
	;; [unrolled: 1-line block ×12, first 2 shown]
	v_cmp_lt_i64_e64 s13, v[19:20], v[31:32]
	v_cmp_lt_i64_e64 s14, v[23:24], v[21:22]
	;; [unrolled: 1-line block ×3, first 2 shown]
	s_delay_alu instid0(VALU_DEP_4) | instskip(SKIP_1) | instid1(VALU_DEP_4)
	v_cmp_lt_i64_e64 s15, v[17:18], v[27:28]
	s_wait_alu 0xf1ff
	v_cndmask_b32_e64 v30, v32, v20, s13
	v_cndmask_b32_e64 v29, v31, v19, s13
	;; [unrolled: 1-line block ×16, first 2 shown]
	v_cmp_lt_i64_e64 s17, v[21:22], v[19:20]
	v_cmp_lt_i64_e64 s18, v[17:18], v[31:32]
	s_delay_alu instid0(VALU_DEP_3) | instskip(SKIP_1) | instid1(VALU_DEP_3)
	v_cmp_lt_i64_e64 s19, v[25:26], v[23:24]
	s_wait_alu 0xf1ff
	v_cndmask_b32_e64 v34, v22, v20, s17
	v_cndmask_b32_e64 v33, v21, v19, s17
	;; [unrolled: 1-line block ×12, first 2 shown]
	v_cmp_lt_i64_e64 s20, v[19:20], v[29:30]
	v_cmp_lt_i64_e64 s21, v[17:18], v[33:34]
	;; [unrolled: 1-line block ×3, first 2 shown]
	s_delay_alu instid0(VALU_DEP_4) | instskip(SKIP_1) | instid1(VALU_DEP_4)
	v_cmp_lt_i64_e64 s22, v[23:24], v[21:22]
	s_wait_alu 0xf1ff
	v_cndmask_b32_e64 v26, v30, v20, s20
	v_cndmask_b32_e64 v25, v29, v19, s20
	;; [unrolled: 1-line block ×16, first 2 shown]
	v_cmp_lt_i64_e64 s24, v[17:18], v[19:20]
	v_cmp_lt_i64_e64 s25, v[21:22], v[29:30]
	s_delay_alu instid0(VALU_DEP_3) | instskip(SKIP_1) | instid1(VALU_DEP_3)
	v_cmp_lt_i64_e64 s26, v[27:28], v[33:34]
	s_wait_alu 0xf1ff
	v_cndmask_b32_e64 v32, v18, v20, s24
	v_cndmask_b32_e64 v31, v17, v19, s24
	v_cndmask_b32_e64 v18, v20, v18, s24
	v_cndmask_b32_e64 v17, v19, v17, s24
	v_cndmask_b32_e64 v20, v22, v30, s25
	v_cndmask_b32_e64 v19, v21, v29, s25
	v_cndmask_b32_e64 v22, v30, v22, s25
	v_cndmask_b32_e64 v21, v29, v21, s25
	v_cndmask_b32_e64 v30, v28, v34, s26
	v_cndmask_b32_e64 v29, v27, v33, s26
	v_cndmask_b32_e64 v28, v34, v28, s26
	v_cndmask_b32_e64 v27, v33, v27, s26
	v_cmp_lt_i64_e64 s27, v[17:18], v[25:26]
	v_cmp_lt_i64_e64 s28, v[21:22], v[31:32]
	;; [unrolled: 1-line block ×3, first 2 shown]
	s_delay_alu instid0(VALU_DEP_4) | instskip(SKIP_1) | instid1(VALU_DEP_4)
	v_cmp_lt_i64_e64 s29, v[27:28], v[19:20]
	s_wait_alu 0xf1ff
	v_cndmask_b32_e64 v34, v18, v26, s27
	v_cndmask_b32_e64 v33, v17, v25, s27
	;; [unrolled: 1-line block ×14, first 2 shown]
	v_cmp_lt_i64_e64 s33, v[21:22], v[33:34]
	v_cndmask_b32_e64 v24, v24, v30, s30
	v_cmp_lt_i64_e64 s34, v[19:20], v[25:26]
	v_cndmask_b32_e64 v23, v23, v29, s30
	v_cmp_lt_i64_e64 s31, v[27:28], v[31:32]
	s_wait_alu 0xf1ff
	v_cndmask_b32_e64 v30, v22, v34, s33
	v_cndmask_b32_e64 v29, v21, v33, s33
	;; [unrolled: 1-line block ×12, first 2 shown]
	ds_store_2addr_b64 v53, v[17:18], v[21:22] offset1:1
	ds_store_2addr_b64 v53, v[29:30], v[19:20] offset0:2 offset1:3
	ds_store_2addr_b64 v53, v[33:34], v[27:28] offset0:4 offset1:5
	;; [unrolled: 1-line block ×3, first 2 shown]
	v_mov_b32_e32 v21, v99
	s_wait_loadcnt_dscnt 0x0
	s_barrier_signal -1
	s_barrier_wait -1
	global_inv scope:SCOPE_SE
	s_and_saveexec_b32 s36, s0
	s_cbranch_execz .LBB139_6
; %bb.3:                                ;   in Loop: Header=BB139_2 Depth=1
	v_mov_b32_e32 v21, v99
	v_mov_b32_e32 v17, v93
	s_mov_b32 s37, 0
.LBB139_4:                              ;   Parent Loop BB139_2 Depth=1
                                        ; =>  This Inner Loop Header: Depth=2
	s_delay_alu instid0(VALU_DEP_1) | instskip(NEXT) | instid1(VALU_DEP_1)
	v_sub_nc_u32_e32 v18, v17, v21
	v_lshrrev_b32_e32 v18, 1, v18
	s_delay_alu instid0(VALU_DEP_1) | instskip(NEXT) | instid1(VALU_DEP_1)
	v_add_nc_u32_e32 v20, v18, v21
	v_not_b32_e32 v18, v20
	v_lshl_add_u32 v19, v20, 3, v65
	s_delay_alu instid0(VALU_DEP_2)
	v_lshl_add_u32 v22, v18, 3, v87
	ds_load_b64 v[18:19], v19
	ds_load_b64 v[22:23], v22
	s_wait_dscnt 0x0
	v_cmp_lt_i64_e64 s35, v[22:23], v[18:19]
	v_add_nc_u32_e32 v18, 1, v20
	s_wait_alu 0xf1ff
	s_delay_alu instid0(VALU_DEP_2) | instskip(NEXT) | instid1(VALU_DEP_2)
	v_cndmask_b32_e64 v17, v17, v20, s35
	v_cndmask_b32_e64 v21, v18, v21, s35
	s_delay_alu instid0(VALU_DEP_1)
	v_cmp_ge_i32_e64 s35, v21, v17
	s_wait_alu 0xfffe
	s_or_b32 s37, s35, s37
	s_wait_alu 0xfffe
	s_and_not1_b32 exec_lo, exec_lo, s37
	s_cbranch_execnz .LBB139_4
; %bb.5:                                ;   in Loop: Header=BB139_2 Depth=1
	s_or_b32 exec_lo, exec_lo, s37
.LBB139_6:                              ;   in Loop: Header=BB139_2 Depth=1
	s_wait_alu 0xfffe
	s_or_b32 exec_lo, exec_lo, s36
	v_sub_nc_u32_e32 v49, v81, v21
	v_lshl_add_u32 v23, v21, 3, v65
	v_add_nc_u32_e32 v50, v21, v54
                                        ; implicit-def: $vgpr21_vgpr22
	s_delay_alu instid0(VALU_DEP_3) | instskip(SKIP_1) | instid1(VALU_DEP_3)
	v_lshlrev_b32_e32 v25, 3, v49
	v_cmp_gt_i32_e64 s37, v64, v49
	v_cmp_le_i32_e64 s36, v63, v50
	ds_load_b64 v[17:18], v23
	ds_load_b64 v[19:20], v25
	s_wait_dscnt 0x0
	v_cmp_lt_i64_e64 s35, v[19:20], v[17:18]
	s_or_b32 s35, s36, s35
	s_wait_alu 0xfffe
	s_and_b32 s35, s37, s35
	s_wait_alu 0xfffe
	s_xor_b32 s36, s35, -1
	s_wait_alu 0xfffe
	s_and_saveexec_b32 s37, s36
	s_wait_alu 0xfffe
	s_xor_b32 s36, exec_lo, s37
; %bb.7:                                ;   in Loop: Header=BB139_2 Depth=1
	ds_load_b64 v[21:22], v23 offset:8
                                        ; implicit-def: $vgpr25
; %bb.8:                                ;   in Loop: Header=BB139_2 Depth=1
	s_wait_alu 0xfffe
	s_or_saveexec_b32 s36, s36
	v_dual_mov_b32 v24, v20 :: v_dual_mov_b32 v23, v19
	s_wait_alu 0xfffe
	s_xor_b32 exec_lo, exec_lo, s36
	s_cbranch_execz .LBB139_10
; %bb.9:                                ;   in Loop: Header=BB139_2 Depth=1
	ds_load_b64 v[23:24], v25 offset:8
	s_wait_dscnt 0x1
	v_dual_mov_b32 v22, v18 :: v_dual_mov_b32 v21, v17
.LBB139_10:                             ;   in Loop: Header=BB139_2 Depth=1
	s_or_b32 exec_lo, exec_lo, s36
	v_add_nc_u32_e32 v25, 1, v50
	v_add_nc_u32_e32 v26, 1, v49
	s_wait_dscnt 0x0
	v_cmp_lt_i64_e64 s36, v[23:24], v[21:22]
	s_delay_alu instid0(VALU_DEP_3) | instskip(NEXT) | instid1(VALU_DEP_3)
	v_cndmask_b32_e64 v51, v25, v50, s35
	v_cndmask_b32_e64 v52, v49, v26, s35
                                        ; implicit-def: $vgpr25_vgpr26
	s_delay_alu instid0(VALU_DEP_2) | instskip(NEXT) | instid1(VALU_DEP_2)
	v_cmp_ge_i32_e64 s37, v51, v63
	v_cmp_lt_i32_e64 s38, v52, v64
	s_or_b32 s36, s37, s36
	s_wait_alu 0xfffe
	s_and_b32 s36, s38, s36
	s_wait_alu 0xfffe
	s_xor_b32 s37, s36, -1
	s_wait_alu 0xfffe
	s_and_saveexec_b32 s38, s37
	s_wait_alu 0xfffe
	s_xor_b32 s37, exec_lo, s38
; %bb.11:                               ;   in Loop: Header=BB139_2 Depth=1
	v_lshlrev_b32_e32 v25, 3, v51
	ds_load_b64 v[25:26], v25 offset:8
; %bb.12:                               ;   in Loop: Header=BB139_2 Depth=1
	s_wait_alu 0xfffe
	s_or_saveexec_b32 s37, s37
	v_dual_mov_b32 v28, v24 :: v_dual_mov_b32 v27, v23
	s_wait_alu 0xfffe
	s_xor_b32 exec_lo, exec_lo, s37
	s_cbranch_execz .LBB139_14
; %bb.13:                               ;   in Loop: Header=BB139_2 Depth=1
	s_wait_dscnt 0x0
	v_lshlrev_b32_e32 v25, 3, v52
	ds_load_b64 v[27:28], v25 offset:8
	v_dual_mov_b32 v26, v22 :: v_dual_mov_b32 v25, v21
.LBB139_14:                             ;   in Loop: Header=BB139_2 Depth=1
	s_or_b32 exec_lo, exec_lo, s37
	v_add_nc_u32_e32 v29, 1, v51
	v_add_nc_u32_e32 v30, 1, v52
	s_wait_dscnt 0x0
	v_cmp_lt_i64_e64 s37, v[27:28], v[25:26]
                                        ; implicit-def: $vgpr33_vgpr34
	s_delay_alu instid0(VALU_DEP_3) | instskip(NEXT) | instid1(VALU_DEP_3)
	v_cndmask_b32_e64 v106, v29, v51, s36
	v_cndmask_b32_e64 v107, v52, v30, s36
	s_delay_alu instid0(VALU_DEP_2) | instskip(NEXT) | instid1(VALU_DEP_2)
	v_cmp_ge_i32_e64 s38, v106, v63
	v_cmp_lt_i32_e64 s39, v107, v64
	s_or_b32 s37, s38, s37
	s_wait_alu 0xfffe
	s_and_b32 s37, s39, s37
	s_wait_alu 0xfffe
	s_xor_b32 s38, s37, -1
	s_wait_alu 0xfffe
	s_and_saveexec_b32 s39, s38
	s_wait_alu 0xfffe
	s_xor_b32 s38, exec_lo, s39
; %bb.15:                               ;   in Loop: Header=BB139_2 Depth=1
	v_lshlrev_b32_e32 v29, 3, v106
	ds_load_b64 v[33:34], v29 offset:8
; %bb.16:                               ;   in Loop: Header=BB139_2 Depth=1
	s_wait_alu 0xfffe
	s_or_saveexec_b32 s38, s38
	v_dual_mov_b32 v36, v28 :: v_dual_mov_b32 v35, v27
	s_wait_alu 0xfffe
	s_xor_b32 exec_lo, exec_lo, s38
	s_cbranch_execz .LBB139_18
; %bb.17:                               ;   in Loop: Header=BB139_2 Depth=1
	s_wait_dscnt 0x0
	v_dual_mov_b32 v34, v26 :: v_dual_lshlrev_b32 v29, 3, v107
	v_mov_b32_e32 v33, v25
	ds_load_b64 v[35:36], v29 offset:8
.LBB139_18:                             ;   in Loop: Header=BB139_2 Depth=1
	s_or_b32 exec_lo, exec_lo, s38
	v_add_nc_u32_e32 v29, 1, v106
	v_add_nc_u32_e32 v30, 1, v107
	s_wait_dscnt 0x0
	v_cmp_lt_i64_e64 s38, v[35:36], v[33:34]
                                        ; implicit-def: $vgpr37_vgpr38
	s_delay_alu instid0(VALU_DEP_3) | instskip(NEXT) | instid1(VALU_DEP_3)
	v_cndmask_b32_e64 v108, v29, v106, s37
	v_cndmask_b32_e64 v109, v107, v30, s37
	s_delay_alu instid0(VALU_DEP_2) | instskip(NEXT) | instid1(VALU_DEP_2)
	v_cmp_ge_i32_e64 s39, v108, v63
	v_cmp_lt_i32_e64 s40, v109, v64
	s_or_b32 s38, s39, s38
	s_wait_alu 0xfffe
	s_and_b32 s38, s40, s38
	s_wait_alu 0xfffe
	s_xor_b32 s39, s38, -1
	s_wait_alu 0xfffe
	s_and_saveexec_b32 s40, s39
	s_wait_alu 0xfffe
	s_xor_b32 s39, exec_lo, s40
; %bb.19:                               ;   in Loop: Header=BB139_2 Depth=1
	v_lshlrev_b32_e32 v29, 3, v108
	ds_load_b64 v[37:38], v29 offset:8
; %bb.20:                               ;   in Loop: Header=BB139_2 Depth=1
	s_wait_alu 0xfffe
	s_or_saveexec_b32 s39, s39
	v_dual_mov_b32 v40, v36 :: v_dual_mov_b32 v39, v35
	s_wait_alu 0xfffe
	s_xor_b32 exec_lo, exec_lo, s39
	s_cbranch_execz .LBB139_22
; %bb.21:                               ;   in Loop: Header=BB139_2 Depth=1
	s_wait_dscnt 0x0
	v_dual_mov_b32 v38, v34 :: v_dual_lshlrev_b32 v29, 3, v109
	v_mov_b32_e32 v37, v33
	ds_load_b64 v[39:40], v29 offset:8
.LBB139_22:                             ;   in Loop: Header=BB139_2 Depth=1
	s_or_b32 exec_lo, exec_lo, s39
	v_add_nc_u32_e32 v29, 1, v108
	v_add_nc_u32_e32 v30, 1, v109
	s_wait_dscnt 0x0
	v_cmp_lt_i64_e64 s39, v[39:40], v[37:38]
                                        ; implicit-def: $vgpr41_vgpr42
	s_delay_alu instid0(VALU_DEP_3) | instskip(NEXT) | instid1(VALU_DEP_3)
	v_cndmask_b32_e64 v110, v29, v108, s38
	v_cndmask_b32_e64 v111, v109, v30, s38
	s_delay_alu instid0(VALU_DEP_2) | instskip(NEXT) | instid1(VALU_DEP_2)
	v_cmp_ge_i32_e64 s40, v110, v63
	v_cmp_lt_i32_e64 s41, v111, v64
	s_or_b32 s39, s40, s39
	s_wait_alu 0xfffe
	s_and_b32 s39, s41, s39
	s_wait_alu 0xfffe
	s_xor_b32 s40, s39, -1
	s_wait_alu 0xfffe
	s_and_saveexec_b32 s41, s40
	s_wait_alu 0xfffe
	s_xor_b32 s40, exec_lo, s41
; %bb.23:                               ;   in Loop: Header=BB139_2 Depth=1
	v_lshlrev_b32_e32 v29, 3, v110
	ds_load_b64 v[41:42], v29 offset:8
; %bb.24:                               ;   in Loop: Header=BB139_2 Depth=1
	s_wait_alu 0xfffe
	s_or_saveexec_b32 s40, s40
	v_dual_mov_b32 v44, v40 :: v_dual_mov_b32 v43, v39
	s_wait_alu 0xfffe
	s_xor_b32 exec_lo, exec_lo, s40
	s_cbranch_execz .LBB139_26
; %bb.25:                               ;   in Loop: Header=BB139_2 Depth=1
	s_wait_dscnt 0x0
	v_dual_mov_b32 v42, v38 :: v_dual_lshlrev_b32 v29, 3, v111
	v_mov_b32_e32 v41, v37
	ds_load_b64 v[43:44], v29 offset:8
.LBB139_26:                             ;   in Loop: Header=BB139_2 Depth=1
	s_or_b32 exec_lo, exec_lo, s40
	v_add_nc_u32_e32 v29, 1, v110
	v_add_nc_u32_e32 v30, 1, v111
	s_wait_dscnt 0x0
	v_cmp_lt_i64_e64 s40, v[43:44], v[41:42]
                                        ; implicit-def: $vgpr45_vgpr46
	s_delay_alu instid0(VALU_DEP_3) | instskip(NEXT) | instid1(VALU_DEP_3)
	v_cndmask_b32_e64 v112, v29, v110, s39
	v_cndmask_b32_e64 v113, v111, v30, s39
	s_delay_alu instid0(VALU_DEP_2) | instskip(NEXT) | instid1(VALU_DEP_2)
	v_cmp_ge_i32_e64 s41, v112, v63
	v_cmp_lt_i32_e64 s42, v113, v64
	s_or_b32 s40, s41, s40
	s_wait_alu 0xfffe
	s_and_b32 s40, s42, s40
	s_wait_alu 0xfffe
	s_xor_b32 s41, s40, -1
	s_wait_alu 0xfffe
	s_and_saveexec_b32 s42, s41
	s_delay_alu instid0(SALU_CYCLE_1)
	s_xor_b32 s41, exec_lo, s42
; %bb.27:                               ;   in Loop: Header=BB139_2 Depth=1
	v_lshlrev_b32_e32 v29, 3, v112
	ds_load_b64 v[45:46], v29 offset:8
; %bb.28:                               ;   in Loop: Header=BB139_2 Depth=1
	s_wait_alu 0xfffe
	s_or_saveexec_b32 s41, s41
	v_dual_mov_b32 v48, v44 :: v_dual_mov_b32 v47, v43
	s_wait_alu 0xfffe
	s_xor_b32 exec_lo, exec_lo, s41
	s_cbranch_execz .LBB139_30
; %bb.29:                               ;   in Loop: Header=BB139_2 Depth=1
	s_wait_dscnt 0x0
	v_dual_mov_b32 v46, v42 :: v_dual_lshlrev_b32 v29, 3, v113
	v_mov_b32_e32 v45, v41
	ds_load_b64 v[47:48], v29 offset:8
.LBB139_30:                             ;   in Loop: Header=BB139_2 Depth=1
	s_or_b32 exec_lo, exec_lo, s41
	v_add_nc_u32_e32 v29, 1, v112
	v_add_nc_u32_e32 v30, 1, v113
	s_wait_dscnt 0x0
	v_cmp_lt_i64_e64 s41, v[47:48], v[45:46]
	s_delay_alu instid0(VALU_DEP_3) | instskip(NEXT) | instid1(VALU_DEP_3)
	v_cndmask_b32_e64 v114, v29, v112, s40
	v_cndmask_b32_e64 v115, v113, v30, s40
                                        ; implicit-def: $vgpr29_vgpr30
	s_delay_alu instid0(VALU_DEP_2) | instskip(NEXT) | instid1(VALU_DEP_2)
	v_cmp_ge_i32_e64 s42, v114, v63
	v_cmp_lt_i32_e64 s43, v115, v64
	s_or_b32 s41, s42, s41
	s_wait_alu 0xfffe
	s_and_b32 s41, s43, s41
	s_wait_alu 0xfffe
	s_xor_b32 s42, s41, -1
	s_delay_alu instid0(SALU_CYCLE_1) | instskip(NEXT) | instid1(SALU_CYCLE_1)
	s_and_saveexec_b32 s43, s42
	s_xor_b32 s42, exec_lo, s43
; %bb.31:                               ;   in Loop: Header=BB139_2 Depth=1
	v_lshlrev_b32_e32 v29, 3, v114
	ds_load_b64 v[29:30], v29 offset:8
; %bb.32:                               ;   in Loop: Header=BB139_2 Depth=1
	s_or_saveexec_b32 s42, s42
	v_dual_mov_b32 v31, v47 :: v_dual_mov_b32 v32, v48
	s_xor_b32 exec_lo, exec_lo, s42
	s_cbranch_execz .LBB139_34
; %bb.33:                               ;   in Loop: Header=BB139_2 Depth=1
	s_wait_dscnt 0x0
	v_lshlrev_b32_e32 v29, 3, v115
	ds_load_b64 v[31:32], v29 offset:8
	v_dual_mov_b32 v29, v45 :: v_dual_mov_b32 v30, v46
.LBB139_34:                             ;   in Loop: Header=BB139_2 Depth=1
	s_or_b32 exec_lo, exec_lo, s42
	v_cndmask_b32_e64 v42, v42, v44, s40
	v_cndmask_b32_e64 v26, v26, v28, s37
	;; [unrolled: 1-line block ×71, first 2 shown]
	v_add_nc_u32_e32 v117, 1, v114
	v_cndmask_b32_e64 v9, v14, v49, s23
	v_cndmask_b32_e64 v10, v13, v28, s23
	;; [unrolled: 1-line block ×4, first 2 shown]
	v_add_nc_u32_e32 v116, 1, v115
	v_cndmask_b32_e64 v38, v38, v40, s39
	v_cndmask_b32_e64 v40, v51, v52, s36
	;; [unrolled: 1-line block ×26, first 2 shown]
	s_wait_dscnt 0x0
	v_cmp_lt_i64_e64 s6, v[31:32], v[29:30]
	v_cndmask_b32_e64 v34, v34, v36, s38
	v_cndmask_b32_e64 v36, v106, v107, s37
	;; [unrolled: 1-line block ×6, first 2 shown]
	v_cmp_ge_i32_e64 s7, v48, v63
	v_cndmask_b32_e64 v50, v11, v9, s30
	v_cndmask_b32_e64 v51, v12, v10, s30
	v_cmp_lt_i32_e64 s8, v47, v64
	v_cndmask_b32_e64 v6, v28, v8, s33
	v_cndmask_b32_e64 v5, v49, v7, s33
	;; [unrolled: 1-line block ×8, first 2 shown]
	s_or_b32 s6, s7, s6
	v_cndmask_b32_e64 v10, v13, v16, s34
	v_cndmask_b32_e64 v9, v14, v15, s34
	;; [unrolled: 1-line block ×8, first 2 shown]
	s_wait_alu 0xfffe
	s_and_b32 s6, s8, s6
	v_cndmask_b32_e64 v41, v41, v43, s40
	v_cndmask_b32_e64 v43, v112, v113, s40
	;; [unrolled: 1-line block ×5, first 2 shown]
	s_wait_alu 0xfffe
	v_cndmask_b32_e64 v28, v30, v32, s6
	v_cndmask_b32_e64 v30, v48, v47, s6
	s_wait_loadcnt 0x0
	s_barrier_signal -1
	s_barrier_wait -1
	global_inv scope:SCOPE_SE
	ds_store_2addr_b64 v53, v[1:2], v[7:8] offset1:1
	ds_store_2addr_b64 v53, v[5:6], v[11:12] offset0:2 offset1:3
	ds_store_2addr_b64 v53, v[9:10], v[15:16] offset0:4 offset1:5
	;; [unrolled: 1-line block ×3, first 2 shown]
	v_lshlrev_b32_e32 v1, 3, v44
	v_lshlrev_b32_e32 v2, 3, v40
	v_lshlrev_b32_e32 v3, 3, v36
	v_lshlrev_b32_e32 v4, 3, v35
	v_lshlrev_b32_e32 v5, 3, v39
	v_lshlrev_b32_e32 v7, 3, v43
	s_wait_loadcnt_dscnt 0x0
	s_barrier_signal -1
	s_barrier_wait -1
	global_inv scope:SCOPE_SE
	v_lshlrev_b32_e32 v32, 3, v114
	v_lshlrev_b32_e32 v30, 3, v30
	ds_load_b64 v[13:14], v1
	ds_load_b64 v[15:16], v2
	;; [unrolled: 1-line block ×8, first 2 shown]
	v_cndmask_b32_e64 v22, v22, v24, s36
	v_cndmask_b32_e64 v21, v21, v23, s36
	;; [unrolled: 1-line block ×6, first 2 shown]
	s_wait_loadcnt_dscnt 0x0
	s_barrier_signal -1
	s_barrier_wait -1
	global_inv scope:SCOPE_SE
	ds_store_2addr_b64 v53, v[17:18], v[21:22] offset1:1
	ds_store_2addr_b64 v53, v[25:26], v[33:34] offset0:2 offset1:3
	ds_store_2addr_b64 v53, v[37:38], v[41:42] offset0:4 offset1:5
	;; [unrolled: 1-line block ×3, first 2 shown]
	v_mov_b32_e32 v21, v100
	s_wait_loadcnt_dscnt 0x0
	s_barrier_signal -1
	s_barrier_wait -1
	global_inv scope:SCOPE_SE
	s_and_saveexec_b32 s7, s1
	s_cbranch_execz .LBB139_38
; %bb.35:                               ;   in Loop: Header=BB139_2 Depth=1
	v_mov_b32_e32 v21, v100
	v_mov_b32_e32 v17, v94
	s_mov_b32 s8, 0
.LBB139_36:                             ;   Parent Loop BB139_2 Depth=1
                                        ; =>  This Inner Loop Header: Depth=2
	s_delay_alu instid0(VALU_DEP_1) | instskip(NEXT) | instid1(VALU_DEP_1)
	v_sub_nc_u32_e32 v18, v17, v21
	v_lshrrev_b32_e32 v18, 1, v18
	s_delay_alu instid0(VALU_DEP_1) | instskip(NEXT) | instid1(VALU_DEP_1)
	v_add_nc_u32_e32 v20, v18, v21
	v_not_b32_e32 v18, v20
	v_lshl_add_u32 v19, v20, 3, v68
	s_delay_alu instid0(VALU_DEP_2)
	v_lshl_add_u32 v22, v18, 3, v88
	ds_load_b64 v[18:19], v19
	ds_load_b64 v[22:23], v22
	s_wait_dscnt 0x0
	v_cmp_lt_i64_e64 s6, v[22:23], v[18:19]
	v_add_nc_u32_e32 v18, 1, v20
	s_wait_alu 0xf1ff
	s_delay_alu instid0(VALU_DEP_2) | instskip(NEXT) | instid1(VALU_DEP_2)
	v_cndmask_b32_e64 v17, v17, v20, s6
	v_cndmask_b32_e64 v21, v18, v21, s6
	s_delay_alu instid0(VALU_DEP_1)
	v_cmp_ge_i32_e64 s6, v21, v17
	s_wait_alu 0xfffe
	s_or_b32 s8, s6, s8
	s_wait_alu 0xfffe
	s_and_not1_b32 exec_lo, exec_lo, s8
	s_cbranch_execnz .LBB139_36
; %bb.37:                               ;   in Loop: Header=BB139_2 Depth=1
	s_or_b32 exec_lo, exec_lo, s8
.LBB139_38:                             ;   in Loop: Header=BB139_2 Depth=1
	s_wait_alu 0xfffe
	s_or_b32 exec_lo, exec_lo, s7
	v_sub_nc_u32_e32 v49, v82, v21
	v_lshl_add_u32 v23, v21, 3, v68
	v_add_nc_u32_e32 v50, v21, v55
                                        ; implicit-def: $vgpr21_vgpr22
	s_delay_alu instid0(VALU_DEP_3) | instskip(SKIP_1) | instid1(VALU_DEP_3)
	v_lshlrev_b32_e32 v25, 3, v49
	v_cmp_gt_i32_e64 s8, v67, v49
	v_cmp_le_i32_e64 s7, v66, v50
	ds_load_b64 v[17:18], v23
	ds_load_b64 v[19:20], v25
	s_wait_dscnt 0x0
	v_cmp_lt_i64_e64 s6, v[19:20], v[17:18]
	s_or_b32 s6, s7, s6
	s_wait_alu 0xfffe
	s_and_b32 s6, s8, s6
	s_wait_alu 0xfffe
	s_xor_b32 s7, s6, -1
	s_wait_alu 0xfffe
	s_and_saveexec_b32 s8, s7
	s_wait_alu 0xfffe
	s_xor_b32 s7, exec_lo, s8
; %bb.39:                               ;   in Loop: Header=BB139_2 Depth=1
	ds_load_b64 v[21:22], v23 offset:8
                                        ; implicit-def: $vgpr25
; %bb.40:                               ;   in Loop: Header=BB139_2 Depth=1
	s_wait_alu 0xfffe
	s_or_saveexec_b32 s7, s7
	v_dual_mov_b32 v24, v20 :: v_dual_mov_b32 v23, v19
	s_wait_alu 0xfffe
	s_xor_b32 exec_lo, exec_lo, s7
	s_cbranch_execz .LBB139_42
; %bb.41:                               ;   in Loop: Header=BB139_2 Depth=1
	ds_load_b64 v[23:24], v25 offset:8
	s_wait_dscnt 0x1
	v_dual_mov_b32 v22, v18 :: v_dual_mov_b32 v21, v17
.LBB139_42:                             ;   in Loop: Header=BB139_2 Depth=1
	s_or_b32 exec_lo, exec_lo, s7
	v_add_nc_u32_e32 v25, 1, v50
	v_add_nc_u32_e32 v26, 1, v49
	s_wait_dscnt 0x0
	v_cmp_lt_i64_e64 s7, v[23:24], v[21:22]
	s_delay_alu instid0(VALU_DEP_3) | instskip(NEXT) | instid1(VALU_DEP_3)
	v_cndmask_b32_e64 v51, v25, v50, s6
	v_cndmask_b32_e64 v52, v49, v26, s6
                                        ; implicit-def: $vgpr25_vgpr26
	s_delay_alu instid0(VALU_DEP_2) | instskip(NEXT) | instid1(VALU_DEP_2)
	v_cmp_ge_i32_e64 s8, v51, v66
	v_cmp_lt_i32_e64 s9, v52, v67
	s_or_b32 s7, s8, s7
	s_wait_alu 0xfffe
	s_and_b32 s7, s9, s7
	s_wait_alu 0xfffe
	s_xor_b32 s8, s7, -1
	s_wait_alu 0xfffe
	s_and_saveexec_b32 s9, s8
	s_wait_alu 0xfffe
	s_xor_b32 s8, exec_lo, s9
; %bb.43:                               ;   in Loop: Header=BB139_2 Depth=1
	v_lshlrev_b32_e32 v25, 3, v51
	ds_load_b64 v[25:26], v25 offset:8
; %bb.44:                               ;   in Loop: Header=BB139_2 Depth=1
	s_wait_alu 0xfffe
	s_or_saveexec_b32 s8, s8
	v_dual_mov_b32 v28, v24 :: v_dual_mov_b32 v27, v23
	s_wait_alu 0xfffe
	s_xor_b32 exec_lo, exec_lo, s8
	s_cbranch_execz .LBB139_46
; %bb.45:                               ;   in Loop: Header=BB139_2 Depth=1
	s_wait_dscnt 0x0
	v_lshlrev_b32_e32 v25, 3, v52
	ds_load_b64 v[27:28], v25 offset:8
	v_dual_mov_b32 v26, v22 :: v_dual_mov_b32 v25, v21
.LBB139_46:                             ;   in Loop: Header=BB139_2 Depth=1
	s_or_b32 exec_lo, exec_lo, s8
	v_add_nc_u32_e32 v29, 1, v51
	v_add_nc_u32_e32 v30, 1, v52
	s_wait_dscnt 0x0
	v_cmp_lt_i64_e64 s8, v[27:28], v[25:26]
	s_delay_alu instid0(VALU_DEP_3) | instskip(NEXT) | instid1(VALU_DEP_3)
	v_cndmask_b32_e64 v106, v29, v51, s7
	v_cndmask_b32_e64 v107, v52, v30, s7
                                        ; implicit-def: $vgpr29_vgpr30
	s_delay_alu instid0(VALU_DEP_2) | instskip(NEXT) | instid1(VALU_DEP_2)
	v_cmp_ge_i32_e64 s9, v106, v66
	v_cmp_lt_i32_e64 s10, v107, v67
	s_or_b32 s8, s9, s8
	s_wait_alu 0xfffe
	s_and_b32 s8, s10, s8
	s_wait_alu 0xfffe
	s_xor_b32 s9, s8, -1
	s_wait_alu 0xfffe
	s_and_saveexec_b32 s10, s9
	s_wait_alu 0xfffe
	s_xor_b32 s9, exec_lo, s10
; %bb.47:                               ;   in Loop: Header=BB139_2 Depth=1
	v_lshlrev_b32_e32 v29, 3, v106
	ds_load_b64 v[29:30], v29 offset:8
; %bb.48:                               ;   in Loop: Header=BB139_2 Depth=1
	s_wait_alu 0xfffe
	s_or_saveexec_b32 s9, s9
	v_dual_mov_b32 v32, v28 :: v_dual_mov_b32 v31, v27
	s_wait_alu 0xfffe
	s_xor_b32 exec_lo, exec_lo, s9
	s_cbranch_execz .LBB139_50
; %bb.49:                               ;   in Loop: Header=BB139_2 Depth=1
	s_wait_dscnt 0x0
	v_lshlrev_b32_e32 v29, 3, v107
	ds_load_b64 v[31:32], v29 offset:8
	v_dual_mov_b32 v30, v26 :: v_dual_mov_b32 v29, v25
.LBB139_50:                             ;   in Loop: Header=BB139_2 Depth=1
	s_or_b32 exec_lo, exec_lo, s9
	v_add_nc_u32_e32 v33, 1, v106
	v_add_nc_u32_e32 v34, 1, v107
	s_wait_dscnt 0x0
	v_cmp_lt_i64_e64 s9, v[31:32], v[29:30]
	s_delay_alu instid0(VALU_DEP_3) | instskip(NEXT) | instid1(VALU_DEP_3)
	v_cndmask_b32_e64 v108, v33, v106, s8
	v_cndmask_b32_e64 v109, v107, v34, s8
                                        ; implicit-def: $vgpr33_vgpr34
	s_delay_alu instid0(VALU_DEP_2) | instskip(NEXT) | instid1(VALU_DEP_2)
	v_cmp_ge_i32_e64 s10, v108, v66
	v_cmp_lt_i32_e64 s11, v109, v67
	s_or_b32 s9, s10, s9
	s_wait_alu 0xfffe
	s_and_b32 s9, s11, s9
	s_wait_alu 0xfffe
	s_xor_b32 s10, s9, -1
	s_wait_alu 0xfffe
	s_and_saveexec_b32 s11, s10
	s_wait_alu 0xfffe
	s_xor_b32 s10, exec_lo, s11
; %bb.51:                               ;   in Loop: Header=BB139_2 Depth=1
	v_lshlrev_b32_e32 v33, 3, v108
	ds_load_b64 v[33:34], v33 offset:8
; %bb.52:                               ;   in Loop: Header=BB139_2 Depth=1
	s_wait_alu 0xfffe
	s_or_saveexec_b32 s10, s10
	v_dual_mov_b32 v36, v32 :: v_dual_mov_b32 v35, v31
	s_wait_alu 0xfffe
	s_xor_b32 exec_lo, exec_lo, s10
	s_cbranch_execz .LBB139_54
; %bb.53:                               ;   in Loop: Header=BB139_2 Depth=1
	s_wait_dscnt 0x0
	v_lshlrev_b32_e32 v33, 3, v109
	ds_load_b64 v[35:36], v33 offset:8
	v_dual_mov_b32 v34, v30 :: v_dual_mov_b32 v33, v29
.LBB139_54:                             ;   in Loop: Header=BB139_2 Depth=1
	s_or_b32 exec_lo, exec_lo, s10
	v_add_nc_u32_e32 v37, 1, v108
	v_add_nc_u32_e32 v38, 1, v109
	s_wait_dscnt 0x0
	v_cmp_lt_i64_e64 s10, v[35:36], v[33:34]
                                        ; implicit-def: $vgpr39_vgpr40
	s_delay_alu instid0(VALU_DEP_3) | instskip(NEXT) | instid1(VALU_DEP_3)
	v_cndmask_b32_e64 v110, v37, v108, s9
	v_cndmask_b32_e64 v111, v109, v38, s9
	s_delay_alu instid0(VALU_DEP_2) | instskip(NEXT) | instid1(VALU_DEP_2)
	v_cmp_ge_i32_e64 s11, v110, v66
	v_cmp_lt_i32_e64 s12, v111, v67
	s_or_b32 s10, s11, s10
	s_wait_alu 0xfffe
	s_and_b32 s10, s12, s10
	s_wait_alu 0xfffe
	s_xor_b32 s11, s10, -1
	s_wait_alu 0xfffe
	s_and_saveexec_b32 s12, s11
	s_wait_alu 0xfffe
	s_xor_b32 s11, exec_lo, s12
; %bb.55:                               ;   in Loop: Header=BB139_2 Depth=1
	v_lshlrev_b32_e32 v37, 3, v110
	ds_load_b64 v[39:40], v37 offset:8
; %bb.56:                               ;   in Loop: Header=BB139_2 Depth=1
	s_wait_alu 0xfffe
	s_or_saveexec_b32 s11, s11
	v_dual_mov_b32 v44, v36 :: v_dual_mov_b32 v43, v35
	s_wait_alu 0xfffe
	s_xor_b32 exec_lo, exec_lo, s11
	s_cbranch_execz .LBB139_58
; %bb.57:                               ;   in Loop: Header=BB139_2 Depth=1
	s_wait_dscnt 0x0
	v_dual_mov_b32 v40, v34 :: v_dual_lshlrev_b32 v37, 3, v111
	v_mov_b32_e32 v39, v33
	ds_load_b64 v[43:44], v37 offset:8
.LBB139_58:                             ;   in Loop: Header=BB139_2 Depth=1
	s_or_b32 exec_lo, exec_lo, s11
	v_add_nc_u32_e32 v37, 1, v110
	v_add_nc_u32_e32 v38, 1, v111
	s_wait_dscnt 0x0
	v_cmp_lt_i64_e64 s11, v[43:44], v[39:40]
                                        ; implicit-def: $vgpr45_vgpr46
	s_delay_alu instid0(VALU_DEP_3) | instskip(NEXT) | instid1(VALU_DEP_3)
	v_cndmask_b32_e64 v112, v37, v110, s10
	v_cndmask_b32_e64 v113, v111, v38, s10
	s_delay_alu instid0(VALU_DEP_2) | instskip(NEXT) | instid1(VALU_DEP_2)
	v_cmp_ge_i32_e64 s12, v112, v66
	v_cmp_lt_i32_e64 s13, v113, v67
	s_or_b32 s11, s12, s11
	s_wait_alu 0xfffe
	s_and_b32 s11, s13, s11
	s_wait_alu 0xfffe
	s_xor_b32 s12, s11, -1
	s_wait_alu 0xfffe
	s_and_saveexec_b32 s13, s12
	s_wait_alu 0xfffe
	s_xor_b32 s12, exec_lo, s13
; %bb.59:                               ;   in Loop: Header=BB139_2 Depth=1
	v_lshlrev_b32_e32 v37, 3, v112
	ds_load_b64 v[45:46], v37 offset:8
; %bb.60:                               ;   in Loop: Header=BB139_2 Depth=1
	s_wait_alu 0xfffe
	s_or_saveexec_b32 s12, s12
	v_dual_mov_b32 v48, v44 :: v_dual_mov_b32 v47, v43
	s_wait_alu 0xfffe
	s_xor_b32 exec_lo, exec_lo, s12
	s_cbranch_execz .LBB139_62
; %bb.61:                               ;   in Loop: Header=BB139_2 Depth=1
	s_wait_dscnt 0x0
	v_dual_mov_b32 v46, v40 :: v_dual_lshlrev_b32 v37, 3, v113
	v_mov_b32_e32 v45, v39
	ds_load_b64 v[47:48], v37 offset:8
.LBB139_62:                             ;   in Loop: Header=BB139_2 Depth=1
	s_or_b32 exec_lo, exec_lo, s12
	v_add_nc_u32_e32 v37, 1, v112
	v_add_nc_u32_e32 v38, 1, v113
	s_wait_dscnt 0x0
	v_cmp_lt_i64_e64 s12, v[47:48], v[45:46]
	s_delay_alu instid0(VALU_DEP_3) | instskip(NEXT) | instid1(VALU_DEP_3)
	v_cndmask_b32_e64 v114, v37, v112, s11
	v_cndmask_b32_e64 v115, v113, v38, s11
                                        ; implicit-def: $vgpr37_vgpr38
	s_delay_alu instid0(VALU_DEP_2) | instskip(NEXT) | instid1(VALU_DEP_2)
	v_cmp_ge_i32_e64 s13, v114, v66
	v_cmp_lt_i32_e64 s14, v115, v67
	s_or_b32 s12, s13, s12
	s_wait_alu 0xfffe
	s_and_b32 s12, s14, s12
	s_wait_alu 0xfffe
	s_xor_b32 s13, s12, -1
	s_wait_alu 0xfffe
	s_and_saveexec_b32 s14, s13
	s_wait_alu 0xfffe
	s_xor_b32 s13, exec_lo, s14
; %bb.63:                               ;   in Loop: Header=BB139_2 Depth=1
	v_lshlrev_b32_e32 v37, 3, v114
	ds_load_b64 v[37:38], v37 offset:8
; %bb.64:                               ;   in Loop: Header=BB139_2 Depth=1
	s_wait_alu 0xfffe
	s_or_saveexec_b32 s13, s13
	v_dual_mov_b32 v41, v47 :: v_dual_mov_b32 v42, v48
	s_wait_alu 0xfffe
	s_xor_b32 exec_lo, exec_lo, s13
	s_cbranch_execz .LBB139_66
; %bb.65:                               ;   in Loop: Header=BB139_2 Depth=1
	s_wait_dscnt 0x0
	v_lshlrev_b32_e32 v37, 3, v115
	ds_load_b64 v[41:42], v37 offset:8
	v_dual_mov_b32 v37, v45 :: v_dual_mov_b32 v38, v46
.LBB139_66:                             ;   in Loop: Header=BB139_2 Depth=1
	s_or_b32 exec_lo, exec_lo, s13
	v_add_nc_u32_e32 v117, 1, v114
	v_add_nc_u32_e32 v116, 1, v115
	v_cndmask_b32_e64 v46, v46, v48, s12
	v_cndmask_b32_e64 v45, v45, v47, s12
	;; [unrolled: 1-line block ×7, first 2 shown]
	s_wait_dscnt 0x0
	v_cmp_lt_i64_e64 s9, v[41:42], v[37:38]
	v_cndmask_b32_e64 v34, v34, v36, s10
	v_cndmask_b32_e64 v33, v33, v35, s10
	;; [unrolled: 1-line block ×3, first 2 shown]
	v_cmp_ge_i32_e64 s10, v48, v66
	v_cndmask_b32_e64 v40, v40, v44, s11
	v_cndmask_b32_e64 v39, v39, v43, s11
	;; [unrolled: 1-line block ×3, first 2 shown]
	v_cmp_lt_i32_e64 s11, v47, v67
	v_cndmask_b32_e64 v44, v50, v49, s6
	v_cndmask_b32_e64 v36, v51, v52, s7
	s_or_b32 s9, s10, s9
	v_cndmask_b32_e64 v32, v106, v107, s8
	s_wait_alu 0xfffe
	s_and_b32 s9, s11, s9
	v_cndmask_b32_e64 v114, v114, v115, s12
	v_cndmask_b32_e64 v26, v26, v28, s8
	s_wait_alu 0xfffe
	v_cndmask_b32_e64 v28, v38, v42, s9
	v_cndmask_b32_e64 v38, v48, v47, s9
	s_wait_loadcnt 0x0
	s_barrier_signal -1
	s_barrier_wait -1
	global_inv scope:SCOPE_SE
	ds_store_2addr_b64 v53, v[13:14], v[15:16] offset1:1
	ds_store_2addr_b64 v53, v[9:10], v[11:12] offset0:2 offset1:3
	ds_store_2addr_b64 v53, v[5:6], v[7:8] offset0:4 offset1:5
	;; [unrolled: 1-line block ×3, first 2 shown]
	v_lshlrev_b32_e32 v1, 3, v44
	v_lshlrev_b32_e32 v2, 3, v36
	v_lshlrev_b32_e32 v3, 3, v32
	v_lshlrev_b32_e32 v4, 3, v31
	v_lshlrev_b32_e32 v5, 3, v35
	v_lshlrev_b32_e32 v7, 3, v43
	s_wait_loadcnt_dscnt 0x0
	s_barrier_signal -1
	s_barrier_wait -1
	global_inv scope:SCOPE_SE
	v_lshlrev_b32_e32 v31, 3, v114
	v_lshlrev_b32_e32 v32, 3, v38
	ds_load_b64 v[13:14], v1
	ds_load_b64 v[15:16], v2
	;; [unrolled: 1-line block ×8, first 2 shown]
	v_cndmask_b32_e64 v22, v22, v24, s7
	v_cndmask_b32_e64 v21, v21, v23, s7
	v_cndmask_b32_e64 v18, v18, v20, s6
	v_cndmask_b32_e64 v17, v17, v19, s6
	v_cndmask_b32_e64 v25, v25, v27, s8
	v_cndmask_b32_e64 v27, v37, v41, s9
	s_wait_loadcnt_dscnt 0x0
	s_barrier_signal -1
	s_barrier_wait -1
	global_inv scope:SCOPE_SE
	ds_store_2addr_b64 v53, v[17:18], v[21:22] offset1:1
	ds_store_2addr_b64 v53, v[25:26], v[29:30] offset0:2 offset1:3
	ds_store_2addr_b64 v53, v[33:34], v[39:40] offset0:4 offset1:5
	;; [unrolled: 1-line block ×3, first 2 shown]
	v_mov_b32_e32 v21, v101
	s_wait_loadcnt_dscnt 0x0
	s_barrier_signal -1
	s_barrier_wait -1
	global_inv scope:SCOPE_SE
	s_and_saveexec_b32 s7, s2
	s_cbranch_execz .LBB139_70
; %bb.67:                               ;   in Loop: Header=BB139_2 Depth=1
	v_mov_b32_e32 v21, v101
	v_mov_b32_e32 v17, v95
	s_mov_b32 s8, 0
.LBB139_68:                             ;   Parent Loop BB139_2 Depth=1
                                        ; =>  This Inner Loop Header: Depth=2
	s_delay_alu instid0(VALU_DEP_1) | instskip(NEXT) | instid1(VALU_DEP_1)
	v_sub_nc_u32_e32 v18, v17, v21
	v_lshrrev_b32_e32 v18, 1, v18
	s_delay_alu instid0(VALU_DEP_1) | instskip(NEXT) | instid1(VALU_DEP_1)
	v_add_nc_u32_e32 v20, v18, v21
	v_not_b32_e32 v18, v20
	v_lshl_add_u32 v19, v20, 3, v71
	s_delay_alu instid0(VALU_DEP_2)
	v_lshl_add_u32 v22, v18, 3, v89
	ds_load_b64 v[18:19], v19
	ds_load_b64 v[22:23], v22
	s_wait_dscnt 0x0
	v_cmp_lt_i64_e64 s6, v[22:23], v[18:19]
	v_add_nc_u32_e32 v18, 1, v20
	s_wait_alu 0xf1ff
	s_delay_alu instid0(VALU_DEP_2) | instskip(NEXT) | instid1(VALU_DEP_2)
	v_cndmask_b32_e64 v17, v17, v20, s6
	v_cndmask_b32_e64 v21, v18, v21, s6
	s_delay_alu instid0(VALU_DEP_1)
	v_cmp_ge_i32_e64 s6, v21, v17
	s_wait_alu 0xfffe
	s_or_b32 s8, s6, s8
	s_wait_alu 0xfffe
	s_and_not1_b32 exec_lo, exec_lo, s8
	s_cbranch_execnz .LBB139_68
; %bb.69:                               ;   in Loop: Header=BB139_2 Depth=1
	s_or_b32 exec_lo, exec_lo, s8
.LBB139_70:                             ;   in Loop: Header=BB139_2 Depth=1
	s_wait_alu 0xfffe
	s_or_b32 exec_lo, exec_lo, s7
	v_sub_nc_u32_e32 v49, v83, v21
	v_lshl_add_u32 v23, v21, 3, v71
	v_add_nc_u32_e32 v50, v21, v56
                                        ; implicit-def: $vgpr21_vgpr22
	s_delay_alu instid0(VALU_DEP_3) | instskip(SKIP_1) | instid1(VALU_DEP_3)
	v_lshlrev_b32_e32 v25, 3, v49
	v_cmp_gt_i32_e64 s8, v70, v49
	v_cmp_le_i32_e64 s7, v69, v50
	ds_load_b64 v[17:18], v23
	ds_load_b64 v[19:20], v25
	s_wait_dscnt 0x0
	v_cmp_lt_i64_e64 s6, v[19:20], v[17:18]
	s_or_b32 s6, s7, s6
	s_wait_alu 0xfffe
	s_and_b32 s6, s8, s6
	s_wait_alu 0xfffe
	s_xor_b32 s7, s6, -1
	s_wait_alu 0xfffe
	s_and_saveexec_b32 s8, s7
	s_wait_alu 0xfffe
	s_xor_b32 s7, exec_lo, s8
; %bb.71:                               ;   in Loop: Header=BB139_2 Depth=1
	ds_load_b64 v[21:22], v23 offset:8
                                        ; implicit-def: $vgpr25
; %bb.72:                               ;   in Loop: Header=BB139_2 Depth=1
	s_wait_alu 0xfffe
	s_or_saveexec_b32 s7, s7
	v_dual_mov_b32 v24, v20 :: v_dual_mov_b32 v23, v19
	s_wait_alu 0xfffe
	s_xor_b32 exec_lo, exec_lo, s7
	s_cbranch_execz .LBB139_74
; %bb.73:                               ;   in Loop: Header=BB139_2 Depth=1
	ds_load_b64 v[23:24], v25 offset:8
	s_wait_dscnt 0x1
	v_dual_mov_b32 v22, v18 :: v_dual_mov_b32 v21, v17
.LBB139_74:                             ;   in Loop: Header=BB139_2 Depth=1
	s_or_b32 exec_lo, exec_lo, s7
	v_add_nc_u32_e32 v25, 1, v50
	v_add_nc_u32_e32 v26, 1, v49
	s_wait_dscnt 0x0
	v_cmp_lt_i64_e64 s7, v[23:24], v[21:22]
	s_delay_alu instid0(VALU_DEP_3) | instskip(NEXT) | instid1(VALU_DEP_3)
	v_cndmask_b32_e64 v51, v25, v50, s6
	v_cndmask_b32_e64 v52, v49, v26, s6
                                        ; implicit-def: $vgpr25_vgpr26
	s_delay_alu instid0(VALU_DEP_2) | instskip(NEXT) | instid1(VALU_DEP_2)
	v_cmp_ge_i32_e64 s8, v51, v69
	v_cmp_lt_i32_e64 s9, v52, v70
	s_or_b32 s7, s8, s7
	s_wait_alu 0xfffe
	s_and_b32 s7, s9, s7
	s_wait_alu 0xfffe
	s_xor_b32 s8, s7, -1
	s_wait_alu 0xfffe
	s_and_saveexec_b32 s9, s8
	s_wait_alu 0xfffe
	s_xor_b32 s8, exec_lo, s9
; %bb.75:                               ;   in Loop: Header=BB139_2 Depth=1
	v_lshlrev_b32_e32 v25, 3, v51
	ds_load_b64 v[25:26], v25 offset:8
; %bb.76:                               ;   in Loop: Header=BB139_2 Depth=1
	s_wait_alu 0xfffe
	s_or_saveexec_b32 s8, s8
	v_dual_mov_b32 v28, v24 :: v_dual_mov_b32 v27, v23
	s_wait_alu 0xfffe
	s_xor_b32 exec_lo, exec_lo, s8
	s_cbranch_execz .LBB139_78
; %bb.77:                               ;   in Loop: Header=BB139_2 Depth=1
	s_wait_dscnt 0x0
	v_lshlrev_b32_e32 v25, 3, v52
	ds_load_b64 v[27:28], v25 offset:8
	v_dual_mov_b32 v26, v22 :: v_dual_mov_b32 v25, v21
.LBB139_78:                             ;   in Loop: Header=BB139_2 Depth=1
	s_or_b32 exec_lo, exec_lo, s8
	v_add_nc_u32_e32 v29, 1, v51
	v_add_nc_u32_e32 v30, 1, v52
	s_wait_dscnt 0x0
	v_cmp_lt_i64_e64 s8, v[27:28], v[25:26]
	s_delay_alu instid0(VALU_DEP_3) | instskip(NEXT) | instid1(VALU_DEP_3)
	v_cndmask_b32_e64 v106, v29, v51, s7
	v_cndmask_b32_e64 v107, v52, v30, s7
                                        ; implicit-def: $vgpr29_vgpr30
	s_delay_alu instid0(VALU_DEP_2) | instskip(NEXT) | instid1(VALU_DEP_2)
	v_cmp_ge_i32_e64 s9, v106, v69
	v_cmp_lt_i32_e64 s10, v107, v70
	s_or_b32 s8, s9, s8
	s_wait_alu 0xfffe
	s_and_b32 s8, s10, s8
	s_wait_alu 0xfffe
	s_xor_b32 s9, s8, -1
	s_wait_alu 0xfffe
	s_and_saveexec_b32 s10, s9
	s_wait_alu 0xfffe
	s_xor_b32 s9, exec_lo, s10
; %bb.79:                               ;   in Loop: Header=BB139_2 Depth=1
	v_lshlrev_b32_e32 v29, 3, v106
	ds_load_b64 v[29:30], v29 offset:8
; %bb.80:                               ;   in Loop: Header=BB139_2 Depth=1
	s_wait_alu 0xfffe
	s_or_saveexec_b32 s9, s9
	v_dual_mov_b32 v32, v28 :: v_dual_mov_b32 v31, v27
	s_wait_alu 0xfffe
	s_xor_b32 exec_lo, exec_lo, s9
	s_cbranch_execz .LBB139_82
; %bb.81:                               ;   in Loop: Header=BB139_2 Depth=1
	s_wait_dscnt 0x0
	v_lshlrev_b32_e32 v29, 3, v107
	ds_load_b64 v[31:32], v29 offset:8
	v_dual_mov_b32 v30, v26 :: v_dual_mov_b32 v29, v25
.LBB139_82:                             ;   in Loop: Header=BB139_2 Depth=1
	s_or_b32 exec_lo, exec_lo, s9
	v_add_nc_u32_e32 v33, 1, v106
	v_add_nc_u32_e32 v34, 1, v107
	s_wait_dscnt 0x0
	v_cmp_lt_i64_e64 s9, v[31:32], v[29:30]
	s_delay_alu instid0(VALU_DEP_3) | instskip(NEXT) | instid1(VALU_DEP_3)
	v_cndmask_b32_e64 v108, v33, v106, s8
	v_cndmask_b32_e64 v109, v107, v34, s8
                                        ; implicit-def: $vgpr33_vgpr34
	s_delay_alu instid0(VALU_DEP_2) | instskip(NEXT) | instid1(VALU_DEP_2)
	v_cmp_ge_i32_e64 s10, v108, v69
	v_cmp_lt_i32_e64 s11, v109, v70
	s_or_b32 s9, s10, s9
	s_wait_alu 0xfffe
	s_and_b32 s9, s11, s9
	s_wait_alu 0xfffe
	s_xor_b32 s10, s9, -1
	s_wait_alu 0xfffe
	s_and_saveexec_b32 s11, s10
	s_wait_alu 0xfffe
	s_xor_b32 s10, exec_lo, s11
; %bb.83:                               ;   in Loop: Header=BB139_2 Depth=1
	v_lshlrev_b32_e32 v33, 3, v108
	ds_load_b64 v[33:34], v33 offset:8
; %bb.84:                               ;   in Loop: Header=BB139_2 Depth=1
	s_wait_alu 0xfffe
	s_or_saveexec_b32 s10, s10
	v_dual_mov_b32 v36, v32 :: v_dual_mov_b32 v35, v31
	s_wait_alu 0xfffe
	s_xor_b32 exec_lo, exec_lo, s10
	s_cbranch_execz .LBB139_86
; %bb.85:                               ;   in Loop: Header=BB139_2 Depth=1
	s_wait_dscnt 0x0
	v_lshlrev_b32_e32 v33, 3, v109
	ds_load_b64 v[35:36], v33 offset:8
	v_dual_mov_b32 v34, v30 :: v_dual_mov_b32 v33, v29
.LBB139_86:                             ;   in Loop: Header=BB139_2 Depth=1
	s_or_b32 exec_lo, exec_lo, s10
	v_add_nc_u32_e32 v37, 1, v108
	v_add_nc_u32_e32 v38, 1, v109
	s_wait_dscnt 0x0
	v_cmp_lt_i64_e64 s10, v[35:36], v[33:34]
                                        ; implicit-def: $vgpr39_vgpr40
	s_delay_alu instid0(VALU_DEP_3) | instskip(NEXT) | instid1(VALU_DEP_3)
	v_cndmask_b32_e64 v110, v37, v108, s9
	v_cndmask_b32_e64 v111, v109, v38, s9
	s_delay_alu instid0(VALU_DEP_2) | instskip(NEXT) | instid1(VALU_DEP_2)
	v_cmp_ge_i32_e64 s11, v110, v69
	v_cmp_lt_i32_e64 s12, v111, v70
	s_or_b32 s10, s11, s10
	s_wait_alu 0xfffe
	s_and_b32 s10, s12, s10
	s_wait_alu 0xfffe
	s_xor_b32 s11, s10, -1
	s_wait_alu 0xfffe
	s_and_saveexec_b32 s12, s11
	s_wait_alu 0xfffe
	s_xor_b32 s11, exec_lo, s12
; %bb.87:                               ;   in Loop: Header=BB139_2 Depth=1
	v_lshlrev_b32_e32 v37, 3, v110
	ds_load_b64 v[39:40], v37 offset:8
; %bb.88:                               ;   in Loop: Header=BB139_2 Depth=1
	s_wait_alu 0xfffe
	s_or_saveexec_b32 s11, s11
	v_dual_mov_b32 v44, v36 :: v_dual_mov_b32 v43, v35
	s_wait_alu 0xfffe
	s_xor_b32 exec_lo, exec_lo, s11
	s_cbranch_execz .LBB139_90
; %bb.89:                               ;   in Loop: Header=BB139_2 Depth=1
	s_wait_dscnt 0x0
	v_dual_mov_b32 v40, v34 :: v_dual_lshlrev_b32 v37, 3, v111
	v_mov_b32_e32 v39, v33
	ds_load_b64 v[43:44], v37 offset:8
.LBB139_90:                             ;   in Loop: Header=BB139_2 Depth=1
	s_or_b32 exec_lo, exec_lo, s11
	v_add_nc_u32_e32 v37, 1, v110
	v_add_nc_u32_e32 v38, 1, v111
	s_wait_dscnt 0x0
	v_cmp_lt_i64_e64 s11, v[43:44], v[39:40]
                                        ; implicit-def: $vgpr45_vgpr46
	s_delay_alu instid0(VALU_DEP_3) | instskip(NEXT) | instid1(VALU_DEP_3)
	v_cndmask_b32_e64 v112, v37, v110, s10
	v_cndmask_b32_e64 v113, v111, v38, s10
	s_delay_alu instid0(VALU_DEP_2) | instskip(NEXT) | instid1(VALU_DEP_2)
	v_cmp_ge_i32_e64 s12, v112, v69
	v_cmp_lt_i32_e64 s13, v113, v70
	s_or_b32 s11, s12, s11
	s_wait_alu 0xfffe
	s_and_b32 s11, s13, s11
	s_wait_alu 0xfffe
	s_xor_b32 s12, s11, -1
	s_wait_alu 0xfffe
	s_and_saveexec_b32 s13, s12
	s_wait_alu 0xfffe
	s_xor_b32 s12, exec_lo, s13
; %bb.91:                               ;   in Loop: Header=BB139_2 Depth=1
	v_lshlrev_b32_e32 v37, 3, v112
	ds_load_b64 v[45:46], v37 offset:8
; %bb.92:                               ;   in Loop: Header=BB139_2 Depth=1
	s_wait_alu 0xfffe
	s_or_saveexec_b32 s12, s12
	v_dual_mov_b32 v48, v44 :: v_dual_mov_b32 v47, v43
	s_wait_alu 0xfffe
	s_xor_b32 exec_lo, exec_lo, s12
	s_cbranch_execz .LBB139_94
; %bb.93:                               ;   in Loop: Header=BB139_2 Depth=1
	s_wait_dscnt 0x0
	v_dual_mov_b32 v46, v40 :: v_dual_lshlrev_b32 v37, 3, v113
	v_mov_b32_e32 v45, v39
	ds_load_b64 v[47:48], v37 offset:8
.LBB139_94:                             ;   in Loop: Header=BB139_2 Depth=1
	s_or_b32 exec_lo, exec_lo, s12
	v_add_nc_u32_e32 v37, 1, v112
	v_add_nc_u32_e32 v38, 1, v113
	s_wait_dscnt 0x0
	v_cmp_lt_i64_e64 s12, v[47:48], v[45:46]
	s_delay_alu instid0(VALU_DEP_3) | instskip(NEXT) | instid1(VALU_DEP_3)
	v_cndmask_b32_e64 v114, v37, v112, s11
	v_cndmask_b32_e64 v115, v113, v38, s11
                                        ; implicit-def: $vgpr37_vgpr38
	s_delay_alu instid0(VALU_DEP_2) | instskip(NEXT) | instid1(VALU_DEP_2)
	v_cmp_ge_i32_e64 s13, v114, v69
	v_cmp_lt_i32_e64 s14, v115, v70
	s_or_b32 s12, s13, s12
	s_wait_alu 0xfffe
	s_and_b32 s12, s14, s12
	s_wait_alu 0xfffe
	s_xor_b32 s13, s12, -1
	s_wait_alu 0xfffe
	s_and_saveexec_b32 s14, s13
	s_wait_alu 0xfffe
	s_xor_b32 s13, exec_lo, s14
; %bb.95:                               ;   in Loop: Header=BB139_2 Depth=1
	v_lshlrev_b32_e32 v37, 3, v114
	ds_load_b64 v[37:38], v37 offset:8
; %bb.96:                               ;   in Loop: Header=BB139_2 Depth=1
	s_wait_alu 0xfffe
	s_or_saveexec_b32 s13, s13
	v_dual_mov_b32 v41, v47 :: v_dual_mov_b32 v42, v48
	s_wait_alu 0xfffe
	s_xor_b32 exec_lo, exec_lo, s13
	s_cbranch_execz .LBB139_98
; %bb.97:                               ;   in Loop: Header=BB139_2 Depth=1
	s_wait_dscnt 0x0
	v_lshlrev_b32_e32 v37, 3, v115
	ds_load_b64 v[41:42], v37 offset:8
	v_dual_mov_b32 v37, v45 :: v_dual_mov_b32 v38, v46
.LBB139_98:                             ;   in Loop: Header=BB139_2 Depth=1
	s_or_b32 exec_lo, exec_lo, s13
	v_add_nc_u32_e32 v117, 1, v114
	v_add_nc_u32_e32 v116, 1, v115
	v_cndmask_b32_e64 v46, v46, v48, s12
	v_cndmask_b32_e64 v45, v45, v47, s12
	;; [unrolled: 1-line block ×7, first 2 shown]
	s_wait_dscnt 0x0
	v_cmp_lt_i64_e64 s9, v[41:42], v[37:38]
	v_cndmask_b32_e64 v34, v34, v36, s10
	v_cndmask_b32_e64 v33, v33, v35, s10
	;; [unrolled: 1-line block ×3, first 2 shown]
	v_cmp_ge_i32_e64 s10, v48, v69
	v_cndmask_b32_e64 v40, v40, v44, s11
	v_cndmask_b32_e64 v39, v39, v43, s11
	;; [unrolled: 1-line block ×3, first 2 shown]
	v_cmp_lt_i32_e64 s11, v47, v70
	v_cndmask_b32_e64 v44, v50, v49, s6
	v_cndmask_b32_e64 v36, v51, v52, s7
	s_or_b32 s9, s10, s9
	v_cndmask_b32_e64 v32, v106, v107, s8
	s_wait_alu 0xfffe
	s_and_b32 s9, s11, s9
	v_cndmask_b32_e64 v114, v114, v115, s12
	v_cndmask_b32_e64 v26, v26, v28, s8
	s_wait_alu 0xfffe
	v_cndmask_b32_e64 v28, v38, v42, s9
	v_cndmask_b32_e64 v38, v48, v47, s9
	s_wait_loadcnt 0x0
	s_barrier_signal -1
	s_barrier_wait -1
	global_inv scope:SCOPE_SE
	ds_store_2addr_b64 v53, v[13:14], v[15:16] offset1:1
	ds_store_2addr_b64 v53, v[9:10], v[11:12] offset0:2 offset1:3
	ds_store_2addr_b64 v53, v[5:6], v[7:8] offset0:4 offset1:5
	;; [unrolled: 1-line block ×3, first 2 shown]
	v_lshlrev_b32_e32 v1, 3, v44
	v_lshlrev_b32_e32 v2, 3, v36
	;; [unrolled: 1-line block ×6, first 2 shown]
	s_wait_loadcnt_dscnt 0x0
	s_barrier_signal -1
	s_barrier_wait -1
	global_inv scope:SCOPE_SE
	v_lshlrev_b32_e32 v31, 3, v114
	v_lshlrev_b32_e32 v32, 3, v38
	ds_load_b64 v[13:14], v1
	ds_load_b64 v[15:16], v2
	;; [unrolled: 1-line block ×8, first 2 shown]
	v_cndmask_b32_e64 v22, v22, v24, s7
	v_cndmask_b32_e64 v21, v21, v23, s7
	;; [unrolled: 1-line block ×6, first 2 shown]
	s_wait_loadcnt_dscnt 0x0
	s_barrier_signal -1
	s_barrier_wait -1
	global_inv scope:SCOPE_SE
	ds_store_2addr_b64 v53, v[17:18], v[21:22] offset1:1
	ds_store_2addr_b64 v53, v[25:26], v[29:30] offset0:2 offset1:3
	ds_store_2addr_b64 v53, v[33:34], v[39:40] offset0:4 offset1:5
	;; [unrolled: 1-line block ×3, first 2 shown]
	v_mov_b32_e32 v21, v102
	s_wait_loadcnt_dscnt 0x0
	s_barrier_signal -1
	s_barrier_wait -1
	global_inv scope:SCOPE_SE
	s_and_saveexec_b32 s7, s3
	s_cbranch_execz .LBB139_102
; %bb.99:                               ;   in Loop: Header=BB139_2 Depth=1
	v_mov_b32_e32 v21, v102
	v_mov_b32_e32 v17, v96
	s_mov_b32 s8, 0
.LBB139_100:                            ;   Parent Loop BB139_2 Depth=1
                                        ; =>  This Inner Loop Header: Depth=2
	s_delay_alu instid0(VALU_DEP_1) | instskip(NEXT) | instid1(VALU_DEP_1)
	v_sub_nc_u32_e32 v18, v17, v21
	v_lshrrev_b32_e32 v18, 1, v18
	s_delay_alu instid0(VALU_DEP_1) | instskip(NEXT) | instid1(VALU_DEP_1)
	v_add_nc_u32_e32 v20, v18, v21
	v_not_b32_e32 v18, v20
	v_lshl_add_u32 v19, v20, 3, v74
	s_delay_alu instid0(VALU_DEP_2)
	v_lshl_add_u32 v22, v18, 3, v90
	ds_load_b64 v[18:19], v19
	ds_load_b64 v[22:23], v22
	s_wait_dscnt 0x0
	v_cmp_lt_i64_e64 s6, v[22:23], v[18:19]
	v_add_nc_u32_e32 v18, 1, v20
	s_wait_alu 0xf1ff
	s_delay_alu instid0(VALU_DEP_2) | instskip(NEXT) | instid1(VALU_DEP_2)
	v_cndmask_b32_e64 v17, v17, v20, s6
	v_cndmask_b32_e64 v21, v18, v21, s6
	s_delay_alu instid0(VALU_DEP_1)
	v_cmp_ge_i32_e64 s6, v21, v17
	s_wait_alu 0xfffe
	s_or_b32 s8, s6, s8
	s_wait_alu 0xfffe
	s_and_not1_b32 exec_lo, exec_lo, s8
	s_cbranch_execnz .LBB139_100
; %bb.101:                              ;   in Loop: Header=BB139_2 Depth=1
	s_or_b32 exec_lo, exec_lo, s8
.LBB139_102:                            ;   in Loop: Header=BB139_2 Depth=1
	s_wait_alu 0xfffe
	s_or_b32 exec_lo, exec_lo, s7
	v_sub_nc_u32_e32 v49, v84, v21
	v_lshl_add_u32 v23, v21, 3, v74
	v_add_nc_u32_e32 v50, v21, v57
                                        ; implicit-def: $vgpr21_vgpr22
	s_delay_alu instid0(VALU_DEP_3) | instskip(SKIP_1) | instid1(VALU_DEP_3)
	v_lshlrev_b32_e32 v25, 3, v49
	v_cmp_gt_i32_e64 s8, v73, v49
	v_cmp_le_i32_e64 s7, v72, v50
	ds_load_b64 v[17:18], v23
	ds_load_b64 v[19:20], v25
	s_wait_dscnt 0x0
	v_cmp_lt_i64_e64 s6, v[19:20], v[17:18]
	s_or_b32 s6, s7, s6
	s_wait_alu 0xfffe
	s_and_b32 s6, s8, s6
	s_wait_alu 0xfffe
	s_xor_b32 s7, s6, -1
	s_wait_alu 0xfffe
	s_and_saveexec_b32 s8, s7
	s_wait_alu 0xfffe
	s_xor_b32 s7, exec_lo, s8
; %bb.103:                              ;   in Loop: Header=BB139_2 Depth=1
	ds_load_b64 v[21:22], v23 offset:8
                                        ; implicit-def: $vgpr25
; %bb.104:                              ;   in Loop: Header=BB139_2 Depth=1
	s_wait_alu 0xfffe
	s_or_saveexec_b32 s7, s7
	v_dual_mov_b32 v24, v20 :: v_dual_mov_b32 v23, v19
	s_wait_alu 0xfffe
	s_xor_b32 exec_lo, exec_lo, s7
	s_cbranch_execz .LBB139_106
; %bb.105:                              ;   in Loop: Header=BB139_2 Depth=1
	ds_load_b64 v[23:24], v25 offset:8
	s_wait_dscnt 0x1
	v_dual_mov_b32 v22, v18 :: v_dual_mov_b32 v21, v17
.LBB139_106:                            ;   in Loop: Header=BB139_2 Depth=1
	s_or_b32 exec_lo, exec_lo, s7
	v_add_nc_u32_e32 v25, 1, v50
	v_add_nc_u32_e32 v26, 1, v49
	s_wait_dscnt 0x0
	v_cmp_lt_i64_e64 s7, v[23:24], v[21:22]
	s_delay_alu instid0(VALU_DEP_3) | instskip(NEXT) | instid1(VALU_DEP_3)
	v_cndmask_b32_e64 v51, v25, v50, s6
	v_cndmask_b32_e64 v52, v49, v26, s6
                                        ; implicit-def: $vgpr25_vgpr26
	s_delay_alu instid0(VALU_DEP_2) | instskip(NEXT) | instid1(VALU_DEP_2)
	v_cmp_ge_i32_e64 s8, v51, v72
	v_cmp_lt_i32_e64 s9, v52, v73
	s_or_b32 s7, s8, s7
	s_wait_alu 0xfffe
	s_and_b32 s7, s9, s7
	s_wait_alu 0xfffe
	s_xor_b32 s8, s7, -1
	s_wait_alu 0xfffe
	s_and_saveexec_b32 s9, s8
	s_wait_alu 0xfffe
	s_xor_b32 s8, exec_lo, s9
; %bb.107:                              ;   in Loop: Header=BB139_2 Depth=1
	v_lshlrev_b32_e32 v25, 3, v51
	ds_load_b64 v[25:26], v25 offset:8
; %bb.108:                              ;   in Loop: Header=BB139_2 Depth=1
	s_wait_alu 0xfffe
	s_or_saveexec_b32 s8, s8
	v_dual_mov_b32 v28, v24 :: v_dual_mov_b32 v27, v23
	s_wait_alu 0xfffe
	s_xor_b32 exec_lo, exec_lo, s8
	s_cbranch_execz .LBB139_110
; %bb.109:                              ;   in Loop: Header=BB139_2 Depth=1
	s_wait_dscnt 0x0
	v_lshlrev_b32_e32 v25, 3, v52
	ds_load_b64 v[27:28], v25 offset:8
	v_dual_mov_b32 v26, v22 :: v_dual_mov_b32 v25, v21
.LBB139_110:                            ;   in Loop: Header=BB139_2 Depth=1
	s_or_b32 exec_lo, exec_lo, s8
	v_add_nc_u32_e32 v29, 1, v51
	v_add_nc_u32_e32 v30, 1, v52
	s_wait_dscnt 0x0
	v_cmp_lt_i64_e64 s8, v[27:28], v[25:26]
	s_delay_alu instid0(VALU_DEP_3) | instskip(NEXT) | instid1(VALU_DEP_3)
	v_cndmask_b32_e64 v106, v29, v51, s7
	v_cndmask_b32_e64 v107, v52, v30, s7
                                        ; implicit-def: $vgpr29_vgpr30
	s_delay_alu instid0(VALU_DEP_2) | instskip(NEXT) | instid1(VALU_DEP_2)
	v_cmp_ge_i32_e64 s9, v106, v72
	v_cmp_lt_i32_e64 s10, v107, v73
	s_or_b32 s8, s9, s8
	s_wait_alu 0xfffe
	s_and_b32 s8, s10, s8
	s_wait_alu 0xfffe
	s_xor_b32 s9, s8, -1
	s_wait_alu 0xfffe
	s_and_saveexec_b32 s10, s9
	s_wait_alu 0xfffe
	s_xor_b32 s9, exec_lo, s10
; %bb.111:                              ;   in Loop: Header=BB139_2 Depth=1
	v_lshlrev_b32_e32 v29, 3, v106
	ds_load_b64 v[29:30], v29 offset:8
; %bb.112:                              ;   in Loop: Header=BB139_2 Depth=1
	s_wait_alu 0xfffe
	s_or_saveexec_b32 s9, s9
	v_dual_mov_b32 v32, v28 :: v_dual_mov_b32 v31, v27
	s_wait_alu 0xfffe
	s_xor_b32 exec_lo, exec_lo, s9
	s_cbranch_execz .LBB139_114
; %bb.113:                              ;   in Loop: Header=BB139_2 Depth=1
	s_wait_dscnt 0x0
	v_lshlrev_b32_e32 v29, 3, v107
	ds_load_b64 v[31:32], v29 offset:8
	v_dual_mov_b32 v30, v26 :: v_dual_mov_b32 v29, v25
.LBB139_114:                            ;   in Loop: Header=BB139_2 Depth=1
	s_or_b32 exec_lo, exec_lo, s9
	v_add_nc_u32_e32 v33, 1, v106
	v_add_nc_u32_e32 v34, 1, v107
	s_wait_dscnt 0x0
	v_cmp_lt_i64_e64 s9, v[31:32], v[29:30]
	s_delay_alu instid0(VALU_DEP_3) | instskip(NEXT) | instid1(VALU_DEP_3)
	v_cndmask_b32_e64 v108, v33, v106, s8
	v_cndmask_b32_e64 v109, v107, v34, s8
                                        ; implicit-def: $vgpr33_vgpr34
	s_delay_alu instid0(VALU_DEP_2) | instskip(NEXT) | instid1(VALU_DEP_2)
	v_cmp_ge_i32_e64 s10, v108, v72
	v_cmp_lt_i32_e64 s11, v109, v73
	s_or_b32 s9, s10, s9
	s_wait_alu 0xfffe
	s_and_b32 s9, s11, s9
	s_wait_alu 0xfffe
	s_xor_b32 s10, s9, -1
	s_wait_alu 0xfffe
	s_and_saveexec_b32 s11, s10
	s_wait_alu 0xfffe
	s_xor_b32 s10, exec_lo, s11
; %bb.115:                              ;   in Loop: Header=BB139_2 Depth=1
	v_lshlrev_b32_e32 v33, 3, v108
	ds_load_b64 v[33:34], v33 offset:8
; %bb.116:                              ;   in Loop: Header=BB139_2 Depth=1
	s_wait_alu 0xfffe
	s_or_saveexec_b32 s10, s10
	v_dual_mov_b32 v36, v32 :: v_dual_mov_b32 v35, v31
	s_wait_alu 0xfffe
	s_xor_b32 exec_lo, exec_lo, s10
	s_cbranch_execz .LBB139_118
; %bb.117:                              ;   in Loop: Header=BB139_2 Depth=1
	s_wait_dscnt 0x0
	v_lshlrev_b32_e32 v33, 3, v109
	ds_load_b64 v[35:36], v33 offset:8
	v_dual_mov_b32 v34, v30 :: v_dual_mov_b32 v33, v29
.LBB139_118:                            ;   in Loop: Header=BB139_2 Depth=1
	s_or_b32 exec_lo, exec_lo, s10
	v_add_nc_u32_e32 v37, 1, v108
	v_add_nc_u32_e32 v38, 1, v109
	s_wait_dscnt 0x0
	v_cmp_lt_i64_e64 s10, v[35:36], v[33:34]
                                        ; implicit-def: $vgpr39_vgpr40
	s_delay_alu instid0(VALU_DEP_3) | instskip(NEXT) | instid1(VALU_DEP_3)
	v_cndmask_b32_e64 v110, v37, v108, s9
	v_cndmask_b32_e64 v111, v109, v38, s9
	s_delay_alu instid0(VALU_DEP_2) | instskip(NEXT) | instid1(VALU_DEP_2)
	v_cmp_ge_i32_e64 s11, v110, v72
	v_cmp_lt_i32_e64 s12, v111, v73
	s_or_b32 s10, s11, s10
	s_wait_alu 0xfffe
	s_and_b32 s10, s12, s10
	s_wait_alu 0xfffe
	s_xor_b32 s11, s10, -1
	s_wait_alu 0xfffe
	s_and_saveexec_b32 s12, s11
	s_wait_alu 0xfffe
	s_xor_b32 s11, exec_lo, s12
; %bb.119:                              ;   in Loop: Header=BB139_2 Depth=1
	v_lshlrev_b32_e32 v37, 3, v110
	ds_load_b64 v[39:40], v37 offset:8
; %bb.120:                              ;   in Loop: Header=BB139_2 Depth=1
	s_wait_alu 0xfffe
	s_or_saveexec_b32 s11, s11
	v_dual_mov_b32 v44, v36 :: v_dual_mov_b32 v43, v35
	s_wait_alu 0xfffe
	s_xor_b32 exec_lo, exec_lo, s11
	s_cbranch_execz .LBB139_122
; %bb.121:                              ;   in Loop: Header=BB139_2 Depth=1
	s_wait_dscnt 0x0
	v_dual_mov_b32 v40, v34 :: v_dual_lshlrev_b32 v37, 3, v111
	v_mov_b32_e32 v39, v33
	ds_load_b64 v[43:44], v37 offset:8
.LBB139_122:                            ;   in Loop: Header=BB139_2 Depth=1
	s_or_b32 exec_lo, exec_lo, s11
	v_add_nc_u32_e32 v37, 1, v110
	v_add_nc_u32_e32 v38, 1, v111
	s_wait_dscnt 0x0
	v_cmp_lt_i64_e64 s11, v[43:44], v[39:40]
                                        ; implicit-def: $vgpr45_vgpr46
	s_delay_alu instid0(VALU_DEP_3) | instskip(NEXT) | instid1(VALU_DEP_3)
	v_cndmask_b32_e64 v112, v37, v110, s10
	v_cndmask_b32_e64 v113, v111, v38, s10
	s_delay_alu instid0(VALU_DEP_2) | instskip(NEXT) | instid1(VALU_DEP_2)
	v_cmp_ge_i32_e64 s12, v112, v72
	v_cmp_lt_i32_e64 s13, v113, v73
	s_or_b32 s11, s12, s11
	s_wait_alu 0xfffe
	s_and_b32 s11, s13, s11
	s_wait_alu 0xfffe
	s_xor_b32 s12, s11, -1
	s_wait_alu 0xfffe
	s_and_saveexec_b32 s13, s12
	s_wait_alu 0xfffe
	s_xor_b32 s12, exec_lo, s13
; %bb.123:                              ;   in Loop: Header=BB139_2 Depth=1
	v_lshlrev_b32_e32 v37, 3, v112
	ds_load_b64 v[45:46], v37 offset:8
; %bb.124:                              ;   in Loop: Header=BB139_2 Depth=1
	s_wait_alu 0xfffe
	s_or_saveexec_b32 s12, s12
	v_dual_mov_b32 v48, v44 :: v_dual_mov_b32 v47, v43
	s_wait_alu 0xfffe
	s_xor_b32 exec_lo, exec_lo, s12
	s_cbranch_execz .LBB139_126
; %bb.125:                              ;   in Loop: Header=BB139_2 Depth=1
	s_wait_dscnt 0x0
	v_dual_mov_b32 v46, v40 :: v_dual_lshlrev_b32 v37, 3, v113
	v_mov_b32_e32 v45, v39
	ds_load_b64 v[47:48], v37 offset:8
.LBB139_126:                            ;   in Loop: Header=BB139_2 Depth=1
	s_or_b32 exec_lo, exec_lo, s12
	v_add_nc_u32_e32 v37, 1, v112
	v_add_nc_u32_e32 v38, 1, v113
	s_wait_dscnt 0x0
	v_cmp_lt_i64_e64 s12, v[47:48], v[45:46]
	s_delay_alu instid0(VALU_DEP_3) | instskip(NEXT) | instid1(VALU_DEP_3)
	v_cndmask_b32_e64 v114, v37, v112, s11
	v_cndmask_b32_e64 v115, v113, v38, s11
                                        ; implicit-def: $vgpr37_vgpr38
	s_delay_alu instid0(VALU_DEP_2) | instskip(NEXT) | instid1(VALU_DEP_2)
	v_cmp_ge_i32_e64 s13, v114, v72
	v_cmp_lt_i32_e64 s14, v115, v73
	s_or_b32 s12, s13, s12
	s_wait_alu 0xfffe
	s_and_b32 s12, s14, s12
	s_wait_alu 0xfffe
	s_xor_b32 s13, s12, -1
	s_wait_alu 0xfffe
	s_and_saveexec_b32 s14, s13
	s_wait_alu 0xfffe
	s_xor_b32 s13, exec_lo, s14
; %bb.127:                              ;   in Loop: Header=BB139_2 Depth=1
	v_lshlrev_b32_e32 v37, 3, v114
	ds_load_b64 v[37:38], v37 offset:8
; %bb.128:                              ;   in Loop: Header=BB139_2 Depth=1
	s_wait_alu 0xfffe
	s_or_saveexec_b32 s13, s13
	v_dual_mov_b32 v41, v47 :: v_dual_mov_b32 v42, v48
	s_wait_alu 0xfffe
	s_xor_b32 exec_lo, exec_lo, s13
	s_cbranch_execz .LBB139_130
; %bb.129:                              ;   in Loop: Header=BB139_2 Depth=1
	s_wait_dscnt 0x0
	v_lshlrev_b32_e32 v37, 3, v115
	ds_load_b64 v[41:42], v37 offset:8
	v_dual_mov_b32 v37, v45 :: v_dual_mov_b32 v38, v46
.LBB139_130:                            ;   in Loop: Header=BB139_2 Depth=1
	s_or_b32 exec_lo, exec_lo, s13
	v_add_nc_u32_e32 v117, 1, v114
	v_add_nc_u32_e32 v116, 1, v115
	v_cndmask_b32_e64 v46, v46, v48, s12
	v_cndmask_b32_e64 v45, v45, v47, s12
	;; [unrolled: 1-line block ×7, first 2 shown]
	s_wait_dscnt 0x0
	v_cmp_lt_i64_e64 s9, v[41:42], v[37:38]
	v_cndmask_b32_e64 v34, v34, v36, s10
	v_cndmask_b32_e64 v33, v33, v35, s10
	v_cndmask_b32_e64 v35, v110, v111, s10
	v_cmp_ge_i32_e64 s10, v48, v72
	v_cndmask_b32_e64 v40, v40, v44, s11
	v_cndmask_b32_e64 v39, v39, v43, s11
	;; [unrolled: 1-line block ×3, first 2 shown]
	v_cmp_lt_i32_e64 s11, v47, v73
	v_cndmask_b32_e64 v44, v50, v49, s6
	v_cndmask_b32_e64 v36, v51, v52, s7
	s_or_b32 s9, s10, s9
	v_cndmask_b32_e64 v32, v106, v107, s8
	s_wait_alu 0xfffe
	s_and_b32 s9, s11, s9
	v_cndmask_b32_e64 v114, v114, v115, s12
	v_cndmask_b32_e64 v26, v26, v28, s8
	s_wait_alu 0xfffe
	v_cndmask_b32_e64 v28, v38, v42, s9
	v_cndmask_b32_e64 v38, v48, v47, s9
	s_wait_loadcnt 0x0
	s_barrier_signal -1
	s_barrier_wait -1
	global_inv scope:SCOPE_SE
	ds_store_2addr_b64 v53, v[13:14], v[15:16] offset1:1
	ds_store_2addr_b64 v53, v[9:10], v[11:12] offset0:2 offset1:3
	ds_store_2addr_b64 v53, v[5:6], v[7:8] offset0:4 offset1:5
	;; [unrolled: 1-line block ×3, first 2 shown]
	v_lshlrev_b32_e32 v1, 3, v44
	v_lshlrev_b32_e32 v2, 3, v36
	;; [unrolled: 1-line block ×6, first 2 shown]
	s_wait_loadcnt_dscnt 0x0
	s_barrier_signal -1
	s_barrier_wait -1
	global_inv scope:SCOPE_SE
	v_lshlrev_b32_e32 v31, 3, v114
	v_lshlrev_b32_e32 v32, 3, v38
	ds_load_b64 v[13:14], v1
	ds_load_b64 v[15:16], v2
	;; [unrolled: 1-line block ×8, first 2 shown]
	v_cndmask_b32_e64 v22, v22, v24, s7
	v_cndmask_b32_e64 v21, v21, v23, s7
	;; [unrolled: 1-line block ×6, first 2 shown]
	s_wait_loadcnt_dscnt 0x0
	s_barrier_signal -1
	s_barrier_wait -1
	global_inv scope:SCOPE_SE
	ds_store_2addr_b64 v53, v[17:18], v[21:22] offset1:1
	ds_store_2addr_b64 v53, v[25:26], v[29:30] offset0:2 offset1:3
	ds_store_2addr_b64 v53, v[33:34], v[39:40] offset0:4 offset1:5
	;; [unrolled: 1-line block ×3, first 2 shown]
	v_mov_b32_e32 v21, v103
	s_wait_loadcnt_dscnt 0x0
	s_barrier_signal -1
	s_barrier_wait -1
	global_inv scope:SCOPE_SE
	s_and_saveexec_b32 s7, s4
	s_cbranch_execz .LBB139_134
; %bb.131:                              ;   in Loop: Header=BB139_2 Depth=1
	v_mov_b32_e32 v21, v103
	v_mov_b32_e32 v17, v97
	s_mov_b32 s8, 0
.LBB139_132:                            ;   Parent Loop BB139_2 Depth=1
                                        ; =>  This Inner Loop Header: Depth=2
	s_delay_alu instid0(VALU_DEP_1) | instskip(NEXT) | instid1(VALU_DEP_1)
	v_sub_nc_u32_e32 v18, v17, v21
	v_lshrrev_b32_e32 v18, 1, v18
	s_delay_alu instid0(VALU_DEP_1) | instskip(NEXT) | instid1(VALU_DEP_1)
	v_add_nc_u32_e32 v20, v18, v21
	v_not_b32_e32 v18, v20
	v_lshl_add_u32 v19, v20, 3, v77
	s_delay_alu instid0(VALU_DEP_2)
	v_lshl_add_u32 v22, v18, 3, v91
	ds_load_b64 v[18:19], v19
	ds_load_b64 v[22:23], v22
	s_wait_dscnt 0x0
	v_cmp_lt_i64_e64 s6, v[22:23], v[18:19]
	v_add_nc_u32_e32 v18, 1, v20
	s_wait_alu 0xf1ff
	s_delay_alu instid0(VALU_DEP_2) | instskip(NEXT) | instid1(VALU_DEP_2)
	v_cndmask_b32_e64 v17, v17, v20, s6
	v_cndmask_b32_e64 v21, v18, v21, s6
	s_delay_alu instid0(VALU_DEP_1)
	v_cmp_ge_i32_e64 s6, v21, v17
	s_wait_alu 0xfffe
	s_or_b32 s8, s6, s8
	s_wait_alu 0xfffe
	s_and_not1_b32 exec_lo, exec_lo, s8
	s_cbranch_execnz .LBB139_132
; %bb.133:                              ;   in Loop: Header=BB139_2 Depth=1
	s_or_b32 exec_lo, exec_lo, s8
.LBB139_134:                            ;   in Loop: Header=BB139_2 Depth=1
	s_wait_alu 0xfffe
	s_or_b32 exec_lo, exec_lo, s7
	v_sub_nc_u32_e32 v49, v85, v21
	v_lshl_add_u32 v23, v21, 3, v77
	v_add_nc_u32_e32 v50, v21, v58
                                        ; implicit-def: $vgpr21_vgpr22
	s_delay_alu instid0(VALU_DEP_3) | instskip(SKIP_1) | instid1(VALU_DEP_3)
	v_lshlrev_b32_e32 v25, 3, v49
	v_cmp_gt_i32_e64 s8, v76, v49
	v_cmp_le_i32_e64 s7, v75, v50
	ds_load_b64 v[17:18], v23
	ds_load_b64 v[19:20], v25
	s_wait_dscnt 0x0
	v_cmp_lt_i64_e64 s6, v[19:20], v[17:18]
	s_or_b32 s6, s7, s6
	s_wait_alu 0xfffe
	s_and_b32 s6, s8, s6
	s_wait_alu 0xfffe
	s_xor_b32 s7, s6, -1
	s_wait_alu 0xfffe
	s_and_saveexec_b32 s8, s7
	s_wait_alu 0xfffe
	s_xor_b32 s7, exec_lo, s8
; %bb.135:                              ;   in Loop: Header=BB139_2 Depth=1
	ds_load_b64 v[21:22], v23 offset:8
                                        ; implicit-def: $vgpr25
; %bb.136:                              ;   in Loop: Header=BB139_2 Depth=1
	s_wait_alu 0xfffe
	s_or_saveexec_b32 s7, s7
	v_dual_mov_b32 v24, v20 :: v_dual_mov_b32 v23, v19
	s_wait_alu 0xfffe
	s_xor_b32 exec_lo, exec_lo, s7
	s_cbranch_execz .LBB139_138
; %bb.137:                              ;   in Loop: Header=BB139_2 Depth=1
	ds_load_b64 v[23:24], v25 offset:8
	s_wait_dscnt 0x1
	v_dual_mov_b32 v22, v18 :: v_dual_mov_b32 v21, v17
.LBB139_138:                            ;   in Loop: Header=BB139_2 Depth=1
	s_or_b32 exec_lo, exec_lo, s7
	v_add_nc_u32_e32 v25, 1, v50
	v_add_nc_u32_e32 v26, 1, v49
	s_wait_dscnt 0x0
	v_cmp_lt_i64_e64 s7, v[23:24], v[21:22]
	s_delay_alu instid0(VALU_DEP_3) | instskip(NEXT) | instid1(VALU_DEP_3)
	v_cndmask_b32_e64 v51, v25, v50, s6
	v_cndmask_b32_e64 v52, v49, v26, s6
                                        ; implicit-def: $vgpr25_vgpr26
	s_delay_alu instid0(VALU_DEP_2) | instskip(NEXT) | instid1(VALU_DEP_2)
	v_cmp_ge_i32_e64 s8, v51, v75
	v_cmp_lt_i32_e64 s9, v52, v76
	s_or_b32 s7, s8, s7
	s_wait_alu 0xfffe
	s_and_b32 s7, s9, s7
	s_wait_alu 0xfffe
	s_xor_b32 s8, s7, -1
	s_wait_alu 0xfffe
	s_and_saveexec_b32 s9, s8
	s_wait_alu 0xfffe
	s_xor_b32 s8, exec_lo, s9
; %bb.139:                              ;   in Loop: Header=BB139_2 Depth=1
	v_lshlrev_b32_e32 v25, 3, v51
	ds_load_b64 v[25:26], v25 offset:8
; %bb.140:                              ;   in Loop: Header=BB139_2 Depth=1
	s_wait_alu 0xfffe
	s_or_saveexec_b32 s8, s8
	v_dual_mov_b32 v28, v24 :: v_dual_mov_b32 v27, v23
	s_wait_alu 0xfffe
	s_xor_b32 exec_lo, exec_lo, s8
	s_cbranch_execz .LBB139_142
; %bb.141:                              ;   in Loop: Header=BB139_2 Depth=1
	s_wait_dscnt 0x0
	v_lshlrev_b32_e32 v25, 3, v52
	ds_load_b64 v[27:28], v25 offset:8
	v_dual_mov_b32 v26, v22 :: v_dual_mov_b32 v25, v21
.LBB139_142:                            ;   in Loop: Header=BB139_2 Depth=1
	s_or_b32 exec_lo, exec_lo, s8
	v_add_nc_u32_e32 v29, 1, v51
	v_add_nc_u32_e32 v30, 1, v52
	s_wait_dscnt 0x0
	v_cmp_lt_i64_e64 s8, v[27:28], v[25:26]
	s_delay_alu instid0(VALU_DEP_3) | instskip(NEXT) | instid1(VALU_DEP_3)
	v_cndmask_b32_e64 v106, v29, v51, s7
	v_cndmask_b32_e64 v107, v52, v30, s7
                                        ; implicit-def: $vgpr29_vgpr30
	s_delay_alu instid0(VALU_DEP_2) | instskip(NEXT) | instid1(VALU_DEP_2)
	v_cmp_ge_i32_e64 s9, v106, v75
	v_cmp_lt_i32_e64 s10, v107, v76
	s_or_b32 s8, s9, s8
	s_wait_alu 0xfffe
	s_and_b32 s8, s10, s8
	s_wait_alu 0xfffe
	s_xor_b32 s9, s8, -1
	s_wait_alu 0xfffe
	s_and_saveexec_b32 s10, s9
	s_wait_alu 0xfffe
	s_xor_b32 s9, exec_lo, s10
; %bb.143:                              ;   in Loop: Header=BB139_2 Depth=1
	v_lshlrev_b32_e32 v29, 3, v106
	ds_load_b64 v[29:30], v29 offset:8
; %bb.144:                              ;   in Loop: Header=BB139_2 Depth=1
	s_wait_alu 0xfffe
	s_or_saveexec_b32 s9, s9
	v_dual_mov_b32 v32, v28 :: v_dual_mov_b32 v31, v27
	s_wait_alu 0xfffe
	s_xor_b32 exec_lo, exec_lo, s9
	s_cbranch_execz .LBB139_146
; %bb.145:                              ;   in Loop: Header=BB139_2 Depth=1
	s_wait_dscnt 0x0
	v_lshlrev_b32_e32 v29, 3, v107
	ds_load_b64 v[31:32], v29 offset:8
	v_dual_mov_b32 v30, v26 :: v_dual_mov_b32 v29, v25
.LBB139_146:                            ;   in Loop: Header=BB139_2 Depth=1
	s_or_b32 exec_lo, exec_lo, s9
	v_add_nc_u32_e32 v33, 1, v106
	v_add_nc_u32_e32 v34, 1, v107
	s_wait_dscnt 0x0
	v_cmp_lt_i64_e64 s9, v[31:32], v[29:30]
	s_delay_alu instid0(VALU_DEP_3) | instskip(NEXT) | instid1(VALU_DEP_3)
	v_cndmask_b32_e64 v108, v33, v106, s8
	v_cndmask_b32_e64 v109, v107, v34, s8
                                        ; implicit-def: $vgpr33_vgpr34
	s_delay_alu instid0(VALU_DEP_2) | instskip(NEXT) | instid1(VALU_DEP_2)
	v_cmp_ge_i32_e64 s10, v108, v75
	v_cmp_lt_i32_e64 s11, v109, v76
	s_or_b32 s9, s10, s9
	s_wait_alu 0xfffe
	s_and_b32 s9, s11, s9
	s_wait_alu 0xfffe
	s_xor_b32 s10, s9, -1
	s_wait_alu 0xfffe
	s_and_saveexec_b32 s11, s10
	s_wait_alu 0xfffe
	s_xor_b32 s10, exec_lo, s11
; %bb.147:                              ;   in Loop: Header=BB139_2 Depth=1
	v_lshlrev_b32_e32 v33, 3, v108
	ds_load_b64 v[33:34], v33 offset:8
; %bb.148:                              ;   in Loop: Header=BB139_2 Depth=1
	s_wait_alu 0xfffe
	s_or_saveexec_b32 s10, s10
	v_dual_mov_b32 v36, v32 :: v_dual_mov_b32 v35, v31
	s_wait_alu 0xfffe
	s_xor_b32 exec_lo, exec_lo, s10
	s_cbranch_execz .LBB139_150
; %bb.149:                              ;   in Loop: Header=BB139_2 Depth=1
	s_wait_dscnt 0x0
	v_lshlrev_b32_e32 v33, 3, v109
	ds_load_b64 v[35:36], v33 offset:8
	v_dual_mov_b32 v34, v30 :: v_dual_mov_b32 v33, v29
.LBB139_150:                            ;   in Loop: Header=BB139_2 Depth=1
	s_or_b32 exec_lo, exec_lo, s10
	v_add_nc_u32_e32 v37, 1, v108
	v_add_nc_u32_e32 v38, 1, v109
	s_wait_dscnt 0x0
	v_cmp_lt_i64_e64 s10, v[35:36], v[33:34]
                                        ; implicit-def: $vgpr39_vgpr40
	s_delay_alu instid0(VALU_DEP_3) | instskip(NEXT) | instid1(VALU_DEP_3)
	v_cndmask_b32_e64 v110, v37, v108, s9
	v_cndmask_b32_e64 v111, v109, v38, s9
	s_delay_alu instid0(VALU_DEP_2) | instskip(NEXT) | instid1(VALU_DEP_2)
	v_cmp_ge_i32_e64 s11, v110, v75
	v_cmp_lt_i32_e64 s12, v111, v76
	s_or_b32 s10, s11, s10
	s_wait_alu 0xfffe
	s_and_b32 s10, s12, s10
	s_wait_alu 0xfffe
	s_xor_b32 s11, s10, -1
	s_wait_alu 0xfffe
	s_and_saveexec_b32 s12, s11
	s_wait_alu 0xfffe
	s_xor_b32 s11, exec_lo, s12
; %bb.151:                              ;   in Loop: Header=BB139_2 Depth=1
	v_lshlrev_b32_e32 v37, 3, v110
	ds_load_b64 v[39:40], v37 offset:8
; %bb.152:                              ;   in Loop: Header=BB139_2 Depth=1
	s_wait_alu 0xfffe
	s_or_saveexec_b32 s11, s11
	v_dual_mov_b32 v44, v36 :: v_dual_mov_b32 v43, v35
	s_wait_alu 0xfffe
	s_xor_b32 exec_lo, exec_lo, s11
	s_cbranch_execz .LBB139_154
; %bb.153:                              ;   in Loop: Header=BB139_2 Depth=1
	s_wait_dscnt 0x0
	v_dual_mov_b32 v40, v34 :: v_dual_lshlrev_b32 v37, 3, v111
	v_mov_b32_e32 v39, v33
	ds_load_b64 v[43:44], v37 offset:8
.LBB139_154:                            ;   in Loop: Header=BB139_2 Depth=1
	s_or_b32 exec_lo, exec_lo, s11
	v_add_nc_u32_e32 v37, 1, v110
	v_add_nc_u32_e32 v38, 1, v111
	s_wait_dscnt 0x0
	v_cmp_lt_i64_e64 s11, v[43:44], v[39:40]
                                        ; implicit-def: $vgpr45_vgpr46
	s_delay_alu instid0(VALU_DEP_3) | instskip(NEXT) | instid1(VALU_DEP_3)
	v_cndmask_b32_e64 v112, v37, v110, s10
	v_cndmask_b32_e64 v113, v111, v38, s10
	s_delay_alu instid0(VALU_DEP_2) | instskip(NEXT) | instid1(VALU_DEP_2)
	v_cmp_ge_i32_e64 s12, v112, v75
	v_cmp_lt_i32_e64 s13, v113, v76
	s_or_b32 s11, s12, s11
	s_wait_alu 0xfffe
	s_and_b32 s11, s13, s11
	s_wait_alu 0xfffe
	s_xor_b32 s12, s11, -1
	s_wait_alu 0xfffe
	s_and_saveexec_b32 s13, s12
	s_wait_alu 0xfffe
	s_xor_b32 s12, exec_lo, s13
; %bb.155:                              ;   in Loop: Header=BB139_2 Depth=1
	v_lshlrev_b32_e32 v37, 3, v112
	ds_load_b64 v[45:46], v37 offset:8
; %bb.156:                              ;   in Loop: Header=BB139_2 Depth=1
	s_wait_alu 0xfffe
	s_or_saveexec_b32 s12, s12
	v_dual_mov_b32 v48, v44 :: v_dual_mov_b32 v47, v43
	s_wait_alu 0xfffe
	s_xor_b32 exec_lo, exec_lo, s12
	s_cbranch_execz .LBB139_158
; %bb.157:                              ;   in Loop: Header=BB139_2 Depth=1
	s_wait_dscnt 0x0
	v_dual_mov_b32 v46, v40 :: v_dual_lshlrev_b32 v37, 3, v113
	v_mov_b32_e32 v45, v39
	ds_load_b64 v[47:48], v37 offset:8
.LBB139_158:                            ;   in Loop: Header=BB139_2 Depth=1
	s_or_b32 exec_lo, exec_lo, s12
	v_add_nc_u32_e32 v37, 1, v112
	v_add_nc_u32_e32 v38, 1, v113
	s_wait_dscnt 0x0
	v_cmp_lt_i64_e64 s12, v[47:48], v[45:46]
	s_delay_alu instid0(VALU_DEP_3) | instskip(NEXT) | instid1(VALU_DEP_3)
	v_cndmask_b32_e64 v114, v37, v112, s11
	v_cndmask_b32_e64 v115, v113, v38, s11
                                        ; implicit-def: $vgpr37_vgpr38
	s_delay_alu instid0(VALU_DEP_2) | instskip(NEXT) | instid1(VALU_DEP_2)
	v_cmp_ge_i32_e64 s13, v114, v75
	v_cmp_lt_i32_e64 s14, v115, v76
	s_or_b32 s12, s13, s12
	s_wait_alu 0xfffe
	s_and_b32 s12, s14, s12
	s_wait_alu 0xfffe
	s_xor_b32 s13, s12, -1
	s_wait_alu 0xfffe
	s_and_saveexec_b32 s14, s13
	s_wait_alu 0xfffe
	s_xor_b32 s13, exec_lo, s14
; %bb.159:                              ;   in Loop: Header=BB139_2 Depth=1
	v_lshlrev_b32_e32 v37, 3, v114
	ds_load_b64 v[37:38], v37 offset:8
; %bb.160:                              ;   in Loop: Header=BB139_2 Depth=1
	s_wait_alu 0xfffe
	s_or_saveexec_b32 s13, s13
	v_dual_mov_b32 v41, v47 :: v_dual_mov_b32 v42, v48
	s_wait_alu 0xfffe
	s_xor_b32 exec_lo, exec_lo, s13
	s_cbranch_execz .LBB139_162
; %bb.161:                              ;   in Loop: Header=BB139_2 Depth=1
	s_wait_dscnt 0x0
	v_lshlrev_b32_e32 v37, 3, v115
	ds_load_b64 v[41:42], v37 offset:8
	v_dual_mov_b32 v37, v45 :: v_dual_mov_b32 v38, v46
.LBB139_162:                            ;   in Loop: Header=BB139_2 Depth=1
	s_or_b32 exec_lo, exec_lo, s13
	v_add_nc_u32_e32 v117, 1, v114
	v_add_nc_u32_e32 v116, 1, v115
	v_cndmask_b32_e64 v46, v46, v48, s12
	v_cndmask_b32_e64 v45, v45, v47, s12
	;; [unrolled: 1-line block ×7, first 2 shown]
	s_wait_dscnt 0x0
	v_cmp_lt_i64_e64 s9, v[41:42], v[37:38]
	v_cndmask_b32_e64 v34, v34, v36, s10
	v_cndmask_b32_e64 v33, v33, v35, s10
	;; [unrolled: 1-line block ×3, first 2 shown]
	v_cmp_ge_i32_e64 s10, v48, v75
	v_cndmask_b32_e64 v40, v40, v44, s11
	v_cndmask_b32_e64 v39, v39, v43, s11
	v_cndmask_b32_e64 v43, v112, v113, s11
	v_cmp_lt_i32_e64 s11, v47, v76
	v_cndmask_b32_e64 v44, v50, v49, s6
	v_cndmask_b32_e64 v36, v51, v52, s7
	s_or_b32 s9, s10, s9
	v_cndmask_b32_e64 v32, v106, v107, s8
	s_wait_alu 0xfffe
	s_and_b32 s9, s11, s9
	v_cndmask_b32_e64 v114, v114, v115, s12
	v_cndmask_b32_e64 v26, v26, v28, s8
	s_wait_alu 0xfffe
	v_cndmask_b32_e64 v28, v38, v42, s9
	v_cndmask_b32_e64 v38, v48, v47, s9
	s_wait_loadcnt 0x0
	s_barrier_signal -1
	s_barrier_wait -1
	global_inv scope:SCOPE_SE
	ds_store_2addr_b64 v53, v[13:14], v[15:16] offset1:1
	ds_store_2addr_b64 v53, v[9:10], v[11:12] offset0:2 offset1:3
	ds_store_2addr_b64 v53, v[5:6], v[7:8] offset0:4 offset1:5
	;; [unrolled: 1-line block ×3, first 2 shown]
	v_lshlrev_b32_e32 v1, 3, v44
	v_lshlrev_b32_e32 v2, 3, v36
	;; [unrolled: 1-line block ×6, first 2 shown]
	s_wait_loadcnt_dscnt 0x0
	s_barrier_signal -1
	s_barrier_wait -1
	global_inv scope:SCOPE_SE
	v_lshlrev_b32_e32 v31, 3, v114
	v_lshlrev_b32_e32 v32, 3, v38
	ds_load_b64 v[13:14], v1
	ds_load_b64 v[15:16], v2
	;; [unrolled: 1-line block ×8, first 2 shown]
	v_cndmask_b32_e64 v22, v22, v24, s7
	v_cndmask_b32_e64 v21, v21, v23, s7
	;; [unrolled: 1-line block ×6, first 2 shown]
	s_wait_loadcnt_dscnt 0x0
	s_barrier_signal -1
	s_barrier_wait -1
	global_inv scope:SCOPE_SE
	ds_store_2addr_b64 v53, v[17:18], v[21:22] offset1:1
	ds_store_2addr_b64 v53, v[25:26], v[29:30] offset0:2 offset1:3
	ds_store_2addr_b64 v53, v[33:34], v[39:40] offset0:4 offset1:5
	;; [unrolled: 1-line block ×3, first 2 shown]
	v_mov_b32_e32 v21, v104
	s_wait_loadcnt_dscnt 0x0
	s_barrier_signal -1
	s_barrier_wait -1
	global_inv scope:SCOPE_SE
	s_and_saveexec_b32 s7, s5
	s_cbranch_execz .LBB139_166
; %bb.163:                              ;   in Loop: Header=BB139_2 Depth=1
	v_mov_b32_e32 v21, v104
	v_mov_b32_e32 v17, v98
	s_mov_b32 s8, 0
.LBB139_164:                            ;   Parent Loop BB139_2 Depth=1
                                        ; =>  This Inner Loop Header: Depth=2
	s_delay_alu instid0(VALU_DEP_1) | instskip(NEXT) | instid1(VALU_DEP_1)
	v_sub_nc_u32_e32 v18, v17, v21
	v_lshrrev_b32_e32 v18, 1, v18
	s_delay_alu instid0(VALU_DEP_1) | instskip(NEXT) | instid1(VALU_DEP_1)
	v_add_nc_u32_e32 v20, v18, v21
	v_not_b32_e32 v18, v20
	v_lshl_add_u32 v19, v20, 3, v80
	s_delay_alu instid0(VALU_DEP_2)
	v_lshl_add_u32 v22, v18, 3, v92
	ds_load_b64 v[18:19], v19
	ds_load_b64 v[22:23], v22
	s_wait_dscnt 0x0
	v_cmp_lt_i64_e64 s6, v[22:23], v[18:19]
	v_add_nc_u32_e32 v18, 1, v20
	s_wait_alu 0xf1ff
	s_delay_alu instid0(VALU_DEP_2) | instskip(NEXT) | instid1(VALU_DEP_2)
	v_cndmask_b32_e64 v17, v17, v20, s6
	v_cndmask_b32_e64 v21, v18, v21, s6
	s_delay_alu instid0(VALU_DEP_1)
	v_cmp_ge_i32_e64 s6, v21, v17
	s_wait_alu 0xfffe
	s_or_b32 s8, s6, s8
	s_wait_alu 0xfffe
	s_and_not1_b32 exec_lo, exec_lo, s8
	s_cbranch_execnz .LBB139_164
; %bb.165:                              ;   in Loop: Header=BB139_2 Depth=1
	s_or_b32 exec_lo, exec_lo, s8
.LBB139_166:                            ;   in Loop: Header=BB139_2 Depth=1
	s_wait_alu 0xfffe
	s_or_b32 exec_lo, exec_lo, s7
	v_sub_nc_u32_e32 v49, v86, v21
	v_lshl_add_u32 v23, v21, 3, v80
	v_add_nc_u32_e32 v50, v21, v59
                                        ; implicit-def: $vgpr21_vgpr22
	s_delay_alu instid0(VALU_DEP_3) | instskip(SKIP_1) | instid1(VALU_DEP_3)
	v_lshlrev_b32_e32 v25, 3, v49
	v_cmp_gt_i32_e64 s8, v79, v49
	v_cmp_le_i32_e64 s7, v78, v50
	ds_load_b64 v[17:18], v23
	ds_load_b64 v[19:20], v25
	s_wait_dscnt 0x0
	v_cmp_lt_i64_e64 s6, v[19:20], v[17:18]
	s_or_b32 s6, s7, s6
	s_wait_alu 0xfffe
	s_and_b32 s6, s8, s6
	s_wait_alu 0xfffe
	s_xor_b32 s7, s6, -1
	s_wait_alu 0xfffe
	s_and_saveexec_b32 s8, s7
	s_wait_alu 0xfffe
	s_xor_b32 s7, exec_lo, s8
; %bb.167:                              ;   in Loop: Header=BB139_2 Depth=1
	ds_load_b64 v[21:22], v23 offset:8
                                        ; implicit-def: $vgpr25
; %bb.168:                              ;   in Loop: Header=BB139_2 Depth=1
	s_wait_alu 0xfffe
	s_or_saveexec_b32 s7, s7
	v_dual_mov_b32 v24, v20 :: v_dual_mov_b32 v23, v19
	s_wait_alu 0xfffe
	s_xor_b32 exec_lo, exec_lo, s7
	s_cbranch_execz .LBB139_170
; %bb.169:                              ;   in Loop: Header=BB139_2 Depth=1
	ds_load_b64 v[23:24], v25 offset:8
	s_wait_dscnt 0x1
	v_dual_mov_b32 v22, v18 :: v_dual_mov_b32 v21, v17
.LBB139_170:                            ;   in Loop: Header=BB139_2 Depth=1
	s_or_b32 exec_lo, exec_lo, s7
	v_add_nc_u32_e32 v25, 1, v50
	v_add_nc_u32_e32 v26, 1, v49
	s_wait_dscnt 0x0
	v_cmp_lt_i64_e64 s7, v[23:24], v[21:22]
	s_delay_alu instid0(VALU_DEP_3) | instskip(NEXT) | instid1(VALU_DEP_3)
	v_cndmask_b32_e64 v51, v25, v50, s6
	v_cndmask_b32_e64 v52, v49, v26, s6
                                        ; implicit-def: $vgpr25_vgpr26
	s_delay_alu instid0(VALU_DEP_2) | instskip(NEXT) | instid1(VALU_DEP_2)
	v_cmp_ge_i32_e64 s8, v51, v78
	v_cmp_lt_i32_e64 s9, v52, v79
	s_or_b32 s7, s8, s7
	s_wait_alu 0xfffe
	s_and_b32 s7, s9, s7
	s_wait_alu 0xfffe
	s_xor_b32 s8, s7, -1
	s_wait_alu 0xfffe
	s_and_saveexec_b32 s9, s8
	s_wait_alu 0xfffe
	s_xor_b32 s8, exec_lo, s9
; %bb.171:                              ;   in Loop: Header=BB139_2 Depth=1
	v_lshlrev_b32_e32 v25, 3, v51
	ds_load_b64 v[25:26], v25 offset:8
; %bb.172:                              ;   in Loop: Header=BB139_2 Depth=1
	s_wait_alu 0xfffe
	s_or_saveexec_b32 s8, s8
	v_dual_mov_b32 v28, v24 :: v_dual_mov_b32 v27, v23
	s_wait_alu 0xfffe
	s_xor_b32 exec_lo, exec_lo, s8
	s_cbranch_execz .LBB139_174
; %bb.173:                              ;   in Loop: Header=BB139_2 Depth=1
	s_wait_dscnt 0x0
	v_lshlrev_b32_e32 v25, 3, v52
	ds_load_b64 v[27:28], v25 offset:8
	v_dual_mov_b32 v26, v22 :: v_dual_mov_b32 v25, v21
.LBB139_174:                            ;   in Loop: Header=BB139_2 Depth=1
	s_or_b32 exec_lo, exec_lo, s8
	v_add_nc_u32_e32 v29, 1, v51
	v_add_nc_u32_e32 v30, 1, v52
	s_wait_dscnt 0x0
	v_cmp_lt_i64_e64 s8, v[27:28], v[25:26]
	s_delay_alu instid0(VALU_DEP_3) | instskip(NEXT) | instid1(VALU_DEP_3)
	v_cndmask_b32_e64 v106, v29, v51, s7
	v_cndmask_b32_e64 v107, v52, v30, s7
                                        ; implicit-def: $vgpr29_vgpr30
	s_delay_alu instid0(VALU_DEP_2) | instskip(NEXT) | instid1(VALU_DEP_2)
	v_cmp_ge_i32_e64 s9, v106, v78
	v_cmp_lt_i32_e64 s10, v107, v79
	s_or_b32 s8, s9, s8
	s_wait_alu 0xfffe
	s_and_b32 s8, s10, s8
	s_wait_alu 0xfffe
	s_xor_b32 s9, s8, -1
	s_wait_alu 0xfffe
	s_and_saveexec_b32 s10, s9
	s_wait_alu 0xfffe
	s_xor_b32 s9, exec_lo, s10
; %bb.175:                              ;   in Loop: Header=BB139_2 Depth=1
	v_lshlrev_b32_e32 v29, 3, v106
	ds_load_b64 v[29:30], v29 offset:8
; %bb.176:                              ;   in Loop: Header=BB139_2 Depth=1
	s_wait_alu 0xfffe
	s_or_saveexec_b32 s9, s9
	v_dual_mov_b32 v32, v28 :: v_dual_mov_b32 v31, v27
	s_wait_alu 0xfffe
	s_xor_b32 exec_lo, exec_lo, s9
	s_cbranch_execz .LBB139_178
; %bb.177:                              ;   in Loop: Header=BB139_2 Depth=1
	s_wait_dscnt 0x0
	v_lshlrev_b32_e32 v29, 3, v107
	ds_load_b64 v[31:32], v29 offset:8
	v_dual_mov_b32 v30, v26 :: v_dual_mov_b32 v29, v25
.LBB139_178:                            ;   in Loop: Header=BB139_2 Depth=1
	s_or_b32 exec_lo, exec_lo, s9
	v_add_nc_u32_e32 v33, 1, v106
	v_add_nc_u32_e32 v34, 1, v107
	s_wait_dscnt 0x0
	v_cmp_lt_i64_e64 s9, v[31:32], v[29:30]
	s_delay_alu instid0(VALU_DEP_3) | instskip(NEXT) | instid1(VALU_DEP_3)
	v_cndmask_b32_e64 v108, v33, v106, s8
	v_cndmask_b32_e64 v109, v107, v34, s8
                                        ; implicit-def: $vgpr33_vgpr34
	s_delay_alu instid0(VALU_DEP_2) | instskip(NEXT) | instid1(VALU_DEP_2)
	v_cmp_ge_i32_e64 s10, v108, v78
	v_cmp_lt_i32_e64 s11, v109, v79
	s_or_b32 s9, s10, s9
	s_wait_alu 0xfffe
	s_and_b32 s9, s11, s9
	s_wait_alu 0xfffe
	s_xor_b32 s10, s9, -1
	s_wait_alu 0xfffe
	s_and_saveexec_b32 s11, s10
	s_wait_alu 0xfffe
	s_xor_b32 s10, exec_lo, s11
; %bb.179:                              ;   in Loop: Header=BB139_2 Depth=1
	v_lshlrev_b32_e32 v33, 3, v108
	ds_load_b64 v[33:34], v33 offset:8
; %bb.180:                              ;   in Loop: Header=BB139_2 Depth=1
	s_wait_alu 0xfffe
	s_or_saveexec_b32 s10, s10
	v_dual_mov_b32 v36, v32 :: v_dual_mov_b32 v35, v31
	s_wait_alu 0xfffe
	s_xor_b32 exec_lo, exec_lo, s10
	s_cbranch_execz .LBB139_182
; %bb.181:                              ;   in Loop: Header=BB139_2 Depth=1
	s_wait_dscnt 0x0
	v_lshlrev_b32_e32 v33, 3, v109
	ds_load_b64 v[35:36], v33 offset:8
	v_dual_mov_b32 v34, v30 :: v_dual_mov_b32 v33, v29
.LBB139_182:                            ;   in Loop: Header=BB139_2 Depth=1
	s_or_b32 exec_lo, exec_lo, s10
	v_add_nc_u32_e32 v37, 1, v108
	v_add_nc_u32_e32 v38, 1, v109
	s_wait_dscnt 0x0
	v_cmp_lt_i64_e64 s10, v[35:36], v[33:34]
                                        ; implicit-def: $vgpr39_vgpr40
	s_delay_alu instid0(VALU_DEP_3) | instskip(NEXT) | instid1(VALU_DEP_3)
	v_cndmask_b32_e64 v110, v37, v108, s9
	v_cndmask_b32_e64 v111, v109, v38, s9
	s_delay_alu instid0(VALU_DEP_2) | instskip(NEXT) | instid1(VALU_DEP_2)
	v_cmp_ge_i32_e64 s11, v110, v78
	v_cmp_lt_i32_e64 s12, v111, v79
	s_or_b32 s10, s11, s10
	s_wait_alu 0xfffe
	s_and_b32 s10, s12, s10
	s_wait_alu 0xfffe
	s_xor_b32 s11, s10, -1
	s_wait_alu 0xfffe
	s_and_saveexec_b32 s12, s11
	s_wait_alu 0xfffe
	s_xor_b32 s11, exec_lo, s12
; %bb.183:                              ;   in Loop: Header=BB139_2 Depth=1
	v_lshlrev_b32_e32 v37, 3, v110
	ds_load_b64 v[39:40], v37 offset:8
; %bb.184:                              ;   in Loop: Header=BB139_2 Depth=1
	s_wait_alu 0xfffe
	s_or_saveexec_b32 s11, s11
	v_dual_mov_b32 v44, v36 :: v_dual_mov_b32 v43, v35
	s_wait_alu 0xfffe
	s_xor_b32 exec_lo, exec_lo, s11
	s_cbranch_execz .LBB139_186
; %bb.185:                              ;   in Loop: Header=BB139_2 Depth=1
	s_wait_dscnt 0x0
	v_dual_mov_b32 v40, v34 :: v_dual_lshlrev_b32 v37, 3, v111
	v_mov_b32_e32 v39, v33
	ds_load_b64 v[43:44], v37 offset:8
.LBB139_186:                            ;   in Loop: Header=BB139_2 Depth=1
	s_or_b32 exec_lo, exec_lo, s11
	v_add_nc_u32_e32 v37, 1, v110
	v_add_nc_u32_e32 v38, 1, v111
	s_wait_dscnt 0x0
	v_cmp_lt_i64_e64 s11, v[43:44], v[39:40]
                                        ; implicit-def: $vgpr45_vgpr46
	s_delay_alu instid0(VALU_DEP_3) | instskip(NEXT) | instid1(VALU_DEP_3)
	v_cndmask_b32_e64 v112, v37, v110, s10
	v_cndmask_b32_e64 v113, v111, v38, s10
	s_delay_alu instid0(VALU_DEP_2) | instskip(NEXT) | instid1(VALU_DEP_2)
	v_cmp_ge_i32_e64 s12, v112, v78
	v_cmp_lt_i32_e64 s13, v113, v79
	s_or_b32 s11, s12, s11
	s_wait_alu 0xfffe
	s_and_b32 s11, s13, s11
	s_wait_alu 0xfffe
	s_xor_b32 s12, s11, -1
	s_wait_alu 0xfffe
	s_and_saveexec_b32 s13, s12
	s_wait_alu 0xfffe
	s_xor_b32 s12, exec_lo, s13
; %bb.187:                              ;   in Loop: Header=BB139_2 Depth=1
	v_lshlrev_b32_e32 v37, 3, v112
	ds_load_b64 v[45:46], v37 offset:8
; %bb.188:                              ;   in Loop: Header=BB139_2 Depth=1
	s_wait_alu 0xfffe
	s_or_saveexec_b32 s12, s12
	v_dual_mov_b32 v48, v44 :: v_dual_mov_b32 v47, v43
	s_wait_alu 0xfffe
	s_xor_b32 exec_lo, exec_lo, s12
	s_cbranch_execz .LBB139_190
; %bb.189:                              ;   in Loop: Header=BB139_2 Depth=1
	s_wait_dscnt 0x0
	v_dual_mov_b32 v46, v40 :: v_dual_lshlrev_b32 v37, 3, v113
	v_mov_b32_e32 v45, v39
	ds_load_b64 v[47:48], v37 offset:8
.LBB139_190:                            ;   in Loop: Header=BB139_2 Depth=1
	s_or_b32 exec_lo, exec_lo, s12
	v_add_nc_u32_e32 v37, 1, v112
	v_add_nc_u32_e32 v38, 1, v113
	s_wait_dscnt 0x0
	v_cmp_lt_i64_e64 s12, v[47:48], v[45:46]
	s_delay_alu instid0(VALU_DEP_3) | instskip(NEXT) | instid1(VALU_DEP_3)
	v_cndmask_b32_e64 v114, v37, v112, s11
	v_cndmask_b32_e64 v115, v113, v38, s11
                                        ; implicit-def: $vgpr37_vgpr38
	s_delay_alu instid0(VALU_DEP_2) | instskip(NEXT) | instid1(VALU_DEP_2)
	v_cmp_ge_i32_e64 s13, v114, v78
	v_cmp_lt_i32_e64 s14, v115, v79
	s_or_b32 s12, s13, s12
	s_wait_alu 0xfffe
	s_and_b32 s12, s14, s12
	s_wait_alu 0xfffe
	s_xor_b32 s13, s12, -1
	s_wait_alu 0xfffe
	s_and_saveexec_b32 s14, s13
	s_wait_alu 0xfffe
	s_xor_b32 s13, exec_lo, s14
; %bb.191:                              ;   in Loop: Header=BB139_2 Depth=1
	v_lshlrev_b32_e32 v37, 3, v114
	ds_load_b64 v[37:38], v37 offset:8
; %bb.192:                              ;   in Loop: Header=BB139_2 Depth=1
	s_wait_alu 0xfffe
	s_or_saveexec_b32 s13, s13
	v_dual_mov_b32 v41, v47 :: v_dual_mov_b32 v42, v48
	s_wait_alu 0xfffe
	s_xor_b32 exec_lo, exec_lo, s13
	s_cbranch_execz .LBB139_194
; %bb.193:                              ;   in Loop: Header=BB139_2 Depth=1
	s_wait_dscnt 0x0
	v_lshlrev_b32_e32 v37, 3, v115
	ds_load_b64 v[41:42], v37 offset:8
	v_dual_mov_b32 v37, v45 :: v_dual_mov_b32 v38, v46
.LBB139_194:                            ;   in Loop: Header=BB139_2 Depth=1
	s_or_b32 exec_lo, exec_lo, s13
	v_add_nc_u32_e32 v117, 1, v114
	v_add_nc_u32_e32 v116, 1, v115
	v_cndmask_b32_e64 v46, v46, v48, s12
	v_cndmask_b32_e64 v45, v45, v47, s12
	;; [unrolled: 1-line block ×7, first 2 shown]
	s_wait_dscnt 0x0
	v_cmp_lt_i64_e64 s9, v[41:42], v[37:38]
	v_cndmask_b32_e64 v34, v34, v36, s10
	v_cndmask_b32_e64 v33, v33, v35, s10
	;; [unrolled: 1-line block ×3, first 2 shown]
	v_cmp_ge_i32_e64 s10, v48, v78
	v_cndmask_b32_e64 v40, v40, v44, s11
	v_cndmask_b32_e64 v39, v39, v43, s11
	;; [unrolled: 1-line block ×3, first 2 shown]
	v_cmp_lt_i32_e64 s11, v47, v79
	v_cndmask_b32_e64 v44, v50, v49, s6
	v_cndmask_b32_e64 v36, v51, v52, s7
	s_or_b32 s9, s10, s9
	v_cndmask_b32_e64 v32, v106, v107, s8
	s_wait_alu 0xfffe
	s_and_b32 s9, s11, s9
	v_cndmask_b32_e64 v114, v114, v115, s12
	v_cndmask_b32_e64 v26, v26, v28, s8
	s_wait_alu 0xfffe
	v_cndmask_b32_e64 v28, v38, v42, s9
	v_cndmask_b32_e64 v38, v48, v47, s9
	s_wait_loadcnt 0x0
	s_barrier_signal -1
	s_barrier_wait -1
	global_inv scope:SCOPE_SE
	ds_store_2addr_b64 v53, v[13:14], v[15:16] offset1:1
	ds_store_2addr_b64 v53, v[9:10], v[11:12] offset0:2 offset1:3
	ds_store_2addr_b64 v53, v[5:6], v[7:8] offset0:4 offset1:5
	;; [unrolled: 1-line block ×3, first 2 shown]
	v_lshlrev_b32_e32 v1, 3, v44
	v_lshlrev_b32_e32 v2, 3, v36
	;; [unrolled: 1-line block ×6, first 2 shown]
	s_wait_loadcnt_dscnt 0x0
	s_barrier_signal -1
	s_barrier_wait -1
	global_inv scope:SCOPE_SE
	v_lshlrev_b32_e32 v31, 3, v114
	v_lshlrev_b32_e32 v32, 3, v38
	ds_load_b64 v[13:14], v1
	ds_load_b64 v[15:16], v2
	;; [unrolled: 1-line block ×8, first 2 shown]
	v_cndmask_b32_e64 v22, v22, v24, s7
	v_cndmask_b32_e64 v21, v21, v23, s7
	;; [unrolled: 1-line block ×6, first 2 shown]
	s_wait_loadcnt_dscnt 0x0
	s_barrier_signal -1
	s_barrier_wait -1
	global_inv scope:SCOPE_SE
	ds_store_2addr_b64 v53, v[17:18], v[21:22] offset1:1
	ds_store_2addr_b64 v53, v[25:26], v[29:30] offset0:2 offset1:3
	ds_store_2addr_b64 v53, v[33:34], v[39:40] offset0:4 offset1:5
	;; [unrolled: 1-line block ×3, first 2 shown]
	v_mov_b32_e32 v29, v60
	s_wait_loadcnt_dscnt 0x0
	s_barrier_signal -1
	s_barrier_wait -1
	global_inv scope:SCOPE_SE
	s_and_saveexec_b32 s7, vcc_lo
	s_cbranch_execz .LBB139_198
; %bb.195:                              ;   in Loop: Header=BB139_2 Depth=1
	v_mov_b32_e32 v29, v60
	v_mov_b32_e32 v17, v61
	s_mov_b32 s8, 0
.LBB139_196:                            ;   Parent Loop BB139_2 Depth=1
                                        ; =>  This Inner Loop Header: Depth=2
	s_delay_alu instid0(VALU_DEP_1) | instskip(NEXT) | instid1(VALU_DEP_1)
	v_sub_nc_u32_e32 v18, v17, v29
	v_lshrrev_b32_e32 v18, 1, v18
	s_delay_alu instid0(VALU_DEP_1) | instskip(NEXT) | instid1(VALU_DEP_1)
	v_add_nc_u32_e32 v22, v18, v29
	v_not_b32_e32 v18, v22
	v_lshlrev_b32_e32 v19, 3, v22
	s_delay_alu instid0(VALU_DEP_2)
	v_lshl_add_u32 v20, v18, 3, v105
	ds_load_b64 v[18:19], v19
	ds_load_b64 v[20:21], v20
	s_wait_dscnt 0x0
	v_cmp_lt_i64_e64 s6, v[20:21], v[18:19]
	v_add_nc_u32_e32 v18, 1, v22
	s_wait_alu 0xf1ff
	s_delay_alu instid0(VALU_DEP_2) | instskip(NEXT) | instid1(VALU_DEP_2)
	v_cndmask_b32_e64 v17, v17, v22, s6
	v_cndmask_b32_e64 v29, v18, v29, s6
	s_delay_alu instid0(VALU_DEP_1)
	v_cmp_ge_i32_e64 s6, v29, v17
	s_wait_alu 0xfffe
	s_or_b32 s8, s6, s8
	s_wait_alu 0xfffe
	s_and_not1_b32 exec_lo, exec_lo, s8
	s_cbranch_execnz .LBB139_196
; %bb.197:                              ;   in Loop: Header=BB139_2 Depth=1
	s_or_b32 exec_lo, exec_lo, s8
.LBB139_198:                            ;   in Loop: Header=BB139_2 Depth=1
	s_wait_alu 0xfffe
	s_or_b32 exec_lo, exec_lo, s7
	v_sub_nc_u32_e32 v30, v62, v29
	v_lshlrev_b32_e32 v23, 3, v29
	v_cmp_le_i32_e64 s7, 0x200, v29
                                        ; implicit-def: $vgpr21_vgpr22
	s_delay_alu instid0(VALU_DEP_3)
	v_lshlrev_b32_e32 v25, 3, v30
	v_cmp_gt_i32_e64 s8, 0x400, v30
	ds_load_b64 v[17:18], v23
	ds_load_b64 v[19:20], v25
	s_wait_dscnt 0x0
	v_cmp_lt_i64_e64 s6, v[19:20], v[17:18]
	s_or_b32 s6, s7, s6
	s_wait_alu 0xfffe
	s_and_b32 s6, s8, s6
	s_wait_alu 0xfffe
	s_xor_b32 s7, s6, -1
	s_wait_alu 0xfffe
	s_and_saveexec_b32 s8, s7
	s_wait_alu 0xfffe
	s_xor_b32 s7, exec_lo, s8
; %bb.199:                              ;   in Loop: Header=BB139_2 Depth=1
	ds_load_b64 v[21:22], v23 offset:8
                                        ; implicit-def: $vgpr25
; %bb.200:                              ;   in Loop: Header=BB139_2 Depth=1
	s_wait_alu 0xfffe
	s_or_saveexec_b32 s7, s7
	v_dual_mov_b32 v24, v20 :: v_dual_mov_b32 v23, v19
	s_wait_alu 0xfffe
	s_xor_b32 exec_lo, exec_lo, s7
	s_cbranch_execz .LBB139_202
; %bb.201:                              ;   in Loop: Header=BB139_2 Depth=1
	ds_load_b64 v[23:24], v25 offset:8
	s_wait_dscnt 0x1
	v_dual_mov_b32 v22, v18 :: v_dual_mov_b32 v21, v17
.LBB139_202:                            ;   in Loop: Header=BB139_2 Depth=1
	s_or_b32 exec_lo, exec_lo, s7
	v_add_nc_u32_e32 v25, 1, v29
	v_add_nc_u32_e32 v26, 1, v30
	s_wait_dscnt 0x0
	v_cmp_lt_i64_e64 s7, v[23:24], v[21:22]
	s_delay_alu instid0(VALU_DEP_3) | instskip(NEXT) | instid1(VALU_DEP_3)
	v_cndmask_b32_e64 v33, v25, v29, s6
	v_cndmask_b32_e64 v34, v30, v26, s6
                                        ; implicit-def: $vgpr25_vgpr26
	s_delay_alu instid0(VALU_DEP_2) | instskip(NEXT) | instid1(VALU_DEP_2)
	v_cmp_le_i32_e64 s8, 0x200, v33
	v_cmp_gt_i32_e64 s9, 0x400, v34
	s_or_b32 s7, s8, s7
	s_wait_alu 0xfffe
	s_and_b32 s7, s9, s7
	s_wait_alu 0xfffe
	s_xor_b32 s8, s7, -1
	s_wait_alu 0xfffe
	s_and_saveexec_b32 s9, s8
	s_wait_alu 0xfffe
	s_xor_b32 s8, exec_lo, s9
; %bb.203:                              ;   in Loop: Header=BB139_2 Depth=1
	v_lshlrev_b32_e32 v25, 3, v33
	ds_load_b64 v[25:26], v25 offset:8
; %bb.204:                              ;   in Loop: Header=BB139_2 Depth=1
	s_wait_alu 0xfffe
	s_or_saveexec_b32 s8, s8
	v_dual_mov_b32 v28, v24 :: v_dual_mov_b32 v27, v23
	s_wait_alu 0xfffe
	s_xor_b32 exec_lo, exec_lo, s8
	s_cbranch_execz .LBB139_206
; %bb.205:                              ;   in Loop: Header=BB139_2 Depth=1
	s_wait_dscnt 0x0
	v_lshlrev_b32_e32 v25, 3, v34
	ds_load_b64 v[27:28], v25 offset:8
	v_dual_mov_b32 v26, v22 :: v_dual_mov_b32 v25, v21
.LBB139_206:                            ;   in Loop: Header=BB139_2 Depth=1
	s_or_b32 exec_lo, exec_lo, s8
	v_add_nc_u32_e32 v31, 1, v33
	v_add_nc_u32_e32 v32, 1, v34
	s_wait_dscnt 0x0
	v_cmp_lt_i64_e64 s8, v[27:28], v[25:26]
	s_delay_alu instid0(VALU_DEP_3) | instskip(NEXT) | instid1(VALU_DEP_3)
	v_cndmask_b32_e64 v106, v31, v33, s7
	v_cndmask_b32_e64 v107, v34, v32, s7
                                        ; implicit-def: $vgpr31_vgpr32
	s_delay_alu instid0(VALU_DEP_2) | instskip(NEXT) | instid1(VALU_DEP_2)
	v_cmp_le_i32_e64 s9, 0x200, v106
	v_cmp_gt_i32_e64 s10, 0x400, v107
	s_or_b32 s8, s9, s8
	s_wait_alu 0xfffe
	s_and_b32 s8, s10, s8
	s_wait_alu 0xfffe
	s_xor_b32 s9, s8, -1
	s_wait_alu 0xfffe
	s_and_saveexec_b32 s10, s9
	s_wait_alu 0xfffe
	s_xor_b32 s9, exec_lo, s10
; %bb.207:                              ;   in Loop: Header=BB139_2 Depth=1
	v_lshlrev_b32_e32 v31, 3, v106
	ds_load_b64 v[31:32], v31 offset:8
; %bb.208:                              ;   in Loop: Header=BB139_2 Depth=1
	s_wait_alu 0xfffe
	s_or_saveexec_b32 s9, s9
	v_dual_mov_b32 v36, v28 :: v_dual_mov_b32 v35, v27
	s_wait_alu 0xfffe
	s_xor_b32 exec_lo, exec_lo, s9
	s_cbranch_execz .LBB139_210
; %bb.209:                              ;   in Loop: Header=BB139_2 Depth=1
	s_wait_dscnt 0x0
	v_lshlrev_b32_e32 v31, 3, v107
	ds_load_b64 v[35:36], v31 offset:8
	v_dual_mov_b32 v32, v26 :: v_dual_mov_b32 v31, v25
.LBB139_210:                            ;   in Loop: Header=BB139_2 Depth=1
	s_or_b32 exec_lo, exec_lo, s9
	v_add_nc_u32_e32 v37, 1, v106
	v_add_nc_u32_e32 v38, 1, v107
	s_wait_dscnt 0x0
	v_cmp_lt_i64_e64 s9, v[35:36], v[31:32]
	s_delay_alu instid0(VALU_DEP_3) | instskip(NEXT) | instid1(VALU_DEP_3)
	v_cndmask_b32_e64 v108, v37, v106, s8
	v_cndmask_b32_e64 v109, v107, v38, s8
                                        ; implicit-def: $vgpr37_vgpr38
	s_delay_alu instid0(VALU_DEP_2) | instskip(NEXT) | instid1(VALU_DEP_2)
	v_cmp_le_i32_e64 s10, 0x200, v108
	v_cmp_gt_i32_e64 s11, 0x400, v109
	s_or_b32 s9, s10, s9
	s_wait_alu 0xfffe
	s_and_b32 s9, s11, s9
	s_wait_alu 0xfffe
	s_xor_b32 s10, s9, -1
	s_wait_alu 0xfffe
	s_and_saveexec_b32 s11, s10
	s_wait_alu 0xfffe
	s_xor_b32 s10, exec_lo, s11
; %bb.211:                              ;   in Loop: Header=BB139_2 Depth=1
	v_lshlrev_b32_e32 v37, 3, v108
	ds_load_b64 v[37:38], v37 offset:8
; %bb.212:                              ;   in Loop: Header=BB139_2 Depth=1
	s_wait_alu 0xfffe
	s_or_saveexec_b32 s10, s10
	v_dual_mov_b32 v40, v36 :: v_dual_mov_b32 v39, v35
	s_wait_alu 0xfffe
	s_xor_b32 exec_lo, exec_lo, s10
	s_cbranch_execz .LBB139_214
; %bb.213:                              ;   in Loop: Header=BB139_2 Depth=1
	s_wait_dscnt 0x0
	v_lshlrev_b32_e32 v37, 3, v109
	ds_load_b64 v[39:40], v37 offset:8
	v_dual_mov_b32 v38, v32 :: v_dual_mov_b32 v37, v31
.LBB139_214:                            ;   in Loop: Header=BB139_2 Depth=1
	s_or_b32 exec_lo, exec_lo, s10
	v_add_nc_u32_e32 v41, 1, v108
	v_add_nc_u32_e32 v42, 1, v109
	s_wait_dscnt 0x0
	v_cmp_lt_i64_e64 s10, v[39:40], v[37:38]
	s_delay_alu instid0(VALU_DEP_3) | instskip(NEXT) | instid1(VALU_DEP_3)
	v_cndmask_b32_e64 v110, v41, v108, s9
	v_cndmask_b32_e64 v111, v109, v42, s9
                                        ; implicit-def: $vgpr41_vgpr42
	s_delay_alu instid0(VALU_DEP_2) | instskip(NEXT) | instid1(VALU_DEP_2)
	v_cmp_le_i32_e64 s11, 0x200, v110
	v_cmp_gt_i32_e64 s12, 0x400, v111
	s_or_b32 s10, s11, s10
	s_wait_alu 0xfffe
	s_and_b32 s10, s12, s10
	s_wait_alu 0xfffe
	s_xor_b32 s11, s10, -1
	s_wait_alu 0xfffe
	s_and_saveexec_b32 s12, s11
	s_wait_alu 0xfffe
	s_xor_b32 s11, exec_lo, s12
; %bb.215:                              ;   in Loop: Header=BB139_2 Depth=1
	v_lshlrev_b32_e32 v41, 3, v110
	ds_load_b64 v[41:42], v41 offset:8
; %bb.216:                              ;   in Loop: Header=BB139_2 Depth=1
	s_wait_alu 0xfffe
	s_or_saveexec_b32 s11, s11
	v_dual_mov_b32 v44, v40 :: v_dual_mov_b32 v43, v39
	s_wait_alu 0xfffe
	s_xor_b32 exec_lo, exec_lo, s11
	s_cbranch_execz .LBB139_218
; %bb.217:                              ;   in Loop: Header=BB139_2 Depth=1
	s_wait_dscnt 0x0
	v_lshlrev_b32_e32 v41, 3, v111
	ds_load_b64 v[43:44], v41 offset:8
	v_dual_mov_b32 v42, v38 :: v_dual_mov_b32 v41, v37
.LBB139_218:                            ;   in Loop: Header=BB139_2 Depth=1
	s_or_b32 exec_lo, exec_lo, s11
	v_add_nc_u32_e32 v45, 1, v110
	v_add_nc_u32_e32 v46, 1, v111
	s_wait_dscnt 0x0
	v_cmp_lt_i64_e64 s11, v[43:44], v[41:42]
	s_delay_alu instid0(VALU_DEP_3) | instskip(NEXT) | instid1(VALU_DEP_3)
	v_cndmask_b32_e64 v112, v45, v110, s10
	v_cndmask_b32_e64 v113, v111, v46, s10
                                        ; implicit-def: $vgpr45_vgpr46
	s_delay_alu instid0(VALU_DEP_2) | instskip(NEXT) | instid1(VALU_DEP_2)
	v_cmp_le_i32_e64 s12, 0x200, v112
	v_cmp_gt_i32_e64 s13, 0x400, v113
	s_or_b32 s11, s12, s11
	s_wait_alu 0xfffe
	s_and_b32 s11, s13, s11
	s_wait_alu 0xfffe
	s_xor_b32 s12, s11, -1
	s_wait_alu 0xfffe
	s_and_saveexec_b32 s13, s12
	s_wait_alu 0xfffe
	s_xor_b32 s12, exec_lo, s13
; %bb.219:                              ;   in Loop: Header=BB139_2 Depth=1
	v_lshlrev_b32_e32 v45, 3, v112
	ds_load_b64 v[45:46], v45 offset:8
; %bb.220:                              ;   in Loop: Header=BB139_2 Depth=1
	s_wait_alu 0xfffe
	s_or_saveexec_b32 s12, s12
	v_dual_mov_b32 v48, v44 :: v_dual_mov_b32 v47, v43
	s_wait_alu 0xfffe
	s_xor_b32 exec_lo, exec_lo, s12
	s_cbranch_execz .LBB139_222
; %bb.221:                              ;   in Loop: Header=BB139_2 Depth=1
	s_wait_dscnt 0x0
	v_lshlrev_b32_e32 v45, 3, v113
	ds_load_b64 v[47:48], v45 offset:8
	v_dual_mov_b32 v46, v42 :: v_dual_mov_b32 v45, v41
.LBB139_222:                            ;   in Loop: Header=BB139_2 Depth=1
	s_or_b32 exec_lo, exec_lo, s12
	v_add_nc_u32_e32 v49, 1, v112
	v_add_nc_u32_e32 v50, 1, v113
	s_wait_dscnt 0x0
	v_cmp_lt_i64_e64 s12, v[47:48], v[45:46]
                                        ; implicit-def: $vgpr116
	s_delay_alu instid0(VALU_DEP_3) | instskip(NEXT) | instid1(VALU_DEP_3)
	v_cndmask_b32_e64 v117, v49, v112, s11
	v_cndmask_b32_e64 v115, v113, v50, s11
                                        ; implicit-def: $vgpr49_vgpr50
	s_delay_alu instid0(VALU_DEP_2) | instskip(NEXT) | instid1(VALU_DEP_2)
	v_cmp_le_i32_e64 s13, 0x200, v117
	v_cmp_gt_i32_e64 s14, 0x400, v115
	s_or_b32 s12, s13, s12
	s_wait_alu 0xfffe
	s_and_b32 s12, s14, s12
	s_wait_alu 0xfffe
	s_xor_b32 s13, s12, -1
	s_wait_alu 0xfffe
	s_and_saveexec_b32 s14, s13
	s_wait_alu 0xfffe
	s_xor_b32 s13, exec_lo, s14
; %bb.223:                              ;   in Loop: Header=BB139_2 Depth=1
	v_lshlrev_b32_e32 v49, 3, v117
	v_add_nc_u32_e32 v116, 1, v117
	ds_load_b64 v[49:50], v49 offset:8
; %bb.224:                              ;   in Loop: Header=BB139_2 Depth=1
	s_wait_alu 0xfffe
	s_or_saveexec_b32 s13, s13
	v_mov_b32_e32 v52, v48
	v_dual_mov_b32 v114, v117 :: v_dual_mov_b32 v51, v47
	s_wait_alu 0xfffe
	s_xor_b32 exec_lo, exec_lo, s13
	s_cbranch_execz .LBB139_1
; %bb.225:                              ;   in Loop: Header=BB139_2 Depth=1
	s_wait_dscnt 0x0
	v_dual_mov_b32 v114, v115 :: v_dual_lshlrev_b32 v49, 3, v115
	v_mov_b32_e32 v116, v117
	ds_load_b64 v[51:52], v49 offset:8
	v_add_nc_u32_e32 v49, 1, v115
	s_delay_alu instid0(VALU_DEP_1)
	v_dual_mov_b32 v115, v49 :: v_dual_mov_b32 v50, v46
	v_mov_b32_e32 v49, v45
	s_branch .LBB139_1
.LBB139_226:
	s_wait_dscnt 0x7
	v_add_co_u32 v15, vcc_lo, v19, v15
	s_delay_alu instid0(VALU_DEP_1)
	v_add_co_ci_u32_e64 v16, null, v20, v16, vcc_lo
	s_wait_dscnt 0x6
	v_add_co_u32 v13, vcc_lo, v33, v13
	s_wait_alu 0xfffd
	v_add_co_ci_u32_e64 v14, null, v34, v14, vcc_lo
	s_wait_dscnt 0x5
	v_add_co_u32 v11, vcc_lo, v29, v11
	s_wait_alu 0xfffd
	;; [unrolled: 4-line block ×4, first 2 shown]
	v_add_co_ci_u32_e64 v8, null, v26, v8, vcc_lo
	s_wait_dscnt 0x2
	v_add_co_u32 v5, vcc_lo, v23, v5
	v_lshlrev_b32_e32 v19, 3, v0
	s_wait_alu 0xfffd
	v_add_co_ci_u32_e64 v6, null, v24, v6, vcc_lo
	s_wait_dscnt 0x1
	v_add_co_u32 v3, vcc_lo, v21, v3
	s_wait_alu 0xfffd
	v_add_co_ci_u32_e64 v4, null, v22, v4, vcc_lo
	s_add_nc_u64 s[0:1], s[46:47], s[48:49]
	s_wait_dscnt 0x0
	v_add_co_u32 v0, vcc_lo, v17, v1
	s_wait_alu 0xfffd
	v_add_co_ci_u32_e64 v1, null, v18, v2, vcc_lo
	s_clause 0x7
	global_store_b64 v19, v[15:16], s[0:1]
	global_store_b64 v19, v[13:14], s[0:1] offset:1024
	global_store_b64 v19, v[11:12], s[0:1] offset:2048
	;; [unrolled: 1-line block ×7, first 2 shown]
	s_nop 0
	s_sendmsg sendmsg(MSG_DEALLOC_VGPRS)
	s_endpgm
	.section	.rodata,"a",@progbits
	.p2align	6, 0x0
	.amdhsa_kernel _Z17sort_pairs_kernelIxLj128ELj8EN10test_utils4lessELj10EEvPKT_PS2_T2_
		.amdhsa_group_segment_fixed_size 8200
		.amdhsa_private_segment_fixed_size 0
		.amdhsa_kernarg_size 20
		.amdhsa_user_sgpr_count 2
		.amdhsa_user_sgpr_dispatch_ptr 0
		.amdhsa_user_sgpr_queue_ptr 0
		.amdhsa_user_sgpr_kernarg_segment_ptr 1
		.amdhsa_user_sgpr_dispatch_id 0
		.amdhsa_user_sgpr_private_segment_size 0
		.amdhsa_wavefront_size32 1
		.amdhsa_uses_dynamic_stack 0
		.amdhsa_enable_private_segment 0
		.amdhsa_system_sgpr_workgroup_id_x 1
		.amdhsa_system_sgpr_workgroup_id_y 0
		.amdhsa_system_sgpr_workgroup_id_z 0
		.amdhsa_system_sgpr_workgroup_info 0
		.amdhsa_system_vgpr_workitem_id 0
		.amdhsa_next_free_vgpr 118
		.amdhsa_next_free_sgpr 52
		.amdhsa_reserve_vcc 1
		.amdhsa_float_round_mode_32 0
		.amdhsa_float_round_mode_16_64 0
		.amdhsa_float_denorm_mode_32 3
		.amdhsa_float_denorm_mode_16_64 3
		.amdhsa_fp16_overflow 0
		.amdhsa_workgroup_processor_mode 1
		.amdhsa_memory_ordered 1
		.amdhsa_forward_progress 1
		.amdhsa_inst_pref_size 127
		.amdhsa_round_robin_scheduling 0
		.amdhsa_exception_fp_ieee_invalid_op 0
		.amdhsa_exception_fp_denorm_src 0
		.amdhsa_exception_fp_ieee_div_zero 0
		.amdhsa_exception_fp_ieee_overflow 0
		.amdhsa_exception_fp_ieee_underflow 0
		.amdhsa_exception_fp_ieee_inexact 0
		.amdhsa_exception_int_div_zero 0
	.end_amdhsa_kernel
	.section	.text._Z17sort_pairs_kernelIxLj128ELj8EN10test_utils4lessELj10EEvPKT_PS2_T2_,"axG",@progbits,_Z17sort_pairs_kernelIxLj128ELj8EN10test_utils4lessELj10EEvPKT_PS2_T2_,comdat
.Lfunc_end139:
	.size	_Z17sort_pairs_kernelIxLj128ELj8EN10test_utils4lessELj10EEvPKT_PS2_T2_, .Lfunc_end139-_Z17sort_pairs_kernelIxLj128ELj8EN10test_utils4lessELj10EEvPKT_PS2_T2_
                                        ; -- End function
	.set _Z17sort_pairs_kernelIxLj128ELj8EN10test_utils4lessELj10EEvPKT_PS2_T2_.num_vgpr, 118
	.set _Z17sort_pairs_kernelIxLj128ELj8EN10test_utils4lessELj10EEvPKT_PS2_T2_.num_agpr, 0
	.set _Z17sort_pairs_kernelIxLj128ELj8EN10test_utils4lessELj10EEvPKT_PS2_T2_.numbered_sgpr, 52
	.set _Z17sort_pairs_kernelIxLj128ELj8EN10test_utils4lessELj10EEvPKT_PS2_T2_.num_named_barrier, 0
	.set _Z17sort_pairs_kernelIxLj128ELj8EN10test_utils4lessELj10EEvPKT_PS2_T2_.private_seg_size, 0
	.set _Z17sort_pairs_kernelIxLj128ELj8EN10test_utils4lessELj10EEvPKT_PS2_T2_.uses_vcc, 1
	.set _Z17sort_pairs_kernelIxLj128ELj8EN10test_utils4lessELj10EEvPKT_PS2_T2_.uses_flat_scratch, 0
	.set _Z17sort_pairs_kernelIxLj128ELj8EN10test_utils4lessELj10EEvPKT_PS2_T2_.has_dyn_sized_stack, 0
	.set _Z17sort_pairs_kernelIxLj128ELj8EN10test_utils4lessELj10EEvPKT_PS2_T2_.has_recursion, 0
	.set _Z17sort_pairs_kernelIxLj128ELj8EN10test_utils4lessELj10EEvPKT_PS2_T2_.has_indirect_call, 0
	.section	.AMDGPU.csdata,"",@progbits
; Kernel info:
; codeLenInByte = 16168
; TotalNumSgprs: 54
; NumVgprs: 118
; ScratchSize: 0
; MemoryBound: 0
; FloatMode: 240
; IeeeMode: 1
; LDSByteSize: 8200 bytes/workgroup (compile time only)
; SGPRBlocks: 0
; VGPRBlocks: 14
; NumSGPRsForWavesPerEU: 54
; NumVGPRsForWavesPerEU: 118
; Occupancy: 12
; WaveLimiterHint : 1
; COMPUTE_PGM_RSRC2:SCRATCH_EN: 0
; COMPUTE_PGM_RSRC2:USER_SGPR: 2
; COMPUTE_PGM_RSRC2:TRAP_HANDLER: 0
; COMPUTE_PGM_RSRC2:TGID_X_EN: 1
; COMPUTE_PGM_RSRC2:TGID_Y_EN: 0
; COMPUTE_PGM_RSRC2:TGID_Z_EN: 0
; COMPUTE_PGM_RSRC2:TIDIG_COMP_CNT: 0
	.section	.text._Z16sort_keys_kernelIxLj256ELj1EN10test_utils4lessELj10EEvPKT_PS2_T2_,"axG",@progbits,_Z16sort_keys_kernelIxLj256ELj1EN10test_utils4lessELj10EEvPKT_PS2_T2_,comdat
	.protected	_Z16sort_keys_kernelIxLj256ELj1EN10test_utils4lessELj10EEvPKT_PS2_T2_ ; -- Begin function _Z16sort_keys_kernelIxLj256ELj1EN10test_utils4lessELj10EEvPKT_PS2_T2_
	.globl	_Z16sort_keys_kernelIxLj256ELj1EN10test_utils4lessELj10EEvPKT_PS2_T2_
	.p2align	8
	.type	_Z16sort_keys_kernelIxLj256ELj1EN10test_utils4lessELj10EEvPKT_PS2_T2_,@function
_Z16sort_keys_kernelIxLj256ELj1EN10test_utils4lessELj10EEvPKT_PS2_T2_: ; @_Z16sort_keys_kernelIxLj256ELj1EN10test_utils4lessELj10EEvPKT_PS2_T2_
; %bb.0:
	s_load_b128 s[8:11], s[0:1], 0x0
	s_lshl_b32 s12, ttmp9, 8
	s_mov_b32 s13, 0
	v_lshlrev_b32_e32 v3, 3, v0
	s_lshl_b64 s[14:15], s[12:13], 3
	v_and_b32_e32 v47, 1, v0
	v_and_b32_e32 v15, 0xfc, v0
	;; [unrolled: 1-line block ×8, first 2 shown]
	v_add_nc_u32_e32 v7, -1, v47
	v_or_b32_e32 v50, 2, v15
	v_add_nc_u32_e32 v6, 4, v15
	v_cmp_lt_i32_e32 vcc_lo, 0, v47
	v_or_b32_e32 v51, 4, v21
	v_add_nc_u32_e32 v12, 8, v21
	v_or_b32_e32 v53, 8, v27
	s_wait_kmcnt 0x0
	s_add_nc_u64 s[0:1], s[8:9], s[14:15]
	v_add_nc_u32_e32 v18, 16, v27
	global_load_b64 v[1:2], v3, s[0:1]
	v_or_b32_e32 v55, 16, v33
	v_add_nc_u32_e32 v24, 32, v33
	v_or_b32_e32 v57, 32, v40
	v_add_nc_u32_e32 v30, 64, v40
	;; [unrolled: 2-line block ×3, first 2 shown]
	v_or_b32_e32 v4, 1, v9
	v_dual_cndmask_b32 v7, 0, v7 :: v_dual_and_b32 v48, 3, v0
	v_sub_nc_u32_e32 v13, v6, v50
	v_and_b32_e32 v52, 7, v0
	v_sub_nc_u32_e32 v19, v12, v51
	v_and_b32_e32 v54, 15, v0
	;; [unrolled: 2-line block ×5, first 2 shown]
	v_sub_nc_u32_e32 v41, v34, v59
	v_sub_nc_u32_e32 v5, v4, v9
	;; [unrolled: 1-line block ×4, first 2 shown]
	v_cmp_ge_i32_e64 s0, v48, v13
	v_sub_nc_u32_e32 v20, v52, v19
	v_sub_nc_u32_e32 v17, v51, v21
	v_cmp_ge_i32_e64 s1, v52, v19
	v_sub_nc_u32_e32 v26, v54, v25
	v_sub_nc_u32_e32 v23, v53, v27
	;; [unrolled: 3-line block ×5, first 2 shown]
	v_cmp_ge_i32_e64 s5, v60, v41
	v_min_i32_e32 v8, v47, v5
	v_add_nc_u32_e32 v10, v4, v47
	v_cndmask_b32_e64 v13, 0, v14, s0
	v_min_i32_e32 v14, v48, v11
	v_cndmask_b32_e64 v19, 0, v20, s1
	v_min_i32_e32 v20, v52, v17
	v_add_nc_u32_e32 v22, v51, v52
	v_cndmask_b32_e64 v25, 0, v26, s2
	v_min_i32_e32 v26, v54, v23
	v_add_nc_u32_e32 v28, v53, v54
	v_cndmask_b32_e64 v31, 0, v32, s3
	v_min_i32_e32 v32, v56, v29
	v_cndmask_b32_e64 v36, 0, v37, s4
	v_min_i32_e32 v37, v58, v35
	v_add_nc_u32_e32 v38, v55, v56
	v_cndmask_b32_e64 v41, 0, v42, s5
	v_min_i32_e32 v42, v60, v39
	v_add_nc_u32_e32 v43, v57, v58
	v_subrev_nc_u32_e64 v45, 0x80, v0 clamp
	v_min_i32_e32 v46, 0x80, v0
	v_lshlrev_b32_e32 v49, 3, v47
	v_lshlrev_b32_e32 v61, 3, v48
	v_add_nc_u32_e32 v47, v59, v60
	v_lshlrev_b32_e32 v52, 3, v52
	v_lshlrev_b32_e32 v54, 3, v54
	;; [unrolled: 1-line block ×7, first 2 shown]
	v_cmp_lt_i32_e64 s0, v13, v14
	v_add_nc_u32_e32 v16, v50, v48
	v_lshlrev_b32_e32 v21, 3, v21
	v_cmp_lt_i32_e64 s1, v19, v20
	v_lshlrev_b32_e32 v27, 3, v27
	v_cmp_lt_i32_e64 s2, v25, v26
	;; [unrolled: 2-line block ×5, first 2 shown]
	v_cmp_lt_i32_e64 s6, v45, v46
	v_add_nc_u32_e32 v48, 0x80, v0
	v_lshl_add_u32 v49, v4, 3, v49
	v_lshl_add_u32 v50, v50, 3, v61
	;; [unrolled: 1-line block ×7, first 2 shown]
	v_add_nc_u32_e32 v56, 0x400, v3
	v_cmp_lt_i32_e32 vcc_lo, v7, v8
	s_branch .LBB140_2
.LBB140_1:                              ;   in Loop: Header=BB140_2 Depth=1
	s_or_b32 exec_lo, exec_lo, s8
	v_sub_nc_u32_e32 v2, v48, v1
	v_lshlrev_b32_e32 v57, 3, v1
	v_cmp_le_i32_e64 s8, 0x80, v1
	s_add_co_i32 s13, s13, 1
	v_lshlrev_b32_e32 v59, 3, v2
	v_cmp_gt_i32_e64 s9, 0x100, v2
	ds_load_b64 v[57:58], v57
	ds_load_b64 v[59:60], v59
	s_wait_dscnt 0x0
	v_cmp_lt_i64_e64 s7, v[59:60], v[57:58]
	s_or_b32 s7, s8, s7
	s_wait_alu 0xfffe
	s_and_b32 s7, s9, s7
	s_cmp_eq_u32 s13, 10
	s_wait_alu 0xfffe
	v_cndmask_b32_e64 v2, v58, v60, s7
	v_cndmask_b32_e64 v1, v57, v59, s7
	s_cbranch_scc1 .LBB140_34
.LBB140_2:                              ; =>This Loop Header: Depth=1
                                        ;     Child Loop BB140_4 Depth 2
                                        ;     Child Loop BB140_8 Depth 2
	;; [unrolled: 1-line block ×8, first 2 shown]
	s_wait_loadcnt 0x0
	s_barrier_signal -1
	s_barrier_wait -1
	global_inv scope:SCOPE_SE
	ds_store_b64 v3, v[1:2]
	v_mov_b32_e32 v1, v7
	s_wait_loadcnt_dscnt 0x0
	s_barrier_signal -1
	s_barrier_wait -1
	global_inv scope:SCOPE_SE
	s_and_saveexec_b32 s8, vcc_lo
	s_cbranch_execz .LBB140_6
; %bb.3:                                ;   in Loop: Header=BB140_2 Depth=1
	v_dual_mov_b32 v1, v7 :: v_dual_mov_b32 v2, v8
	s_mov_b32 s9, 0
.LBB140_4:                              ;   Parent Loop BB140_2 Depth=1
                                        ; =>  This Inner Loop Header: Depth=2
	s_delay_alu instid0(VALU_DEP_1) | instskip(NEXT) | instid1(VALU_DEP_1)
	v_sub_nc_u32_e32 v57, v2, v1
	v_lshrrev_b32_e32 v57, 1, v57
	s_delay_alu instid0(VALU_DEP_1) | instskip(NEXT) | instid1(VALU_DEP_1)
	v_add_nc_u32_e32 v61, v57, v1
	v_not_b32_e32 v57, v61
	v_lshl_add_u32 v58, v61, 3, v9
	s_delay_alu instid0(VALU_DEP_2)
	v_lshl_add_u32 v59, v57, 3, v49
	ds_load_b64 v[57:58], v58
	ds_load_b64 v[59:60], v59
	s_wait_dscnt 0x0
	v_cmp_lt_i64_e64 s7, v[59:60], v[57:58]
	v_add_nc_u32_e32 v57, 1, v61
	s_wait_alu 0xf1ff
	s_delay_alu instid0(VALU_DEP_2) | instskip(NEXT) | instid1(VALU_DEP_2)
	v_cndmask_b32_e64 v2, v2, v61, s7
	v_cndmask_b32_e64 v1, v57, v1, s7
	s_delay_alu instid0(VALU_DEP_1) | instskip(SKIP_1) | instid1(SALU_CYCLE_1)
	v_cmp_ge_i32_e64 s7, v1, v2
	s_or_b32 s9, s7, s9
	s_and_not1_b32 exec_lo, exec_lo, s9
	s_cbranch_execnz .LBB140_4
; %bb.5:                                ;   in Loop: Header=BB140_2 Depth=1
	s_or_b32 exec_lo, exec_lo, s9
.LBB140_6:                              ;   in Loop: Header=BB140_2 Depth=1
	s_delay_alu instid0(SALU_CYCLE_1) | instskip(SKIP_4) | instid1(VALU_DEP_4)
	s_or_b32 exec_lo, exec_lo, s8
	v_sub_nc_u32_e32 v2, v10, v1
	v_lshl_add_u32 v57, v1, 3, v9
	v_cmp_ge_i32_e64 s8, v1, v5
	v_mov_b32_e32 v1, v13
	v_lshlrev_b32_e32 v59, 3, v2
	v_cmp_ge_i32_e64 s9, v4, v2
	ds_load_b64 v[57:58], v57
	ds_load_b64 v[59:60], v59
	s_wait_loadcnt_dscnt 0x0
	s_barrier_signal -1
	s_barrier_wait -1
	global_inv scope:SCOPE_SE
	v_cmp_lt_i64_e64 s7, v[59:60], v[57:58]
	s_or_b32 s7, s8, s7
	s_wait_alu 0xfffe
	s_and_b32 s7, s9, s7
	s_wait_alu 0xfffe
	v_cndmask_b32_e64 v58, v58, v60, s7
	v_cndmask_b32_e64 v57, v57, v59, s7
	ds_store_b64 v3, v[57:58]
	s_wait_loadcnt_dscnt 0x0
	s_barrier_signal -1
	s_barrier_wait -1
	global_inv scope:SCOPE_SE
	s_and_saveexec_b32 s8, s0
	s_cbranch_execz .LBB140_10
; %bb.7:                                ;   in Loop: Header=BB140_2 Depth=1
	v_dual_mov_b32 v1, v13 :: v_dual_mov_b32 v2, v14
	s_mov_b32 s9, 0
.LBB140_8:                              ;   Parent Loop BB140_2 Depth=1
                                        ; =>  This Inner Loop Header: Depth=2
	s_delay_alu instid0(VALU_DEP_1) | instskip(NEXT) | instid1(VALU_DEP_1)
	v_sub_nc_u32_e32 v57, v2, v1
	v_lshrrev_b32_e32 v57, 1, v57
	s_delay_alu instid0(VALU_DEP_1) | instskip(NEXT) | instid1(VALU_DEP_1)
	v_add_nc_u32_e32 v61, v57, v1
	v_not_b32_e32 v57, v61
	v_lshl_add_u32 v58, v61, 3, v15
	s_delay_alu instid0(VALU_DEP_2)
	v_lshl_add_u32 v59, v57, 3, v50
	ds_load_b64 v[57:58], v58
	ds_load_b64 v[59:60], v59
	s_wait_dscnt 0x0
	v_cmp_lt_i64_e64 s7, v[59:60], v[57:58]
	v_add_nc_u32_e32 v57, 1, v61
	s_wait_alu 0xf1ff
	s_delay_alu instid0(VALU_DEP_2) | instskip(NEXT) | instid1(VALU_DEP_2)
	v_cndmask_b32_e64 v2, v2, v61, s7
	v_cndmask_b32_e64 v1, v57, v1, s7
	s_delay_alu instid0(VALU_DEP_1) | instskip(SKIP_1) | instid1(SALU_CYCLE_1)
	v_cmp_ge_i32_e64 s7, v1, v2
	s_or_b32 s9, s7, s9
	s_and_not1_b32 exec_lo, exec_lo, s9
	s_cbranch_execnz .LBB140_8
; %bb.9:                                ;   in Loop: Header=BB140_2 Depth=1
	s_or_b32 exec_lo, exec_lo, s9
.LBB140_10:                             ;   in Loop: Header=BB140_2 Depth=1
	s_delay_alu instid0(SALU_CYCLE_1) | instskip(SKIP_4) | instid1(VALU_DEP_4)
	s_or_b32 exec_lo, exec_lo, s8
	v_sub_nc_u32_e32 v2, v16, v1
	v_lshl_add_u32 v57, v1, 3, v15
	v_cmp_ge_i32_e64 s8, v1, v11
	v_mov_b32_e32 v1, v19
	v_lshlrev_b32_e32 v59, 3, v2
	v_cmp_gt_i32_e64 s9, v6, v2
	ds_load_b64 v[57:58], v57
	ds_load_b64 v[59:60], v59
	s_wait_loadcnt_dscnt 0x0
	s_barrier_signal -1
	s_barrier_wait -1
	global_inv scope:SCOPE_SE
	v_cmp_lt_i64_e64 s7, v[59:60], v[57:58]
	s_or_b32 s7, s8, s7
	s_wait_alu 0xfffe
	s_and_b32 s7, s9, s7
	s_wait_alu 0xfffe
	v_cndmask_b32_e64 v58, v58, v60, s7
	v_cndmask_b32_e64 v57, v57, v59, s7
	ds_store_b64 v3, v[57:58]
	s_wait_loadcnt_dscnt 0x0
	s_barrier_signal -1
	s_barrier_wait -1
	global_inv scope:SCOPE_SE
	s_and_saveexec_b32 s8, s1
	s_cbranch_execz .LBB140_14
; %bb.11:                               ;   in Loop: Header=BB140_2 Depth=1
	v_dual_mov_b32 v1, v19 :: v_dual_mov_b32 v2, v20
	s_mov_b32 s9, 0
.LBB140_12:                             ;   Parent Loop BB140_2 Depth=1
                                        ; =>  This Inner Loop Header: Depth=2
	s_delay_alu instid0(VALU_DEP_1) | instskip(NEXT) | instid1(VALU_DEP_1)
	v_sub_nc_u32_e32 v57, v2, v1
	v_lshrrev_b32_e32 v57, 1, v57
	s_delay_alu instid0(VALU_DEP_1) | instskip(NEXT) | instid1(VALU_DEP_1)
	v_add_nc_u32_e32 v61, v57, v1
	v_not_b32_e32 v57, v61
	v_lshl_add_u32 v58, v61, 3, v21
	s_delay_alu instid0(VALU_DEP_2)
	v_lshl_add_u32 v59, v57, 3, v51
	ds_load_b64 v[57:58], v58
	ds_load_b64 v[59:60], v59
	s_wait_dscnt 0x0
	v_cmp_lt_i64_e64 s7, v[59:60], v[57:58]
	v_add_nc_u32_e32 v57, 1, v61
	s_wait_alu 0xf1ff
	s_delay_alu instid0(VALU_DEP_2) | instskip(NEXT) | instid1(VALU_DEP_2)
	v_cndmask_b32_e64 v2, v2, v61, s7
	v_cndmask_b32_e64 v1, v57, v1, s7
	s_delay_alu instid0(VALU_DEP_1) | instskip(SKIP_1) | instid1(SALU_CYCLE_1)
	v_cmp_ge_i32_e64 s7, v1, v2
	s_or_b32 s9, s7, s9
	s_and_not1_b32 exec_lo, exec_lo, s9
	s_cbranch_execnz .LBB140_12
; %bb.13:                               ;   in Loop: Header=BB140_2 Depth=1
	s_or_b32 exec_lo, exec_lo, s9
.LBB140_14:                             ;   in Loop: Header=BB140_2 Depth=1
	s_delay_alu instid0(SALU_CYCLE_1) | instskip(SKIP_4) | instid1(VALU_DEP_4)
	s_or_b32 exec_lo, exec_lo, s8
	v_sub_nc_u32_e32 v2, v22, v1
	v_lshl_add_u32 v57, v1, 3, v21
	v_cmp_ge_i32_e64 s8, v1, v17
	v_mov_b32_e32 v1, v25
	v_lshlrev_b32_e32 v59, 3, v2
	v_cmp_gt_i32_e64 s9, v12, v2
	ds_load_b64 v[57:58], v57
	ds_load_b64 v[59:60], v59
	s_wait_loadcnt_dscnt 0x0
	s_barrier_signal -1
	s_barrier_wait -1
	global_inv scope:SCOPE_SE
	v_cmp_lt_i64_e64 s7, v[59:60], v[57:58]
	s_or_b32 s7, s8, s7
	s_wait_alu 0xfffe
	s_and_b32 s7, s9, s7
	s_wait_alu 0xfffe
	v_cndmask_b32_e64 v58, v58, v60, s7
	v_cndmask_b32_e64 v57, v57, v59, s7
	ds_store_b64 v3, v[57:58]
	s_wait_loadcnt_dscnt 0x0
	s_barrier_signal -1
	s_barrier_wait -1
	global_inv scope:SCOPE_SE
	s_and_saveexec_b32 s8, s2
	s_cbranch_execz .LBB140_18
; %bb.15:                               ;   in Loop: Header=BB140_2 Depth=1
	v_dual_mov_b32 v1, v25 :: v_dual_mov_b32 v2, v26
	s_mov_b32 s9, 0
.LBB140_16:                             ;   Parent Loop BB140_2 Depth=1
                                        ; =>  This Inner Loop Header: Depth=2
	s_delay_alu instid0(VALU_DEP_1) | instskip(NEXT) | instid1(VALU_DEP_1)
	v_sub_nc_u32_e32 v57, v2, v1
	v_lshrrev_b32_e32 v57, 1, v57
	s_delay_alu instid0(VALU_DEP_1) | instskip(NEXT) | instid1(VALU_DEP_1)
	v_add_nc_u32_e32 v61, v57, v1
	v_not_b32_e32 v57, v61
	v_lshl_add_u32 v58, v61, 3, v27
	s_delay_alu instid0(VALU_DEP_2)
	v_lshl_add_u32 v59, v57, 3, v52
	ds_load_b64 v[57:58], v58
	ds_load_b64 v[59:60], v59
	s_wait_dscnt 0x0
	v_cmp_lt_i64_e64 s7, v[59:60], v[57:58]
	v_add_nc_u32_e32 v57, 1, v61
	s_wait_alu 0xf1ff
	s_delay_alu instid0(VALU_DEP_2) | instskip(NEXT) | instid1(VALU_DEP_2)
	v_cndmask_b32_e64 v2, v2, v61, s7
	v_cndmask_b32_e64 v1, v57, v1, s7
	s_delay_alu instid0(VALU_DEP_1) | instskip(SKIP_1) | instid1(SALU_CYCLE_1)
	v_cmp_ge_i32_e64 s7, v1, v2
	s_or_b32 s9, s7, s9
	s_and_not1_b32 exec_lo, exec_lo, s9
	s_cbranch_execnz .LBB140_16
; %bb.17:                               ;   in Loop: Header=BB140_2 Depth=1
	s_or_b32 exec_lo, exec_lo, s9
.LBB140_18:                             ;   in Loop: Header=BB140_2 Depth=1
	;; [unrolled: 59-line block ×5, first 2 shown]
	s_delay_alu instid0(SALU_CYCLE_1) | instskip(SKIP_4) | instid1(VALU_DEP_4)
	s_or_b32 exec_lo, exec_lo, s8
	v_sub_nc_u32_e32 v2, v47, v1
	v_lshl_add_u32 v57, v1, 3, v44
	v_cmp_ge_i32_e64 s8, v1, v39
	v_mov_b32_e32 v1, v45
	v_lshlrev_b32_e32 v59, 3, v2
	v_cmp_gt_i32_e64 s9, v34, v2
	ds_load_b64 v[57:58], v57
	ds_load_b64 v[59:60], v59
	s_wait_loadcnt_dscnt 0x0
	s_barrier_signal -1
	s_barrier_wait -1
	global_inv scope:SCOPE_SE
	v_cmp_lt_i64_e64 s7, v[59:60], v[57:58]
	s_or_b32 s7, s8, s7
	s_wait_alu 0xfffe
	s_and_b32 s7, s9, s7
	s_wait_alu 0xfffe
	v_cndmask_b32_e64 v58, v58, v60, s7
	v_cndmask_b32_e64 v57, v57, v59, s7
	ds_store_b64 v3, v[57:58]
	s_wait_loadcnt_dscnt 0x0
	s_barrier_signal -1
	s_barrier_wait -1
	global_inv scope:SCOPE_SE
	s_and_saveexec_b32 s8, s6
	s_cbranch_execz .LBB140_1
; %bb.31:                               ;   in Loop: Header=BB140_2 Depth=1
	v_dual_mov_b32 v1, v45 :: v_dual_mov_b32 v2, v46
	s_mov_b32 s9, 0
.LBB140_32:                             ;   Parent Loop BB140_2 Depth=1
                                        ; =>  This Inner Loop Header: Depth=2
	s_delay_alu instid0(VALU_DEP_1) | instskip(NEXT) | instid1(VALU_DEP_1)
	v_sub_nc_u32_e32 v57, v2, v1
	v_lshrrev_b32_e32 v57, 1, v57
	s_delay_alu instid0(VALU_DEP_1) | instskip(NEXT) | instid1(VALU_DEP_1)
	v_add_nc_u32_e32 v61, v57, v1
	v_not_b32_e32 v57, v61
	v_lshlrev_b32_e32 v58, 3, v61
	s_delay_alu instid0(VALU_DEP_2)
	v_lshl_add_u32 v59, v57, 3, v56
	ds_load_b64 v[57:58], v58
	ds_load_b64 v[59:60], v59
	s_wait_dscnt 0x0
	v_cmp_lt_i64_e64 s7, v[59:60], v[57:58]
	v_add_nc_u32_e32 v57, 1, v61
	s_wait_alu 0xf1ff
	s_delay_alu instid0(VALU_DEP_2) | instskip(NEXT) | instid1(VALU_DEP_2)
	v_cndmask_b32_e64 v2, v2, v61, s7
	v_cndmask_b32_e64 v1, v57, v1, s7
	s_delay_alu instid0(VALU_DEP_1) | instskip(SKIP_1) | instid1(SALU_CYCLE_1)
	v_cmp_ge_i32_e64 s7, v1, v2
	s_or_b32 s9, s7, s9
	s_and_not1_b32 exec_lo, exec_lo, s9
	s_cbranch_execnz .LBB140_32
; %bb.33:                               ;   in Loop: Header=BB140_2 Depth=1
	s_or_b32 exec_lo, exec_lo, s9
	s_branch .LBB140_1
.LBB140_34:
	v_lshlrev_b32_e32 v0, 3, v0
	s_add_nc_u64 s[0:1], s[10:11], s[14:15]
	global_store_b64 v0, v[1:2], s[0:1]
	s_endpgm
	.section	.rodata,"a",@progbits
	.p2align	6, 0x0
	.amdhsa_kernel _Z16sort_keys_kernelIxLj256ELj1EN10test_utils4lessELj10EEvPKT_PS2_T2_
		.amdhsa_group_segment_fixed_size 2056
		.amdhsa_private_segment_fixed_size 0
		.amdhsa_kernarg_size 20
		.amdhsa_user_sgpr_count 2
		.amdhsa_user_sgpr_dispatch_ptr 0
		.amdhsa_user_sgpr_queue_ptr 0
		.amdhsa_user_sgpr_kernarg_segment_ptr 1
		.amdhsa_user_sgpr_dispatch_id 0
		.amdhsa_user_sgpr_private_segment_size 0
		.amdhsa_wavefront_size32 1
		.amdhsa_uses_dynamic_stack 0
		.amdhsa_enable_private_segment 0
		.amdhsa_system_sgpr_workgroup_id_x 1
		.amdhsa_system_sgpr_workgroup_id_y 0
		.amdhsa_system_sgpr_workgroup_id_z 0
		.amdhsa_system_sgpr_workgroup_info 0
		.amdhsa_system_vgpr_workitem_id 0
		.amdhsa_next_free_vgpr 62
		.amdhsa_next_free_sgpr 16
		.amdhsa_reserve_vcc 1
		.amdhsa_float_round_mode_32 0
		.amdhsa_float_round_mode_16_64 0
		.amdhsa_float_denorm_mode_32 3
		.amdhsa_float_denorm_mode_16_64 3
		.amdhsa_fp16_overflow 0
		.amdhsa_workgroup_processor_mode 1
		.amdhsa_memory_ordered 1
		.amdhsa_forward_progress 1
		.amdhsa_inst_pref_size 25
		.amdhsa_round_robin_scheduling 0
		.amdhsa_exception_fp_ieee_invalid_op 0
		.amdhsa_exception_fp_denorm_src 0
		.amdhsa_exception_fp_ieee_div_zero 0
		.amdhsa_exception_fp_ieee_overflow 0
		.amdhsa_exception_fp_ieee_underflow 0
		.amdhsa_exception_fp_ieee_inexact 0
		.amdhsa_exception_int_div_zero 0
	.end_amdhsa_kernel
	.section	.text._Z16sort_keys_kernelIxLj256ELj1EN10test_utils4lessELj10EEvPKT_PS2_T2_,"axG",@progbits,_Z16sort_keys_kernelIxLj256ELj1EN10test_utils4lessELj10EEvPKT_PS2_T2_,comdat
.Lfunc_end140:
	.size	_Z16sort_keys_kernelIxLj256ELj1EN10test_utils4lessELj10EEvPKT_PS2_T2_, .Lfunc_end140-_Z16sort_keys_kernelIxLj256ELj1EN10test_utils4lessELj10EEvPKT_PS2_T2_
                                        ; -- End function
	.set _Z16sort_keys_kernelIxLj256ELj1EN10test_utils4lessELj10EEvPKT_PS2_T2_.num_vgpr, 62
	.set _Z16sort_keys_kernelIxLj256ELj1EN10test_utils4lessELj10EEvPKT_PS2_T2_.num_agpr, 0
	.set _Z16sort_keys_kernelIxLj256ELj1EN10test_utils4lessELj10EEvPKT_PS2_T2_.numbered_sgpr, 16
	.set _Z16sort_keys_kernelIxLj256ELj1EN10test_utils4lessELj10EEvPKT_PS2_T2_.num_named_barrier, 0
	.set _Z16sort_keys_kernelIxLj256ELj1EN10test_utils4lessELj10EEvPKT_PS2_T2_.private_seg_size, 0
	.set _Z16sort_keys_kernelIxLj256ELj1EN10test_utils4lessELj10EEvPKT_PS2_T2_.uses_vcc, 1
	.set _Z16sort_keys_kernelIxLj256ELj1EN10test_utils4lessELj10EEvPKT_PS2_T2_.uses_flat_scratch, 0
	.set _Z16sort_keys_kernelIxLj256ELj1EN10test_utils4lessELj10EEvPKT_PS2_T2_.has_dyn_sized_stack, 0
	.set _Z16sort_keys_kernelIxLj256ELj1EN10test_utils4lessELj10EEvPKT_PS2_T2_.has_recursion, 0
	.set _Z16sort_keys_kernelIxLj256ELj1EN10test_utils4lessELj10EEvPKT_PS2_T2_.has_indirect_call, 0
	.section	.AMDGPU.csdata,"",@progbits
; Kernel info:
; codeLenInByte = 3112
; TotalNumSgprs: 18
; NumVgprs: 62
; ScratchSize: 0
; MemoryBound: 0
; FloatMode: 240
; IeeeMode: 1
; LDSByteSize: 2056 bytes/workgroup (compile time only)
; SGPRBlocks: 0
; VGPRBlocks: 7
; NumSGPRsForWavesPerEU: 18
; NumVGPRsForWavesPerEU: 62
; Occupancy: 16
; WaveLimiterHint : 0
; COMPUTE_PGM_RSRC2:SCRATCH_EN: 0
; COMPUTE_PGM_RSRC2:USER_SGPR: 2
; COMPUTE_PGM_RSRC2:TRAP_HANDLER: 0
; COMPUTE_PGM_RSRC2:TGID_X_EN: 1
; COMPUTE_PGM_RSRC2:TGID_Y_EN: 0
; COMPUTE_PGM_RSRC2:TGID_Z_EN: 0
; COMPUTE_PGM_RSRC2:TIDIG_COMP_CNT: 0
	.section	.text._Z17sort_pairs_kernelIxLj256ELj1EN10test_utils4lessELj10EEvPKT_PS2_T2_,"axG",@progbits,_Z17sort_pairs_kernelIxLj256ELj1EN10test_utils4lessELj10EEvPKT_PS2_T2_,comdat
	.protected	_Z17sort_pairs_kernelIxLj256ELj1EN10test_utils4lessELj10EEvPKT_PS2_T2_ ; -- Begin function _Z17sort_pairs_kernelIxLj256ELj1EN10test_utils4lessELj10EEvPKT_PS2_T2_
	.globl	_Z17sort_pairs_kernelIxLj256ELj1EN10test_utils4lessELj10EEvPKT_PS2_T2_
	.p2align	8
	.type	_Z17sort_pairs_kernelIxLj256ELj1EN10test_utils4lessELj10EEvPKT_PS2_T2_,@function
_Z17sort_pairs_kernelIxLj256ELj1EN10test_utils4lessELj10EEvPKT_PS2_T2_: ; @_Z17sort_pairs_kernelIxLj256ELj1EN10test_utils4lessELj10EEvPKT_PS2_T2_
; %bb.0:
	s_load_b128 s[8:11], s[0:1], 0x0
	s_lshl_b32 s14, ttmp9, 8
	s_mov_b32 s15, 0
	v_lshlrev_b32_e32 v5, 3, v0
	s_lshl_b64 s[12:13], s[14:15], 3
	v_and_b32_e32 v6, 0xfe, v0
	v_and_b32_e32 v7, 0xfc, v0
	;; [unrolled: 1-line block ×5, first 2 shown]
	v_or_b32_e32 v16, 1, v6
	v_or_b32_e32 v18, 2, v7
	v_add_nc_u32_e32 v19, 4, v7
	v_and_b32_e32 v9, 0xf0, v0
	v_or_b32_e32 v21, 4, v8
	v_add_nc_u32_e32 v22, 8, v8
	v_sub_nc_u32_e32 v51, v16, v6
	v_sub_nc_u32_e32 v58, v19, v18
	v_and_b32_e32 v59, 7, v0
	v_and_b32_e32 v10, 0xe0, v0
	s_wait_kmcnt 0x0
	s_add_nc_u64 s[0:1], s[8:9], s[12:13]
	v_add_nc_u32_e32 v36, -1, v3
	global_load_b64 v[1:2], v5, s[0:1]
	v_or_b32_e32 v24, 8, v9
	v_add_nc_u32_e32 v25, 16, v9
	v_lshlrev_b32_e32 v44, 3, v3
	v_cmp_lt_i32_e64 s0, 0, v3
	v_add_nc_u32_e32 v37, v16, v3
	v_sub_nc_u32_e32 v64, v22, v21
	v_min_i32_e32 v51, v3, v51
	v_sub_nc_u32_e32 v3, v4, v58
	v_cmp_ge_i32_e64 s1, v4, v58
	v_and_b32_e32 v60, 15, v0
	v_and_b32_e32 v11, 0xc0, v0
	v_or_b32_e32 v27, 16, v10
	v_add_nc_u32_e32 v28, 32, v10
	v_sub_nc_u32_e32 v53, v21, v8
	v_sub_nc_u32_e32 v65, v25, v24
	;; [unrolled: 1-line block ×3, first 2 shown]
	v_cndmask_b32_e64 v58, 0, v3, s1
	v_cmp_ge_i32_e64 s1, v59, v64
	v_and_b32_e32 v61, 31, v0
	v_and_b32_e32 v12, 0x80, v0
	v_or_b32_e32 v30, 32, v11
	v_add_nc_u32_e32 v31, 64, v11
	v_lshlrev_b32_e32 v46, 3, v59
	v_add_nc_u32_e32 v39, v21, v59
	v_sub_nc_u32_e32 v54, v24, v9
	v_sub_nc_u32_e32 v66, v28, v27
	v_min_i32_e32 v53, v59, v53
	v_sub_nc_u32_e32 v70, v60, v65
	s_wait_alu 0xf1ff
	v_cndmask_b32_e64 v59, 0, v69, s1
	v_cmp_ge_i32_e64 s1, v60, v65
	v_and_b32_e32 v62, 63, v0
	v_or_b32_e32 v33, 64, v12
	v_add_nc_u32_e32 v34, 0x80, v12
	v_lshlrev_b32_e32 v47, 3, v60
	v_add_nc_u32_e32 v40, v24, v60
	v_sub_nc_u32_e32 v55, v27, v10
	v_sub_nc_u32_e32 v67, v31, v30
	v_min_i32_e32 v54, v60, v54
	v_sub_nc_u32_e32 v71, v61, v66
	s_wait_alu 0xf1ff
	v_cndmask_b32_e64 v60, 0, v70, s1
	v_cmp_ge_i32_e64 s1, v61, v66
	v_and_b32_e32 v63, 0x7f, v0
	v_lshlrev_b32_e32 v48, 3, v61
	v_add_nc_u32_e32 v41, v27, v61
	v_sub_nc_u32_e32 v56, v30, v11
	v_sub_nc_u32_e32 v68, v34, v33
	v_min_i32_e32 v55, v61, v55
	v_sub_nc_u32_e32 v72, v62, v67
	s_wait_alu 0xf1ff
	v_cndmask_b32_e64 v61, 0, v71, s1
	v_cmp_ge_i32_e64 s1, v62, v67
	v_lshlrev_b32_e32 v49, 3, v62
	v_sub_nc_u32_e32 v52, v18, v7
	v_add_nc_u32_e32 v42, v30, v62
	v_sub_nc_u32_e32 v57, v33, v12
	v_min_i32_e32 v56, v62, v56
	v_sub_nc_u32_e32 v73, v63, v68
	s_wait_alu 0xf1ff
	v_cndmask_b32_e64 v62, 0, v72, s1
	v_cmp_ge_i32_e64 s1, v63, v68
	v_lshlrev_b32_e32 v45, 3, v4
	v_lshlrev_b32_e32 v50, 3, v63
	v_cndmask_b32_e64 v36, 0, v36, s0
	v_add_nc_u32_e32 v43, v33, v63
	v_min_i32_e32 v52, v4, v52
	v_min_i32_e32 v57, v63, v57
	s_wait_alu 0xf1ff
	v_cndmask_b32_e64 v63, 0, v73, s1
	v_subrev_nc_u32_e64 v13, 0x80, v0 clamp
	v_min_i32_e32 v14, 0x80, v0
	v_add_nc_u32_e32 v15, 0x80, v0
	v_lshlrev_b32_e32 v17, 3, v6
	v_lshlrev_b32_e32 v20, 3, v7
	;; [unrolled: 1-line block ×7, first 2 shown]
	v_add_nc_u32_e32 v38, v18, v4
	v_lshl_add_u32 v44, v16, 3, v44
	v_lshl_add_u32 v45, v18, 3, v45
	;; [unrolled: 1-line block ×7, first 2 shown]
	v_cmp_lt_i32_e64 s0, v36, v51
	v_cmp_lt_i32_e64 s1, v58, v52
	v_cmp_lt_i32_e64 s2, v59, v53
	v_cmp_lt_i32_e64 s3, v60, v54
	v_cmp_lt_i32_e64 s4, v61, v55
	v_cmp_lt_i32_e64 s5, v62, v56
	v_cmp_lt_i32_e64 s6, v63, v57
	v_add_nc_u32_e32 v64, 0x400, v5
	v_cmp_lt_i32_e32 vcc_lo, v13, v14
	s_wait_loadcnt 0x0
	v_add_co_u32 v3, s7, v1, 1
	s_delay_alu instid0(VALU_DEP_1)
	v_add_co_ci_u32_e64 v4, null, 0, v2, s7
	s_branch .LBB141_2
.LBB141_1:                              ;   in Loop: Header=BB141_2 Depth=1
	s_or_b32 exec_lo, exec_lo, s8
	v_sub_nc_u32_e32 v69, v15, v1
	v_lshlrev_b32_e32 v2, 3, v1
	v_cmp_le_i32_e64 s8, 0x80, v1
	s_add_co_i32 s15, s15, 1
	v_lshlrev_b32_e32 v67, 3, v69
	v_cmp_gt_i32_e64 s9, 0x100, v69
	ds_load_b64 v[65:66], v2
	ds_load_b64 v[67:68], v67
	s_wait_loadcnt_dscnt 0x0
	s_barrier_signal -1
	s_barrier_wait -1
	global_inv scope:SCOPE_SE
	ds_store_b64 v5, v[3:4]
	s_wait_loadcnt_dscnt 0x0
	s_barrier_signal -1
	s_barrier_wait -1
	global_inv scope:SCOPE_SE
	v_cmp_lt_i64_e64 s7, v[67:68], v[65:66]
	s_or_b32 s7, s8, s7
	s_wait_alu 0xfffe
	s_and_b32 s7, s9, s7
	s_cmp_eq_u32 s15, 10
	s_wait_alu 0xfffe
	v_cndmask_b32_e64 v1, v1, v69, s7
	v_cndmask_b32_e64 v2, v66, v68, s7
	s_delay_alu instid0(VALU_DEP_2)
	v_lshlrev_b32_e32 v1, 3, v1
	ds_load_b64 v[3:4], v1
	v_cndmask_b32_e64 v1, v65, v67, s7
	s_cbranch_scc1 .LBB141_34
.LBB141_2:                              ; =>This Loop Header: Depth=1
                                        ;     Child Loop BB141_4 Depth 2
                                        ;     Child Loop BB141_8 Depth 2
	;; [unrolled: 1-line block ×8, first 2 shown]
	s_barrier_signal -1
	s_barrier_wait -1
	global_inv scope:SCOPE_SE
	ds_store_b64 v5, v[1:2]
	v_mov_b32_e32 v1, v36
	s_wait_loadcnt_dscnt 0x0
	s_barrier_signal -1
	s_barrier_wait -1
	global_inv scope:SCOPE_SE
	s_and_saveexec_b32 s8, s0
	s_cbranch_execz .LBB141_6
; %bb.3:                                ;   in Loop: Header=BB141_2 Depth=1
	v_dual_mov_b32 v1, v36 :: v_dual_mov_b32 v2, v51
	s_mov_b32 s9, 0
.LBB141_4:                              ;   Parent Loop BB141_2 Depth=1
                                        ; =>  This Inner Loop Header: Depth=2
	s_delay_alu instid0(VALU_DEP_1) | instskip(NEXT) | instid1(VALU_DEP_1)
	v_sub_nc_u32_e32 v65, v2, v1
	v_lshrrev_b32_e32 v65, 1, v65
	s_delay_alu instid0(VALU_DEP_1) | instskip(NEXT) | instid1(VALU_DEP_1)
	v_add_nc_u32_e32 v69, v65, v1
	v_not_b32_e32 v65, v69
	v_lshl_add_u32 v66, v69, 3, v17
	s_delay_alu instid0(VALU_DEP_2)
	v_lshl_add_u32 v67, v65, 3, v44
	ds_load_b64 v[65:66], v66
	ds_load_b64 v[67:68], v67
	s_wait_dscnt 0x0
	v_cmp_lt_i64_e64 s7, v[67:68], v[65:66]
	v_add_nc_u32_e32 v65, 1, v69
	s_wait_alu 0xf1ff
	s_delay_alu instid0(VALU_DEP_2) | instskip(NEXT) | instid1(VALU_DEP_2)
	v_cndmask_b32_e64 v2, v2, v69, s7
	v_cndmask_b32_e64 v1, v65, v1, s7
	s_delay_alu instid0(VALU_DEP_1) | instskip(SKIP_1) | instid1(SALU_CYCLE_1)
	v_cmp_ge_i32_e64 s7, v1, v2
	s_or_b32 s9, s7, s9
	s_and_not1_b32 exec_lo, exec_lo, s9
	s_cbranch_execnz .LBB141_4
; %bb.5:                                ;   in Loop: Header=BB141_2 Depth=1
	s_or_b32 exec_lo, exec_lo, s9
.LBB141_6:                              ;   in Loop: Header=BB141_2 Depth=1
	s_delay_alu instid0(SALU_CYCLE_1) | instskip(SKIP_3) | instid1(VALU_DEP_3)
	s_or_b32 exec_lo, exec_lo, s8
	v_sub_nc_u32_e32 v2, v37, v1
	v_lshl_add_u32 v65, v1, 3, v17
	v_add_nc_u32_e32 v1, v1, v6
	v_lshlrev_b32_e32 v67, 3, v2
	v_cmp_ge_i32_e64 s9, v16, v2
	s_delay_alu instid0(VALU_DEP_3)
	v_cmp_le_i32_e64 s8, v16, v1
	ds_load_b64 v[65:66], v65
	ds_load_b64 v[67:68], v67
	s_wait_loadcnt_dscnt 0x0
	s_barrier_signal -1
	s_barrier_wait -1
	global_inv scope:SCOPE_SE
	ds_store_b64 v5, v[3:4]
	s_wait_loadcnt_dscnt 0x0
	s_barrier_signal -1
	s_barrier_wait -1
	global_inv scope:SCOPE_SE
	v_mov_b32_e32 v3, v58
	v_cmp_lt_i64_e64 s7, v[67:68], v[65:66]
	s_or_b32 s7, s8, s7
	s_wait_alu 0xfffe
	s_and_b32 s7, s9, s7
	s_wait_alu 0xfffe
	v_cndmask_b32_e64 v1, v1, v2, s7
	v_cndmask_b32_e64 v66, v66, v68, s7
	;; [unrolled: 1-line block ×3, first 2 shown]
	s_delay_alu instid0(VALU_DEP_3)
	v_lshlrev_b32_e32 v1, 3, v1
	ds_load_b64 v[1:2], v1
	s_wait_loadcnt_dscnt 0x0
	s_barrier_signal -1
	s_barrier_wait -1
	global_inv scope:SCOPE_SE
	ds_store_b64 v5, v[65:66]
	s_wait_loadcnt_dscnt 0x0
	s_barrier_signal -1
	s_barrier_wait -1
	global_inv scope:SCOPE_SE
	s_and_saveexec_b32 s8, s1
	s_cbranch_execz .LBB141_10
; %bb.7:                                ;   in Loop: Header=BB141_2 Depth=1
	v_dual_mov_b32 v3, v58 :: v_dual_mov_b32 v4, v52
	s_mov_b32 s9, 0
.LBB141_8:                              ;   Parent Loop BB141_2 Depth=1
                                        ; =>  This Inner Loop Header: Depth=2
	s_delay_alu instid0(VALU_DEP_1) | instskip(NEXT) | instid1(VALU_DEP_1)
	v_sub_nc_u32_e32 v65, v4, v3
	v_lshrrev_b32_e32 v65, 1, v65
	s_delay_alu instid0(VALU_DEP_1) | instskip(NEXT) | instid1(VALU_DEP_1)
	v_add_nc_u32_e32 v69, v65, v3
	v_not_b32_e32 v65, v69
	v_lshl_add_u32 v66, v69, 3, v20
	s_delay_alu instid0(VALU_DEP_2)
	v_lshl_add_u32 v67, v65, 3, v45
	ds_load_b64 v[65:66], v66
	ds_load_b64 v[67:68], v67
	s_wait_dscnt 0x0
	v_cmp_lt_i64_e64 s7, v[67:68], v[65:66]
	v_add_nc_u32_e32 v65, 1, v69
	s_wait_alu 0xf1ff
	s_delay_alu instid0(VALU_DEP_2) | instskip(NEXT) | instid1(VALU_DEP_2)
	v_cndmask_b32_e64 v4, v4, v69, s7
	v_cndmask_b32_e64 v3, v65, v3, s7
	s_delay_alu instid0(VALU_DEP_1) | instskip(SKIP_1) | instid1(SALU_CYCLE_1)
	v_cmp_ge_i32_e64 s7, v3, v4
	s_or_b32 s9, s7, s9
	s_and_not1_b32 exec_lo, exec_lo, s9
	s_cbranch_execnz .LBB141_8
; %bb.9:                                ;   in Loop: Header=BB141_2 Depth=1
	s_or_b32 exec_lo, exec_lo, s9
.LBB141_10:                             ;   in Loop: Header=BB141_2 Depth=1
	s_delay_alu instid0(SALU_CYCLE_1) | instskip(SKIP_3) | instid1(VALU_DEP_3)
	s_or_b32 exec_lo, exec_lo, s8
	v_sub_nc_u32_e32 v69, v38, v3
	v_lshl_add_u32 v4, v3, 3, v20
	v_add_nc_u32_e32 v3, v3, v7
	v_lshlrev_b32_e32 v67, 3, v69
	v_cmp_gt_i32_e64 s9, v19, v69
	s_delay_alu instid0(VALU_DEP_3)
	v_cmp_le_i32_e64 s8, v18, v3
	ds_load_b64 v[65:66], v4
	ds_load_b64 v[67:68], v67
	s_wait_loadcnt_dscnt 0x0
	s_barrier_signal -1
	s_barrier_wait -1
	global_inv scope:SCOPE_SE
	ds_store_b64 v5, v[1:2]
	s_wait_loadcnt_dscnt 0x0
	s_barrier_signal -1
	s_barrier_wait -1
	global_inv scope:SCOPE_SE
	v_cmp_lt_i64_e64 s7, v[67:68], v[65:66]
	s_or_b32 s7, s8, s7
	s_wait_alu 0xfffe
	s_and_b32 s7, s9, s7
	s_wait_alu 0xfffe
	v_cndmask_b32_e64 v3, v3, v69, s7
	v_cndmask_b32_e64 v4, v66, v68, s7
	s_delay_alu instid0(VALU_DEP_2)
	v_lshlrev_b32_e32 v1, 3, v3
	v_cndmask_b32_e64 v3, v65, v67, s7
	ds_load_b64 v[1:2], v1
	s_wait_loadcnt_dscnt 0x0
	s_barrier_signal -1
	s_barrier_wait -1
	global_inv scope:SCOPE_SE
	ds_store_b64 v5, v[3:4]
	v_mov_b32_e32 v3, v59
	s_wait_loadcnt_dscnt 0x0
	s_barrier_signal -1
	s_barrier_wait -1
	global_inv scope:SCOPE_SE
	s_and_saveexec_b32 s8, s2
	s_cbranch_execz .LBB141_14
; %bb.11:                               ;   in Loop: Header=BB141_2 Depth=1
	v_dual_mov_b32 v3, v59 :: v_dual_mov_b32 v4, v53
	s_mov_b32 s9, 0
.LBB141_12:                             ;   Parent Loop BB141_2 Depth=1
                                        ; =>  This Inner Loop Header: Depth=2
	s_delay_alu instid0(VALU_DEP_1) | instskip(NEXT) | instid1(VALU_DEP_1)
	v_sub_nc_u32_e32 v65, v4, v3
	v_lshrrev_b32_e32 v65, 1, v65
	s_delay_alu instid0(VALU_DEP_1) | instskip(NEXT) | instid1(VALU_DEP_1)
	v_add_nc_u32_e32 v69, v65, v3
	v_not_b32_e32 v65, v69
	v_lshl_add_u32 v66, v69, 3, v23
	s_delay_alu instid0(VALU_DEP_2)
	v_lshl_add_u32 v67, v65, 3, v46
	ds_load_b64 v[65:66], v66
	ds_load_b64 v[67:68], v67
	s_wait_dscnt 0x0
	v_cmp_lt_i64_e64 s7, v[67:68], v[65:66]
	v_add_nc_u32_e32 v65, 1, v69
	s_wait_alu 0xf1ff
	s_delay_alu instid0(VALU_DEP_2) | instskip(NEXT) | instid1(VALU_DEP_2)
	v_cndmask_b32_e64 v4, v4, v69, s7
	v_cndmask_b32_e64 v3, v65, v3, s7
	s_delay_alu instid0(VALU_DEP_1) | instskip(SKIP_1) | instid1(SALU_CYCLE_1)
	v_cmp_ge_i32_e64 s7, v3, v4
	s_or_b32 s9, s7, s9
	s_and_not1_b32 exec_lo, exec_lo, s9
	s_cbranch_execnz .LBB141_12
; %bb.13:                               ;   in Loop: Header=BB141_2 Depth=1
	s_or_b32 exec_lo, exec_lo, s9
.LBB141_14:                             ;   in Loop: Header=BB141_2 Depth=1
	s_delay_alu instid0(SALU_CYCLE_1) | instskip(SKIP_3) | instid1(VALU_DEP_3)
	s_or_b32 exec_lo, exec_lo, s8
	v_sub_nc_u32_e32 v69, v39, v3
	v_lshl_add_u32 v4, v3, 3, v23
	v_add_nc_u32_e32 v3, v3, v8
	v_lshlrev_b32_e32 v67, 3, v69
	v_cmp_gt_i32_e64 s9, v22, v69
	s_delay_alu instid0(VALU_DEP_3)
	v_cmp_le_i32_e64 s8, v21, v3
	ds_load_b64 v[65:66], v4
	ds_load_b64 v[67:68], v67
	s_wait_loadcnt_dscnt 0x0
	s_barrier_signal -1
	s_barrier_wait -1
	global_inv scope:SCOPE_SE
	ds_store_b64 v5, v[1:2]
	s_wait_loadcnt_dscnt 0x0
	s_barrier_signal -1
	s_barrier_wait -1
	global_inv scope:SCOPE_SE
	v_cmp_lt_i64_e64 s7, v[67:68], v[65:66]
	s_or_b32 s7, s8, s7
	s_wait_alu 0xfffe
	s_and_b32 s7, s9, s7
	s_wait_alu 0xfffe
	v_cndmask_b32_e64 v3, v3, v69, s7
	v_cndmask_b32_e64 v4, v66, v68, s7
	s_delay_alu instid0(VALU_DEP_2)
	v_lshlrev_b32_e32 v1, 3, v3
	v_cndmask_b32_e64 v3, v65, v67, s7
	ds_load_b64 v[1:2], v1
	s_wait_loadcnt_dscnt 0x0
	s_barrier_signal -1
	s_barrier_wait -1
	global_inv scope:SCOPE_SE
	ds_store_b64 v5, v[3:4]
	v_mov_b32_e32 v3, v60
	s_wait_loadcnt_dscnt 0x0
	s_barrier_signal -1
	s_barrier_wait -1
	global_inv scope:SCOPE_SE
	s_and_saveexec_b32 s8, s3
	s_cbranch_execz .LBB141_18
; %bb.15:                               ;   in Loop: Header=BB141_2 Depth=1
	v_dual_mov_b32 v3, v60 :: v_dual_mov_b32 v4, v54
	s_mov_b32 s9, 0
.LBB141_16:                             ;   Parent Loop BB141_2 Depth=1
                                        ; =>  This Inner Loop Header: Depth=2
	s_delay_alu instid0(VALU_DEP_1) | instskip(NEXT) | instid1(VALU_DEP_1)
	v_sub_nc_u32_e32 v65, v4, v3
	v_lshrrev_b32_e32 v65, 1, v65
	s_delay_alu instid0(VALU_DEP_1) | instskip(NEXT) | instid1(VALU_DEP_1)
	v_add_nc_u32_e32 v69, v65, v3
	v_not_b32_e32 v65, v69
	v_lshl_add_u32 v66, v69, 3, v26
	s_delay_alu instid0(VALU_DEP_2)
	v_lshl_add_u32 v67, v65, 3, v47
	ds_load_b64 v[65:66], v66
	ds_load_b64 v[67:68], v67
	s_wait_dscnt 0x0
	v_cmp_lt_i64_e64 s7, v[67:68], v[65:66]
	v_add_nc_u32_e32 v65, 1, v69
	s_wait_alu 0xf1ff
	s_delay_alu instid0(VALU_DEP_2) | instskip(NEXT) | instid1(VALU_DEP_2)
	v_cndmask_b32_e64 v4, v4, v69, s7
	v_cndmask_b32_e64 v3, v65, v3, s7
	s_delay_alu instid0(VALU_DEP_1) | instskip(SKIP_1) | instid1(SALU_CYCLE_1)
	v_cmp_ge_i32_e64 s7, v3, v4
	s_or_b32 s9, s7, s9
	s_and_not1_b32 exec_lo, exec_lo, s9
	s_cbranch_execnz .LBB141_16
; %bb.17:                               ;   in Loop: Header=BB141_2 Depth=1
	s_or_b32 exec_lo, exec_lo, s9
.LBB141_18:                             ;   in Loop: Header=BB141_2 Depth=1
	s_delay_alu instid0(SALU_CYCLE_1) | instskip(SKIP_3) | instid1(VALU_DEP_3)
	s_or_b32 exec_lo, exec_lo, s8
	v_sub_nc_u32_e32 v69, v40, v3
	v_lshl_add_u32 v4, v3, 3, v26
	v_add_nc_u32_e32 v3, v3, v9
	v_lshlrev_b32_e32 v67, 3, v69
	v_cmp_gt_i32_e64 s9, v25, v69
	s_delay_alu instid0(VALU_DEP_3)
	v_cmp_le_i32_e64 s8, v24, v3
	ds_load_b64 v[65:66], v4
	ds_load_b64 v[67:68], v67
	s_wait_loadcnt_dscnt 0x0
	s_barrier_signal -1
	s_barrier_wait -1
	global_inv scope:SCOPE_SE
	ds_store_b64 v5, v[1:2]
	s_wait_loadcnt_dscnt 0x0
	s_barrier_signal -1
	s_barrier_wait -1
	global_inv scope:SCOPE_SE
	v_cmp_lt_i64_e64 s7, v[67:68], v[65:66]
	s_or_b32 s7, s8, s7
	s_wait_alu 0xfffe
	s_and_b32 s7, s9, s7
	s_wait_alu 0xfffe
	v_cndmask_b32_e64 v3, v3, v69, s7
	v_cndmask_b32_e64 v4, v66, v68, s7
	s_delay_alu instid0(VALU_DEP_2)
	v_lshlrev_b32_e32 v1, 3, v3
	v_cndmask_b32_e64 v3, v65, v67, s7
	ds_load_b64 v[1:2], v1
	s_wait_loadcnt_dscnt 0x0
	s_barrier_signal -1
	s_barrier_wait -1
	global_inv scope:SCOPE_SE
	ds_store_b64 v5, v[3:4]
	v_mov_b32_e32 v3, v61
	s_wait_loadcnt_dscnt 0x0
	s_barrier_signal -1
	s_barrier_wait -1
	global_inv scope:SCOPE_SE
	s_and_saveexec_b32 s8, s4
	s_cbranch_execz .LBB141_22
; %bb.19:                               ;   in Loop: Header=BB141_2 Depth=1
	v_dual_mov_b32 v3, v61 :: v_dual_mov_b32 v4, v55
	s_mov_b32 s9, 0
.LBB141_20:                             ;   Parent Loop BB141_2 Depth=1
                                        ; =>  This Inner Loop Header: Depth=2
	s_delay_alu instid0(VALU_DEP_1) | instskip(NEXT) | instid1(VALU_DEP_1)
	v_sub_nc_u32_e32 v65, v4, v3
	v_lshrrev_b32_e32 v65, 1, v65
	s_delay_alu instid0(VALU_DEP_1) | instskip(NEXT) | instid1(VALU_DEP_1)
	v_add_nc_u32_e32 v69, v65, v3
	v_not_b32_e32 v65, v69
	v_lshl_add_u32 v66, v69, 3, v29
	s_delay_alu instid0(VALU_DEP_2)
	v_lshl_add_u32 v67, v65, 3, v48
	ds_load_b64 v[65:66], v66
	ds_load_b64 v[67:68], v67
	s_wait_dscnt 0x0
	v_cmp_lt_i64_e64 s7, v[67:68], v[65:66]
	v_add_nc_u32_e32 v65, 1, v69
	s_wait_alu 0xf1ff
	s_delay_alu instid0(VALU_DEP_2) | instskip(NEXT) | instid1(VALU_DEP_2)
	v_cndmask_b32_e64 v4, v4, v69, s7
	v_cndmask_b32_e64 v3, v65, v3, s7
	s_delay_alu instid0(VALU_DEP_1) | instskip(SKIP_1) | instid1(SALU_CYCLE_1)
	v_cmp_ge_i32_e64 s7, v3, v4
	s_or_b32 s9, s7, s9
	s_and_not1_b32 exec_lo, exec_lo, s9
	s_cbranch_execnz .LBB141_20
; %bb.21:                               ;   in Loop: Header=BB141_2 Depth=1
	s_or_b32 exec_lo, exec_lo, s9
.LBB141_22:                             ;   in Loop: Header=BB141_2 Depth=1
	s_delay_alu instid0(SALU_CYCLE_1) | instskip(SKIP_3) | instid1(VALU_DEP_3)
	s_or_b32 exec_lo, exec_lo, s8
	v_sub_nc_u32_e32 v69, v41, v3
	v_lshl_add_u32 v4, v3, 3, v29
	v_add_nc_u32_e32 v3, v3, v10
	v_lshlrev_b32_e32 v67, 3, v69
	v_cmp_gt_i32_e64 s9, v28, v69
	s_delay_alu instid0(VALU_DEP_3)
	v_cmp_le_i32_e64 s8, v27, v3
	ds_load_b64 v[65:66], v4
	ds_load_b64 v[67:68], v67
	s_wait_loadcnt_dscnt 0x0
	s_barrier_signal -1
	s_barrier_wait -1
	global_inv scope:SCOPE_SE
	ds_store_b64 v5, v[1:2]
	s_wait_loadcnt_dscnt 0x0
	s_barrier_signal -1
	s_barrier_wait -1
	global_inv scope:SCOPE_SE
	v_cmp_lt_i64_e64 s7, v[67:68], v[65:66]
	s_or_b32 s7, s8, s7
	s_wait_alu 0xfffe
	s_and_b32 s7, s9, s7
	s_wait_alu 0xfffe
	v_cndmask_b32_e64 v3, v3, v69, s7
	v_cndmask_b32_e64 v4, v66, v68, s7
	s_delay_alu instid0(VALU_DEP_2)
	v_lshlrev_b32_e32 v1, 3, v3
	v_cndmask_b32_e64 v3, v65, v67, s7
	ds_load_b64 v[1:2], v1
	s_wait_loadcnt_dscnt 0x0
	s_barrier_signal -1
	s_barrier_wait -1
	global_inv scope:SCOPE_SE
	ds_store_b64 v5, v[3:4]
	v_mov_b32_e32 v3, v62
	s_wait_loadcnt_dscnt 0x0
	s_barrier_signal -1
	s_barrier_wait -1
	global_inv scope:SCOPE_SE
	s_and_saveexec_b32 s8, s5
	s_cbranch_execz .LBB141_26
; %bb.23:                               ;   in Loop: Header=BB141_2 Depth=1
	v_dual_mov_b32 v3, v62 :: v_dual_mov_b32 v4, v56
	s_mov_b32 s9, 0
.LBB141_24:                             ;   Parent Loop BB141_2 Depth=1
                                        ; =>  This Inner Loop Header: Depth=2
	s_delay_alu instid0(VALU_DEP_1) | instskip(NEXT) | instid1(VALU_DEP_1)
	v_sub_nc_u32_e32 v65, v4, v3
	v_lshrrev_b32_e32 v65, 1, v65
	s_delay_alu instid0(VALU_DEP_1) | instskip(NEXT) | instid1(VALU_DEP_1)
	v_add_nc_u32_e32 v69, v65, v3
	v_not_b32_e32 v65, v69
	v_lshl_add_u32 v66, v69, 3, v32
	s_delay_alu instid0(VALU_DEP_2)
	v_lshl_add_u32 v67, v65, 3, v49
	ds_load_b64 v[65:66], v66
	ds_load_b64 v[67:68], v67
	s_wait_dscnt 0x0
	v_cmp_lt_i64_e64 s7, v[67:68], v[65:66]
	v_add_nc_u32_e32 v65, 1, v69
	s_wait_alu 0xf1ff
	s_delay_alu instid0(VALU_DEP_2) | instskip(NEXT) | instid1(VALU_DEP_2)
	v_cndmask_b32_e64 v4, v4, v69, s7
	v_cndmask_b32_e64 v3, v65, v3, s7
	s_delay_alu instid0(VALU_DEP_1) | instskip(SKIP_1) | instid1(SALU_CYCLE_1)
	v_cmp_ge_i32_e64 s7, v3, v4
	s_or_b32 s9, s7, s9
	s_and_not1_b32 exec_lo, exec_lo, s9
	s_cbranch_execnz .LBB141_24
; %bb.25:                               ;   in Loop: Header=BB141_2 Depth=1
	s_or_b32 exec_lo, exec_lo, s9
.LBB141_26:                             ;   in Loop: Header=BB141_2 Depth=1
	s_delay_alu instid0(SALU_CYCLE_1) | instskip(SKIP_3) | instid1(VALU_DEP_3)
	s_or_b32 exec_lo, exec_lo, s8
	v_sub_nc_u32_e32 v69, v42, v3
	v_lshl_add_u32 v4, v3, 3, v32
	v_add_nc_u32_e32 v3, v3, v11
	v_lshlrev_b32_e32 v67, 3, v69
	v_cmp_gt_i32_e64 s9, v31, v69
	s_delay_alu instid0(VALU_DEP_3)
	v_cmp_le_i32_e64 s8, v30, v3
	ds_load_b64 v[65:66], v4
	ds_load_b64 v[67:68], v67
	s_wait_loadcnt_dscnt 0x0
	s_barrier_signal -1
	s_barrier_wait -1
	global_inv scope:SCOPE_SE
	ds_store_b64 v5, v[1:2]
	s_wait_loadcnt_dscnt 0x0
	s_barrier_signal -1
	s_barrier_wait -1
	global_inv scope:SCOPE_SE
	v_cmp_lt_i64_e64 s7, v[67:68], v[65:66]
	s_or_b32 s7, s8, s7
	s_wait_alu 0xfffe
	s_and_b32 s7, s9, s7
	s_wait_alu 0xfffe
	v_cndmask_b32_e64 v3, v3, v69, s7
	v_cndmask_b32_e64 v4, v66, v68, s7
	s_delay_alu instid0(VALU_DEP_2)
	v_lshlrev_b32_e32 v1, 3, v3
	v_cndmask_b32_e64 v3, v65, v67, s7
	ds_load_b64 v[1:2], v1
	s_wait_loadcnt_dscnt 0x0
	s_barrier_signal -1
	s_barrier_wait -1
	global_inv scope:SCOPE_SE
	ds_store_b64 v5, v[3:4]
	v_mov_b32_e32 v3, v63
	s_wait_loadcnt_dscnt 0x0
	s_barrier_signal -1
	s_barrier_wait -1
	global_inv scope:SCOPE_SE
	s_and_saveexec_b32 s8, s6
	s_cbranch_execz .LBB141_30
; %bb.27:                               ;   in Loop: Header=BB141_2 Depth=1
	v_dual_mov_b32 v3, v63 :: v_dual_mov_b32 v4, v57
	s_mov_b32 s9, 0
.LBB141_28:                             ;   Parent Loop BB141_2 Depth=1
                                        ; =>  This Inner Loop Header: Depth=2
	s_delay_alu instid0(VALU_DEP_1) | instskip(NEXT) | instid1(VALU_DEP_1)
	v_sub_nc_u32_e32 v65, v4, v3
	v_lshrrev_b32_e32 v65, 1, v65
	s_delay_alu instid0(VALU_DEP_1) | instskip(NEXT) | instid1(VALU_DEP_1)
	v_add_nc_u32_e32 v69, v65, v3
	v_not_b32_e32 v65, v69
	v_lshl_add_u32 v66, v69, 3, v35
	s_delay_alu instid0(VALU_DEP_2)
	v_lshl_add_u32 v67, v65, 3, v50
	ds_load_b64 v[65:66], v66
	ds_load_b64 v[67:68], v67
	s_wait_dscnt 0x0
	v_cmp_lt_i64_e64 s7, v[67:68], v[65:66]
	v_add_nc_u32_e32 v65, 1, v69
	s_wait_alu 0xf1ff
	s_delay_alu instid0(VALU_DEP_2) | instskip(NEXT) | instid1(VALU_DEP_2)
	v_cndmask_b32_e64 v4, v4, v69, s7
	v_cndmask_b32_e64 v3, v65, v3, s7
	s_delay_alu instid0(VALU_DEP_1) | instskip(SKIP_1) | instid1(SALU_CYCLE_1)
	v_cmp_ge_i32_e64 s7, v3, v4
	s_or_b32 s9, s7, s9
	s_and_not1_b32 exec_lo, exec_lo, s9
	s_cbranch_execnz .LBB141_28
; %bb.29:                               ;   in Loop: Header=BB141_2 Depth=1
	s_or_b32 exec_lo, exec_lo, s9
.LBB141_30:                             ;   in Loop: Header=BB141_2 Depth=1
	s_delay_alu instid0(SALU_CYCLE_1) | instskip(SKIP_3) | instid1(VALU_DEP_3)
	s_or_b32 exec_lo, exec_lo, s8
	v_sub_nc_u32_e32 v4, v43, v3
	v_lshl_add_u32 v65, v3, 3, v35
	v_add_nc_u32_e32 v3, v3, v12
	v_lshlrev_b32_e32 v67, 3, v4
	v_cmp_gt_i32_e64 s9, v34, v4
	s_delay_alu instid0(VALU_DEP_3)
	v_cmp_le_i32_e64 s8, v33, v3
	ds_load_b64 v[65:66], v65
	ds_load_b64 v[67:68], v67
	s_wait_loadcnt_dscnt 0x0
	s_barrier_signal -1
	s_barrier_wait -1
	global_inv scope:SCOPE_SE
	ds_store_b64 v5, v[1:2]
	s_wait_loadcnt_dscnt 0x0
	s_barrier_signal -1
	s_barrier_wait -1
	global_inv scope:SCOPE_SE
	v_cmp_lt_i64_e64 s7, v[67:68], v[65:66]
	s_or_b32 s7, s8, s7
	s_wait_alu 0xfffe
	s_and_b32 s7, s9, s7
	s_wait_alu 0xfffe
	v_cndmask_b32_e64 v3, v3, v4, s7
	v_cndmask_b32_e64 v66, v66, v68, s7
	v_cndmask_b32_e64 v65, v65, v67, s7
	s_delay_alu instid0(VALU_DEP_3)
	v_lshlrev_b32_e32 v1, 3, v3
	ds_load_b64 v[3:4], v1
	v_mov_b32_e32 v1, v13
	s_wait_loadcnt_dscnt 0x0
	s_barrier_signal -1
	s_barrier_wait -1
	global_inv scope:SCOPE_SE
	ds_store_b64 v5, v[65:66]
	s_wait_loadcnt_dscnt 0x0
	s_barrier_signal -1
	s_barrier_wait -1
	global_inv scope:SCOPE_SE
	s_and_saveexec_b32 s8, vcc_lo
	s_cbranch_execz .LBB141_1
; %bb.31:                               ;   in Loop: Header=BB141_2 Depth=1
	v_dual_mov_b32 v1, v13 :: v_dual_mov_b32 v2, v14
	s_mov_b32 s9, 0
.LBB141_32:                             ;   Parent Loop BB141_2 Depth=1
                                        ; =>  This Inner Loop Header: Depth=2
	s_delay_alu instid0(VALU_DEP_1) | instskip(NEXT) | instid1(VALU_DEP_1)
	v_sub_nc_u32_e32 v65, v2, v1
	v_lshrrev_b32_e32 v65, 1, v65
	s_delay_alu instid0(VALU_DEP_1) | instskip(NEXT) | instid1(VALU_DEP_1)
	v_add_nc_u32_e32 v69, v65, v1
	v_not_b32_e32 v65, v69
	v_lshlrev_b32_e32 v66, 3, v69
	s_delay_alu instid0(VALU_DEP_2)
	v_lshl_add_u32 v67, v65, 3, v64
	ds_load_b64 v[65:66], v66
	ds_load_b64 v[67:68], v67
	s_wait_dscnt 0x0
	v_cmp_lt_i64_e64 s7, v[67:68], v[65:66]
	v_add_nc_u32_e32 v65, 1, v69
	s_wait_alu 0xf1ff
	s_delay_alu instid0(VALU_DEP_2) | instskip(NEXT) | instid1(VALU_DEP_2)
	v_cndmask_b32_e64 v2, v2, v69, s7
	v_cndmask_b32_e64 v1, v65, v1, s7
	s_delay_alu instid0(VALU_DEP_1) | instskip(SKIP_1) | instid1(SALU_CYCLE_1)
	v_cmp_ge_i32_e64 s7, v1, v2
	s_or_b32 s9, s7, s9
	s_and_not1_b32 exec_lo, exec_lo, s9
	s_cbranch_execnz .LBB141_32
; %bb.33:                               ;   in Loop: Header=BB141_2 Depth=1
	s_or_b32 exec_lo, exec_lo, s9
	s_branch .LBB141_1
.LBB141_34:
	s_wait_dscnt 0x0
	s_delay_alu instid0(VALU_DEP_1) | instskip(NEXT) | instid1(VALU_DEP_1)
	v_add_co_u32 v1, vcc_lo, v1, v3
	v_add_co_ci_u32_e64 v2, null, v2, v4, vcc_lo
	v_lshlrev_b32_e32 v0, 3, v0
	s_add_nc_u64 s[0:1], s[10:11], s[12:13]
	global_store_b64 v0, v[1:2], s[0:1]
	s_endpgm
	.section	.rodata,"a",@progbits
	.p2align	6, 0x0
	.amdhsa_kernel _Z17sort_pairs_kernelIxLj256ELj1EN10test_utils4lessELj10EEvPKT_PS2_T2_
		.amdhsa_group_segment_fixed_size 2056
		.amdhsa_private_segment_fixed_size 0
		.amdhsa_kernarg_size 20
		.amdhsa_user_sgpr_count 2
		.amdhsa_user_sgpr_dispatch_ptr 0
		.amdhsa_user_sgpr_queue_ptr 0
		.amdhsa_user_sgpr_kernarg_segment_ptr 1
		.amdhsa_user_sgpr_dispatch_id 0
		.amdhsa_user_sgpr_private_segment_size 0
		.amdhsa_wavefront_size32 1
		.amdhsa_uses_dynamic_stack 0
		.amdhsa_enable_private_segment 0
		.amdhsa_system_sgpr_workgroup_id_x 1
		.amdhsa_system_sgpr_workgroup_id_y 0
		.amdhsa_system_sgpr_workgroup_id_z 0
		.amdhsa_system_sgpr_workgroup_info 0
		.amdhsa_system_vgpr_workitem_id 0
		.amdhsa_next_free_vgpr 74
		.amdhsa_next_free_sgpr 16
		.amdhsa_reserve_vcc 1
		.amdhsa_float_round_mode_32 0
		.amdhsa_float_round_mode_16_64 0
		.amdhsa_float_denorm_mode_32 3
		.amdhsa_float_denorm_mode_16_64 3
		.amdhsa_fp16_overflow 0
		.amdhsa_workgroup_processor_mode 1
		.amdhsa_memory_ordered 1
		.amdhsa_forward_progress 1
		.amdhsa_inst_pref_size 31
		.amdhsa_round_robin_scheduling 0
		.amdhsa_exception_fp_ieee_invalid_op 0
		.amdhsa_exception_fp_denorm_src 0
		.amdhsa_exception_fp_ieee_div_zero 0
		.amdhsa_exception_fp_ieee_overflow 0
		.amdhsa_exception_fp_ieee_underflow 0
		.amdhsa_exception_fp_ieee_inexact 0
		.amdhsa_exception_int_div_zero 0
	.end_amdhsa_kernel
	.section	.text._Z17sort_pairs_kernelIxLj256ELj1EN10test_utils4lessELj10EEvPKT_PS2_T2_,"axG",@progbits,_Z17sort_pairs_kernelIxLj256ELj1EN10test_utils4lessELj10EEvPKT_PS2_T2_,comdat
.Lfunc_end141:
	.size	_Z17sort_pairs_kernelIxLj256ELj1EN10test_utils4lessELj10EEvPKT_PS2_T2_, .Lfunc_end141-_Z17sort_pairs_kernelIxLj256ELj1EN10test_utils4lessELj10EEvPKT_PS2_T2_
                                        ; -- End function
	.set _Z17sort_pairs_kernelIxLj256ELj1EN10test_utils4lessELj10EEvPKT_PS2_T2_.num_vgpr, 74
	.set _Z17sort_pairs_kernelIxLj256ELj1EN10test_utils4lessELj10EEvPKT_PS2_T2_.num_agpr, 0
	.set _Z17sort_pairs_kernelIxLj256ELj1EN10test_utils4lessELj10EEvPKT_PS2_T2_.numbered_sgpr, 16
	.set _Z17sort_pairs_kernelIxLj256ELj1EN10test_utils4lessELj10EEvPKT_PS2_T2_.num_named_barrier, 0
	.set _Z17sort_pairs_kernelIxLj256ELj1EN10test_utils4lessELj10EEvPKT_PS2_T2_.private_seg_size, 0
	.set _Z17sort_pairs_kernelIxLj256ELj1EN10test_utils4lessELj10EEvPKT_PS2_T2_.uses_vcc, 1
	.set _Z17sort_pairs_kernelIxLj256ELj1EN10test_utils4lessELj10EEvPKT_PS2_T2_.uses_flat_scratch, 0
	.set _Z17sort_pairs_kernelIxLj256ELj1EN10test_utils4lessELj10EEvPKT_PS2_T2_.has_dyn_sized_stack, 0
	.set _Z17sort_pairs_kernelIxLj256ELj1EN10test_utils4lessELj10EEvPKT_PS2_T2_.has_recursion, 0
	.set _Z17sort_pairs_kernelIxLj256ELj1EN10test_utils4lessELj10EEvPKT_PS2_T2_.has_indirect_call, 0
	.section	.AMDGPU.csdata,"",@progbits
; Kernel info:
; codeLenInByte = 3876
; TotalNumSgprs: 18
; NumVgprs: 74
; ScratchSize: 0
; MemoryBound: 0
; FloatMode: 240
; IeeeMode: 1
; LDSByteSize: 2056 bytes/workgroup (compile time only)
; SGPRBlocks: 0
; VGPRBlocks: 9
; NumSGPRsForWavesPerEU: 18
; NumVGPRsForWavesPerEU: 74
; Occupancy: 16
; WaveLimiterHint : 0
; COMPUTE_PGM_RSRC2:SCRATCH_EN: 0
; COMPUTE_PGM_RSRC2:USER_SGPR: 2
; COMPUTE_PGM_RSRC2:TRAP_HANDLER: 0
; COMPUTE_PGM_RSRC2:TGID_X_EN: 1
; COMPUTE_PGM_RSRC2:TGID_Y_EN: 0
; COMPUTE_PGM_RSRC2:TGID_Z_EN: 0
; COMPUTE_PGM_RSRC2:TIDIG_COMP_CNT: 0
	.section	.text._Z16sort_keys_kernelIxLj256ELj2EN10test_utils4lessELj10EEvPKT_PS2_T2_,"axG",@progbits,_Z16sort_keys_kernelIxLj256ELj2EN10test_utils4lessELj10EEvPKT_PS2_T2_,comdat
	.protected	_Z16sort_keys_kernelIxLj256ELj2EN10test_utils4lessELj10EEvPKT_PS2_T2_ ; -- Begin function _Z16sort_keys_kernelIxLj256ELj2EN10test_utils4lessELj10EEvPKT_PS2_T2_
	.globl	_Z16sort_keys_kernelIxLj256ELj2EN10test_utils4lessELj10EEvPKT_PS2_T2_
	.p2align	8
	.type	_Z16sort_keys_kernelIxLj256ELj2EN10test_utils4lessELj10EEvPKT_PS2_T2_,@function
_Z16sort_keys_kernelIxLj256ELj2EN10test_utils4lessELj10EEvPKT_PS2_T2_: ; @_Z16sort_keys_kernelIxLj256ELj2EN10test_utils4lessELj10EEvPKT_PS2_T2_
; %bb.0:
	s_load_b128 s[12:15], s[0:1], 0x0
	s_lshl_b32 s10, ttmp9, 9
	s_mov_b32 s11, 0
	v_lshlrev_b32_e32 v3, 3, v0
	s_lshl_b64 s[16:17], s[10:11], 3
	v_lshlrev_b32_e32 v5, 1, v0
	v_lshlrev_b32_e32 v13, 4, v0
	s_delay_alu instid0(VALU_DEP_2)
	v_and_b32_e32 v33, 0x1c0, v5
	v_and_b32_e32 v9, 0x1fc, v5
	;; [unrolled: 1-line block ×5, first 2 shown]
	v_or_b32_e32 v35, 32, v33
	v_add_nc_u32_e32 v36, 64, v33
	v_or_b32_e32 v10, 2, v9
	v_add_nc_u32_e32 v11, 4, v9
	v_or_b32_e32 v14, 4, v12
	s_wait_kmcnt 0x0
	s_add_nc_u64 s[0:1], s[12:13], s[16:17]
	v_sub_nc_u32_e32 v44, v36, v35
	s_clause 0x1
	global_load_b64 v[1:2], v3, s[0:1]
	global_load_b64 v[3:4], v3, s[0:1] offset:2048
	v_sub_nc_u32_e32 v7, v11, v10
	v_add_nc_u32_e32 v15, 8, v12
	v_and_b32_e32 v19, 0x1f0, v5
	v_sub_nc_u32_e32 v45, v65, v44
	v_cmp_ge_i32_e64 s3, v65, v44
	v_sub_nc_u32_e32 v8, v6, v7
	v_cmp_ge_i32_e32 vcc_lo, v6, v7
	v_and_b32_e32 v26, 0x1e0, v5
	v_and_b32_e32 v40, 0x180, v5
	v_cndmask_b32_e64 v44, 0, v45, s3
	v_dual_cndmask_b32 v16, 0, v8 :: v_dual_and_b32 v45, 0x100, v5
	v_and_b32_e32 v7, 6, v5
	v_sub_nc_u32_e32 v8, v15, v14
	v_or_b32_e32 v21, 8, v19
	v_add_nc_u32_e32 v22, 16, v19
	v_or_b32_e32 v28, 16, v26
	v_add_nc_u32_e32 v29, 32, v26
	;; [unrolled: 2-line block ×4, first 2 shown]
	v_sub_nc_u32_e32 v17, v10, v9
	v_sub_nc_u32_e32 v23, v7, v8
	;; [unrolled: 1-line block ×3, first 2 shown]
	v_cmp_ge_i32_e64 s0, v7, v8
	v_and_b32_e32 v8, 14, v5
	v_sub_nc_u32_e32 v30, v22, v21
	v_and_b32_e32 v64, 30, v5
	v_sub_nc_u32_e32 v37, v29, v28
	;; [unrolled: 2-line block ×4, first 2 shown]
	v_min_i32_e32 v17, v6, v17
	v_add_nc_u32_e32 v20, v10, v6
	v_min_i32_e32 v24, v7, v24
	v_add_nc_u32_e32 v27, v14, v7
	v_sub_nc_u32_e32 v31, v8, v30
	v_sub_nc_u32_e32 v32, v21, v19
	v_cmp_ge_i32_e64 s1, v8, v30
	v_sub_nc_u32_e32 v38, v64, v37
	v_sub_nc_u32_e32 v39, v28, v26
	v_cmp_ge_i32_e64 s2, v64, v37
	v_sub_nc_u32_e32 v46, v35, v33
	v_sub_nc_u32_e32 v51, v66, v50
	;; [unrolled: 1-line block ×3, first 2 shown]
	v_cmp_ge_i32_e64 s4, v66, v50
	v_sub_nc_u32_e32 v55, v67, v54
	v_sub_nc_u32_e32 v56, v48, v45
	v_cmp_ge_i32_e64 s5, v67, v54
	v_lshlrev_b32_e32 v6, 3, v6
	v_lshlrev_b32_e32 v7, 3, v7
	v_cndmask_b32_e64 v23, 0, v23, s0
	v_cndmask_b32_e64 v30, 0, v31, s1
	v_min_i32_e32 v31, v8, v32
	v_add_nc_u32_e32 v34, v21, v8
	s_wait_alu 0xf1ff
	v_cndmask_b32_e64 v37, 0, v38, s2
	v_min_i32_e32 v38, v64, v39
	v_min_i32_e32 v46, v65, v46
	v_cndmask_b32_e64 v50, 0, v51, s4
	v_min_i32_e32 v51, v66, v52
	v_cndmask_b32_e64 v54, 0, v55, s5
	v_min_i32_e32 v55, v67, v56
	v_subrev_nc_u32_e64 v58, 0x100, v5 clamp
	v_min_i32_e32 v59, 0x100, v5
	v_add_nc_u32_e32 v61, 0x100, v5
	v_lshl_add_u32 v62, v10, 3, v6
	v_lshl_add_u32 v63, v14, 3, v7
	v_lshlrev_b32_e32 v5, 3, v8
	v_lshlrev_b32_e32 v6, 3, v64
	v_lshlrev_b32_e32 v7, 3, v65
	v_lshlrev_b32_e32 v8, 3, v66
	v_lshlrev_b32_e32 v68, 3, v67
	v_lshlrev_b32_e32 v18, 3, v9
	v_lshlrev_b32_e32 v25, 3, v12
	v_cmp_lt_i32_e64 s0, v23, v24
	v_lshlrev_b32_e32 v32, 3, v19
	v_cmp_lt_i32_e64 s1, v30, v31
	v_lshlrev_b32_e32 v39, 3, v26
	v_cmp_lt_i32_e64 s2, v37, v38
	v_add_nc_u32_e32 v41, v28, v64
	v_lshlrev_b32_e32 v47, 3, v33
	v_cmp_lt_i32_e64 s3, v44, v46
	v_add_nc_u32_e32 v52, v35, v65
	;; [unrolled: 3-line block ×4, first 2 shown]
	v_cmp_lt_i32_e64 s6, v58, v59
	v_lshl_add_u32 v64, v21, 3, v5
	v_lshl_add_u32 v65, v28, 3, v6
	;; [unrolled: 1-line block ×5, first 2 shown]
	v_add_nc_u32_e32 v69, 0x800, v13
	v_cmp_lt_i32_e32 vcc_lo, v16, v17
	s_branch .LBB142_2
.LBB142_1:                              ;   in Loop: Header=BB142_2 Depth=1
	s_or_b32 exec_lo, exec_lo, s8
	s_wait_dscnt 0x0
	s_delay_alu instid0(VALU_DEP_1)
	v_cmp_lt_i64_e64 s8, v[7:8], v[5:6]
	v_cmp_le_i32_e64 s9, 0x100, v70
	v_cmp_gt_i32_e64 s10, 0x200, v71
	v_cndmask_b32_e64 v2, v2, v4, s7
	v_cndmask_b32_e64 v1, v1, v3, s7
	s_add_co_i32 s11, s11, 1
	s_or_b32 s8, s9, s8
	s_delay_alu instid0(SALU_CYCLE_1)
	s_and_b32 s7, s10, s8
	s_cmp_eq_u32 s11, 10
	s_wait_alu 0xfffe
	v_cndmask_b32_e64 v4, v6, v8, s7
	v_cndmask_b32_e64 v3, v5, v7, s7
	s_cbranch_scc1 .LBB142_66
.LBB142_2:                              ; =>This Loop Header: Depth=1
                                        ;     Child Loop BB142_4 Depth 2
                                        ;     Child Loop BB142_12 Depth 2
	;; [unrolled: 1-line block ×8, first 2 shown]
	s_wait_loadcnt 0x0
	s_delay_alu instid0(VALU_DEP_1)
	v_cmp_lt_i64_e64 s7, v[3:4], v[1:2]
	v_mov_b32_e32 v5, v16
	s_barrier_signal -1
	s_barrier_wait -1
	global_inv scope:SCOPE_SE
	s_wait_alu 0xf1ff
	v_cndmask_b32_e64 v7, v4, v2, s7
	v_cndmask_b32_e64 v6, v3, v1, s7
	;; [unrolled: 1-line block ×4, first 2 shown]
	ds_store_2addr_b64 v13, v[1:2], v[6:7] offset1:1
	s_wait_loadcnt_dscnt 0x0
	s_barrier_signal -1
	s_barrier_wait -1
	global_inv scope:SCOPE_SE
	s_and_saveexec_b32 s8, vcc_lo
	s_cbranch_execz .LBB142_6
; %bb.3:                                ;   in Loop: Header=BB142_2 Depth=1
	v_mov_b32_e32 v5, v16
	v_mov_b32_e32 v1, v17
	s_mov_b32 s9, 0
.LBB142_4:                              ;   Parent Loop BB142_2 Depth=1
                                        ; =>  This Inner Loop Header: Depth=2
	s_delay_alu instid0(VALU_DEP_1) | instskip(NEXT) | instid1(VALU_DEP_1)
	v_sub_nc_u32_e32 v2, v1, v5
	v_lshrrev_b32_e32 v2, 1, v2
	s_delay_alu instid0(VALU_DEP_1) | instskip(NEXT) | instid1(VALU_DEP_1)
	v_add_nc_u32_e32 v4, v2, v5
	v_not_b32_e32 v2, v4
	v_lshl_add_u32 v3, v4, 3, v18
	s_delay_alu instid0(VALU_DEP_2)
	v_lshl_add_u32 v6, v2, 3, v62
	ds_load_b64 v[2:3], v3
	ds_load_b64 v[6:7], v6
	s_wait_dscnt 0x0
	v_cmp_lt_i64_e64 s7, v[6:7], v[2:3]
	v_add_nc_u32_e32 v2, 1, v4
	s_wait_alu 0xf1ff
	s_delay_alu instid0(VALU_DEP_2) | instskip(NEXT) | instid1(VALU_DEP_2)
	v_cndmask_b32_e64 v1, v1, v4, s7
	v_cndmask_b32_e64 v5, v2, v5, s7
	s_delay_alu instid0(VALU_DEP_1) | instskip(SKIP_1) | instid1(SALU_CYCLE_1)
	v_cmp_ge_i32_e64 s7, v5, v1
	s_or_b32 s9, s7, s9
	s_and_not1_b32 exec_lo, exec_lo, s9
	s_cbranch_execnz .LBB142_4
; %bb.5:                                ;   in Loop: Header=BB142_2 Depth=1
	s_or_b32 exec_lo, exec_lo, s9
.LBB142_6:                              ;   in Loop: Header=BB142_2 Depth=1
	s_delay_alu instid0(SALU_CYCLE_1) | instskip(SKIP_3) | instid1(VALU_DEP_3)
	s_or_b32 exec_lo, exec_lo, s8
	v_sub_nc_u32_e32 v70, v20, v5
	v_lshl_add_u32 v7, v5, 3, v18
	v_add_nc_u32_e32 v71, v5, v9
                                        ; implicit-def: $vgpr5_vgpr6
	v_lshlrev_b32_e32 v72, 3, v70
	v_cmp_gt_i32_e64 s9, v11, v70
	s_delay_alu instid0(VALU_DEP_3)
	v_cmp_le_i32_e64 s8, v10, v71
	ds_load_b64 v[1:2], v7
	ds_load_b64 v[3:4], v72
	s_wait_dscnt 0x0
	v_cmp_lt_i64_e64 s7, v[3:4], v[1:2]
	s_or_b32 s7, s8, s7
	s_wait_alu 0xfffe
	s_and_b32 s7, s9, s7
	s_wait_alu 0xfffe
	s_xor_b32 s8, s7, -1
	s_delay_alu instid0(SALU_CYCLE_1) | instskip(NEXT) | instid1(SALU_CYCLE_1)
	s_and_saveexec_b32 s9, s8
	s_xor_b32 s8, exec_lo, s9
; %bb.7:                                ;   in Loop: Header=BB142_2 Depth=1
	ds_load_b64 v[5:6], v7 offset:8
                                        ; implicit-def: $vgpr72
; %bb.8:                                ;   in Loop: Header=BB142_2 Depth=1
	s_or_saveexec_b32 s8, s8
	v_dual_mov_b32 v8, v4 :: v_dual_mov_b32 v7, v3
	s_xor_b32 exec_lo, exec_lo, s8
	s_cbranch_execz .LBB142_10
; %bb.9:                                ;   in Loop: Header=BB142_2 Depth=1
	ds_load_b64 v[7:8], v72 offset:8
	s_wait_dscnt 0x1
	v_dual_mov_b32 v6, v2 :: v_dual_mov_b32 v5, v1
.LBB142_10:                             ;   in Loop: Header=BB142_2 Depth=1
	s_or_b32 exec_lo, exec_lo, s8
	v_add_nc_u32_e32 v72, 1, v71
	v_add_nc_u32_e32 v73, 1, v70
	s_wait_dscnt 0x0
	v_cmp_lt_i64_e64 s8, v[7:8], v[5:6]
	v_cndmask_b32_e64 v2, v2, v4, s7
	v_cndmask_b32_e64 v1, v1, v3, s7
	;; [unrolled: 1-line block ×4, first 2 shown]
	s_wait_loadcnt 0x0
	s_barrier_signal -1
	s_barrier_wait -1
	v_cmp_ge_i32_e64 s9, v71, v10
	v_cmp_lt_i32_e64 s10, v70, v11
	global_inv scope:SCOPE_SE
	s_or_b32 s7, s9, s8
	s_wait_alu 0xfffe
	s_and_b32 s7, s10, s7
	s_wait_alu 0xfffe
	v_cndmask_b32_e64 v4, v6, v8, s7
	v_cndmask_b32_e64 v3, v5, v7, s7
	v_mov_b32_e32 v5, v23
	ds_store_2addr_b64 v13, v[1:2], v[3:4] offset1:1
	s_wait_loadcnt_dscnt 0x0
	s_barrier_signal -1
	s_barrier_wait -1
	global_inv scope:SCOPE_SE
	s_and_saveexec_b32 s8, s0
	s_cbranch_execz .LBB142_14
; %bb.11:                               ;   in Loop: Header=BB142_2 Depth=1
	v_mov_b32_e32 v5, v23
	v_mov_b32_e32 v1, v24
	s_mov_b32 s9, 0
.LBB142_12:                             ;   Parent Loop BB142_2 Depth=1
                                        ; =>  This Inner Loop Header: Depth=2
	s_delay_alu instid0(VALU_DEP_1) | instskip(NEXT) | instid1(VALU_DEP_1)
	v_sub_nc_u32_e32 v2, v1, v5
	v_lshrrev_b32_e32 v2, 1, v2
	s_delay_alu instid0(VALU_DEP_1) | instskip(NEXT) | instid1(VALU_DEP_1)
	v_add_nc_u32_e32 v4, v2, v5
	v_not_b32_e32 v2, v4
	v_lshl_add_u32 v3, v4, 3, v25
	s_delay_alu instid0(VALU_DEP_2)
	v_lshl_add_u32 v6, v2, 3, v63
	ds_load_b64 v[2:3], v3
	ds_load_b64 v[6:7], v6
	s_wait_dscnt 0x0
	v_cmp_lt_i64_e64 s7, v[6:7], v[2:3]
	v_add_nc_u32_e32 v2, 1, v4
	s_wait_alu 0xf1ff
	s_delay_alu instid0(VALU_DEP_2) | instskip(NEXT) | instid1(VALU_DEP_2)
	v_cndmask_b32_e64 v1, v1, v4, s7
	v_cndmask_b32_e64 v5, v2, v5, s7
	s_delay_alu instid0(VALU_DEP_1) | instskip(SKIP_1) | instid1(SALU_CYCLE_1)
	v_cmp_ge_i32_e64 s7, v5, v1
	s_or_b32 s9, s7, s9
	s_and_not1_b32 exec_lo, exec_lo, s9
	s_cbranch_execnz .LBB142_12
; %bb.13:                               ;   in Loop: Header=BB142_2 Depth=1
	s_or_b32 exec_lo, exec_lo, s9
.LBB142_14:                             ;   in Loop: Header=BB142_2 Depth=1
	s_delay_alu instid0(SALU_CYCLE_1) | instskip(SKIP_3) | instid1(VALU_DEP_3)
	s_or_b32 exec_lo, exec_lo, s8
	v_sub_nc_u32_e32 v70, v27, v5
	v_lshl_add_u32 v7, v5, 3, v25
	v_add_nc_u32_e32 v71, v5, v12
                                        ; implicit-def: $vgpr5_vgpr6
	v_lshlrev_b32_e32 v72, 3, v70
	v_cmp_gt_i32_e64 s9, v15, v70
	s_delay_alu instid0(VALU_DEP_3)
	v_cmp_le_i32_e64 s8, v14, v71
	ds_load_b64 v[1:2], v7
	ds_load_b64 v[3:4], v72
	s_wait_dscnt 0x0
	v_cmp_lt_i64_e64 s7, v[3:4], v[1:2]
	s_or_b32 s7, s8, s7
	s_wait_alu 0xfffe
	s_and_b32 s7, s9, s7
	s_wait_alu 0xfffe
	s_xor_b32 s8, s7, -1
	s_delay_alu instid0(SALU_CYCLE_1) | instskip(NEXT) | instid1(SALU_CYCLE_1)
	s_and_saveexec_b32 s9, s8
	s_xor_b32 s8, exec_lo, s9
; %bb.15:                               ;   in Loop: Header=BB142_2 Depth=1
	ds_load_b64 v[5:6], v7 offset:8
                                        ; implicit-def: $vgpr72
; %bb.16:                               ;   in Loop: Header=BB142_2 Depth=1
	s_or_saveexec_b32 s8, s8
	v_dual_mov_b32 v8, v4 :: v_dual_mov_b32 v7, v3
	s_xor_b32 exec_lo, exec_lo, s8
	s_cbranch_execz .LBB142_18
; %bb.17:                               ;   in Loop: Header=BB142_2 Depth=1
	ds_load_b64 v[7:8], v72 offset:8
	s_wait_dscnt 0x1
	v_dual_mov_b32 v6, v2 :: v_dual_mov_b32 v5, v1
.LBB142_18:                             ;   in Loop: Header=BB142_2 Depth=1
	s_or_b32 exec_lo, exec_lo, s8
	v_add_nc_u32_e32 v72, 1, v71
	v_add_nc_u32_e32 v73, 1, v70
	s_wait_dscnt 0x0
	v_cmp_lt_i64_e64 s8, v[7:8], v[5:6]
	v_cndmask_b32_e64 v2, v2, v4, s7
	v_cndmask_b32_e64 v1, v1, v3, s7
	;; [unrolled: 1-line block ×4, first 2 shown]
	s_wait_loadcnt 0x0
	s_barrier_signal -1
	s_barrier_wait -1
	v_cmp_ge_i32_e64 s9, v71, v14
	v_cmp_lt_i32_e64 s10, v70, v15
	global_inv scope:SCOPE_SE
	s_or_b32 s7, s9, s8
	s_wait_alu 0xfffe
	s_and_b32 s7, s10, s7
	s_wait_alu 0xfffe
	v_cndmask_b32_e64 v4, v6, v8, s7
	v_cndmask_b32_e64 v3, v5, v7, s7
	v_mov_b32_e32 v5, v30
	ds_store_2addr_b64 v13, v[1:2], v[3:4] offset1:1
	s_wait_loadcnt_dscnt 0x0
	s_barrier_signal -1
	s_barrier_wait -1
	global_inv scope:SCOPE_SE
	s_and_saveexec_b32 s8, s1
	s_cbranch_execz .LBB142_22
; %bb.19:                               ;   in Loop: Header=BB142_2 Depth=1
	v_mov_b32_e32 v5, v30
	v_mov_b32_e32 v1, v31
	s_mov_b32 s9, 0
.LBB142_20:                             ;   Parent Loop BB142_2 Depth=1
                                        ; =>  This Inner Loop Header: Depth=2
	s_delay_alu instid0(VALU_DEP_1) | instskip(NEXT) | instid1(VALU_DEP_1)
	v_sub_nc_u32_e32 v2, v1, v5
	v_lshrrev_b32_e32 v2, 1, v2
	s_delay_alu instid0(VALU_DEP_1) | instskip(NEXT) | instid1(VALU_DEP_1)
	v_add_nc_u32_e32 v4, v2, v5
	v_not_b32_e32 v2, v4
	v_lshl_add_u32 v3, v4, 3, v32
	s_delay_alu instid0(VALU_DEP_2)
	v_lshl_add_u32 v6, v2, 3, v64
	ds_load_b64 v[2:3], v3
	ds_load_b64 v[6:7], v6
	s_wait_dscnt 0x0
	v_cmp_lt_i64_e64 s7, v[6:7], v[2:3]
	v_add_nc_u32_e32 v2, 1, v4
	s_wait_alu 0xf1ff
	s_delay_alu instid0(VALU_DEP_2) | instskip(NEXT) | instid1(VALU_DEP_2)
	v_cndmask_b32_e64 v1, v1, v4, s7
	v_cndmask_b32_e64 v5, v2, v5, s7
	s_delay_alu instid0(VALU_DEP_1) | instskip(SKIP_1) | instid1(SALU_CYCLE_1)
	v_cmp_ge_i32_e64 s7, v5, v1
	s_or_b32 s9, s7, s9
	s_and_not1_b32 exec_lo, exec_lo, s9
	s_cbranch_execnz .LBB142_20
; %bb.21:                               ;   in Loop: Header=BB142_2 Depth=1
	s_or_b32 exec_lo, exec_lo, s9
.LBB142_22:                             ;   in Loop: Header=BB142_2 Depth=1
	s_delay_alu instid0(SALU_CYCLE_1) | instskip(SKIP_3) | instid1(VALU_DEP_3)
	s_or_b32 exec_lo, exec_lo, s8
	v_sub_nc_u32_e32 v70, v34, v5
	v_lshl_add_u32 v7, v5, 3, v32
	v_add_nc_u32_e32 v71, v5, v19
                                        ; implicit-def: $vgpr5_vgpr6
	v_lshlrev_b32_e32 v72, 3, v70
	v_cmp_gt_i32_e64 s9, v22, v70
	s_delay_alu instid0(VALU_DEP_3)
	v_cmp_le_i32_e64 s8, v21, v71
	ds_load_b64 v[1:2], v7
	ds_load_b64 v[3:4], v72
	s_wait_dscnt 0x0
	v_cmp_lt_i64_e64 s7, v[3:4], v[1:2]
	s_or_b32 s7, s8, s7
	s_wait_alu 0xfffe
	s_and_b32 s7, s9, s7
	s_wait_alu 0xfffe
	s_xor_b32 s8, s7, -1
	s_delay_alu instid0(SALU_CYCLE_1) | instskip(NEXT) | instid1(SALU_CYCLE_1)
	s_and_saveexec_b32 s9, s8
	s_xor_b32 s8, exec_lo, s9
; %bb.23:                               ;   in Loop: Header=BB142_2 Depth=1
	ds_load_b64 v[5:6], v7 offset:8
                                        ; implicit-def: $vgpr72
; %bb.24:                               ;   in Loop: Header=BB142_2 Depth=1
	s_or_saveexec_b32 s8, s8
	v_dual_mov_b32 v8, v4 :: v_dual_mov_b32 v7, v3
	s_xor_b32 exec_lo, exec_lo, s8
	s_cbranch_execz .LBB142_26
; %bb.25:                               ;   in Loop: Header=BB142_2 Depth=1
	ds_load_b64 v[7:8], v72 offset:8
	s_wait_dscnt 0x1
	v_dual_mov_b32 v6, v2 :: v_dual_mov_b32 v5, v1
.LBB142_26:                             ;   in Loop: Header=BB142_2 Depth=1
	s_or_b32 exec_lo, exec_lo, s8
	v_add_nc_u32_e32 v72, 1, v71
	v_add_nc_u32_e32 v73, 1, v70
	s_wait_dscnt 0x0
	v_cmp_lt_i64_e64 s8, v[7:8], v[5:6]
	v_cndmask_b32_e64 v2, v2, v4, s7
	v_cndmask_b32_e64 v1, v1, v3, s7
	;; [unrolled: 1-line block ×4, first 2 shown]
	s_wait_loadcnt 0x0
	s_barrier_signal -1
	s_barrier_wait -1
	v_cmp_ge_i32_e64 s9, v71, v21
	v_cmp_lt_i32_e64 s10, v70, v22
	global_inv scope:SCOPE_SE
	s_or_b32 s7, s9, s8
	s_wait_alu 0xfffe
	s_and_b32 s7, s10, s7
	s_wait_alu 0xfffe
	v_cndmask_b32_e64 v4, v6, v8, s7
	v_cndmask_b32_e64 v3, v5, v7, s7
	v_mov_b32_e32 v5, v37
	ds_store_2addr_b64 v13, v[1:2], v[3:4] offset1:1
	s_wait_loadcnt_dscnt 0x0
	s_barrier_signal -1
	s_barrier_wait -1
	global_inv scope:SCOPE_SE
	s_and_saveexec_b32 s8, s2
	s_cbranch_execz .LBB142_30
; %bb.27:                               ;   in Loop: Header=BB142_2 Depth=1
	v_mov_b32_e32 v5, v37
	v_mov_b32_e32 v1, v38
	s_mov_b32 s9, 0
.LBB142_28:                             ;   Parent Loop BB142_2 Depth=1
                                        ; =>  This Inner Loop Header: Depth=2
	s_delay_alu instid0(VALU_DEP_1) | instskip(NEXT) | instid1(VALU_DEP_1)
	v_sub_nc_u32_e32 v2, v1, v5
	v_lshrrev_b32_e32 v2, 1, v2
	s_delay_alu instid0(VALU_DEP_1) | instskip(NEXT) | instid1(VALU_DEP_1)
	v_add_nc_u32_e32 v4, v2, v5
	v_not_b32_e32 v2, v4
	v_lshl_add_u32 v3, v4, 3, v39
	s_delay_alu instid0(VALU_DEP_2)
	v_lshl_add_u32 v6, v2, 3, v65
	ds_load_b64 v[2:3], v3
	ds_load_b64 v[6:7], v6
	s_wait_dscnt 0x0
	v_cmp_lt_i64_e64 s7, v[6:7], v[2:3]
	v_add_nc_u32_e32 v2, 1, v4
	s_wait_alu 0xf1ff
	s_delay_alu instid0(VALU_DEP_2) | instskip(NEXT) | instid1(VALU_DEP_2)
	v_cndmask_b32_e64 v1, v1, v4, s7
	v_cndmask_b32_e64 v5, v2, v5, s7
	s_delay_alu instid0(VALU_DEP_1) | instskip(SKIP_1) | instid1(SALU_CYCLE_1)
	v_cmp_ge_i32_e64 s7, v5, v1
	s_or_b32 s9, s7, s9
	s_and_not1_b32 exec_lo, exec_lo, s9
	s_cbranch_execnz .LBB142_28
; %bb.29:                               ;   in Loop: Header=BB142_2 Depth=1
	s_or_b32 exec_lo, exec_lo, s9
.LBB142_30:                             ;   in Loop: Header=BB142_2 Depth=1
	s_delay_alu instid0(SALU_CYCLE_1) | instskip(SKIP_3) | instid1(VALU_DEP_3)
	s_or_b32 exec_lo, exec_lo, s8
	v_sub_nc_u32_e32 v70, v41, v5
	v_lshl_add_u32 v7, v5, 3, v39
	v_add_nc_u32_e32 v71, v5, v26
                                        ; implicit-def: $vgpr5_vgpr6
	v_lshlrev_b32_e32 v72, 3, v70
	v_cmp_gt_i32_e64 s9, v29, v70
	s_delay_alu instid0(VALU_DEP_3)
	v_cmp_le_i32_e64 s8, v28, v71
	ds_load_b64 v[1:2], v7
	ds_load_b64 v[3:4], v72
	s_wait_dscnt 0x0
	v_cmp_lt_i64_e64 s7, v[3:4], v[1:2]
	s_or_b32 s7, s8, s7
	s_wait_alu 0xfffe
	s_and_b32 s7, s9, s7
	s_wait_alu 0xfffe
	s_xor_b32 s8, s7, -1
	s_delay_alu instid0(SALU_CYCLE_1) | instskip(NEXT) | instid1(SALU_CYCLE_1)
	s_and_saveexec_b32 s9, s8
	s_xor_b32 s8, exec_lo, s9
; %bb.31:                               ;   in Loop: Header=BB142_2 Depth=1
	ds_load_b64 v[5:6], v7 offset:8
                                        ; implicit-def: $vgpr72
; %bb.32:                               ;   in Loop: Header=BB142_2 Depth=1
	s_or_saveexec_b32 s8, s8
	v_dual_mov_b32 v8, v4 :: v_dual_mov_b32 v7, v3
	s_xor_b32 exec_lo, exec_lo, s8
	s_cbranch_execz .LBB142_34
; %bb.33:                               ;   in Loop: Header=BB142_2 Depth=1
	ds_load_b64 v[7:8], v72 offset:8
	s_wait_dscnt 0x1
	v_dual_mov_b32 v6, v2 :: v_dual_mov_b32 v5, v1
.LBB142_34:                             ;   in Loop: Header=BB142_2 Depth=1
	s_or_b32 exec_lo, exec_lo, s8
	v_add_nc_u32_e32 v72, 1, v71
	v_add_nc_u32_e32 v73, 1, v70
	s_wait_dscnt 0x0
	v_cmp_lt_i64_e64 s8, v[7:8], v[5:6]
	v_cndmask_b32_e64 v2, v2, v4, s7
	v_cndmask_b32_e64 v1, v1, v3, s7
	;; [unrolled: 1-line block ×4, first 2 shown]
	s_wait_loadcnt 0x0
	s_barrier_signal -1
	s_barrier_wait -1
	v_cmp_ge_i32_e64 s9, v71, v28
	v_cmp_lt_i32_e64 s10, v70, v29
	global_inv scope:SCOPE_SE
	s_or_b32 s7, s9, s8
	s_wait_alu 0xfffe
	s_and_b32 s7, s10, s7
	s_wait_alu 0xfffe
	v_cndmask_b32_e64 v4, v6, v8, s7
	v_cndmask_b32_e64 v3, v5, v7, s7
	v_mov_b32_e32 v5, v44
	ds_store_2addr_b64 v13, v[1:2], v[3:4] offset1:1
	s_wait_loadcnt_dscnt 0x0
	s_barrier_signal -1
	s_barrier_wait -1
	global_inv scope:SCOPE_SE
	s_and_saveexec_b32 s8, s3
	s_cbranch_execz .LBB142_38
; %bb.35:                               ;   in Loop: Header=BB142_2 Depth=1
	v_mov_b32_e32 v5, v44
	v_mov_b32_e32 v1, v46
	s_mov_b32 s9, 0
.LBB142_36:                             ;   Parent Loop BB142_2 Depth=1
                                        ; =>  This Inner Loop Header: Depth=2
	s_delay_alu instid0(VALU_DEP_1) | instskip(NEXT) | instid1(VALU_DEP_1)
	v_sub_nc_u32_e32 v2, v1, v5
	v_lshrrev_b32_e32 v2, 1, v2
	s_delay_alu instid0(VALU_DEP_1) | instskip(NEXT) | instid1(VALU_DEP_1)
	v_add_nc_u32_e32 v4, v2, v5
	v_not_b32_e32 v2, v4
	v_lshl_add_u32 v3, v4, 3, v47
	s_delay_alu instid0(VALU_DEP_2)
	v_lshl_add_u32 v6, v2, 3, v66
	ds_load_b64 v[2:3], v3
	ds_load_b64 v[6:7], v6
	s_wait_dscnt 0x0
	v_cmp_lt_i64_e64 s7, v[6:7], v[2:3]
	v_add_nc_u32_e32 v2, 1, v4
	s_wait_alu 0xf1ff
	s_delay_alu instid0(VALU_DEP_2) | instskip(NEXT) | instid1(VALU_DEP_2)
	v_cndmask_b32_e64 v1, v1, v4, s7
	v_cndmask_b32_e64 v5, v2, v5, s7
	s_delay_alu instid0(VALU_DEP_1) | instskip(SKIP_1) | instid1(SALU_CYCLE_1)
	v_cmp_ge_i32_e64 s7, v5, v1
	s_or_b32 s9, s7, s9
	s_and_not1_b32 exec_lo, exec_lo, s9
	s_cbranch_execnz .LBB142_36
; %bb.37:                               ;   in Loop: Header=BB142_2 Depth=1
	s_or_b32 exec_lo, exec_lo, s9
.LBB142_38:                             ;   in Loop: Header=BB142_2 Depth=1
	s_delay_alu instid0(SALU_CYCLE_1) | instskip(SKIP_3) | instid1(VALU_DEP_3)
	s_or_b32 exec_lo, exec_lo, s8
	v_sub_nc_u32_e32 v70, v52, v5
	v_lshl_add_u32 v7, v5, 3, v47
	v_add_nc_u32_e32 v71, v5, v33
                                        ; implicit-def: $vgpr5_vgpr6
	v_lshlrev_b32_e32 v72, 3, v70
	v_cmp_gt_i32_e64 s9, v36, v70
	s_delay_alu instid0(VALU_DEP_3)
	v_cmp_le_i32_e64 s8, v35, v71
	ds_load_b64 v[1:2], v7
	ds_load_b64 v[3:4], v72
	s_wait_dscnt 0x0
	v_cmp_lt_i64_e64 s7, v[3:4], v[1:2]
	s_or_b32 s7, s8, s7
	s_wait_alu 0xfffe
	s_and_b32 s7, s9, s7
	s_wait_alu 0xfffe
	s_xor_b32 s8, s7, -1
	s_delay_alu instid0(SALU_CYCLE_1) | instskip(NEXT) | instid1(SALU_CYCLE_1)
	s_and_saveexec_b32 s9, s8
	s_xor_b32 s8, exec_lo, s9
; %bb.39:                               ;   in Loop: Header=BB142_2 Depth=1
	ds_load_b64 v[5:6], v7 offset:8
                                        ; implicit-def: $vgpr72
; %bb.40:                               ;   in Loop: Header=BB142_2 Depth=1
	s_or_saveexec_b32 s8, s8
	v_dual_mov_b32 v8, v4 :: v_dual_mov_b32 v7, v3
	s_xor_b32 exec_lo, exec_lo, s8
	s_cbranch_execz .LBB142_42
; %bb.41:                               ;   in Loop: Header=BB142_2 Depth=1
	ds_load_b64 v[7:8], v72 offset:8
	s_wait_dscnt 0x1
	v_dual_mov_b32 v6, v2 :: v_dual_mov_b32 v5, v1
.LBB142_42:                             ;   in Loop: Header=BB142_2 Depth=1
	s_or_b32 exec_lo, exec_lo, s8
	v_add_nc_u32_e32 v72, 1, v71
	v_add_nc_u32_e32 v73, 1, v70
	s_wait_dscnt 0x0
	v_cmp_lt_i64_e64 s8, v[7:8], v[5:6]
	v_cndmask_b32_e64 v2, v2, v4, s7
	v_cndmask_b32_e64 v1, v1, v3, s7
	;; [unrolled: 1-line block ×4, first 2 shown]
	s_wait_loadcnt 0x0
	s_barrier_signal -1
	s_barrier_wait -1
	v_cmp_ge_i32_e64 s9, v71, v35
	v_cmp_lt_i32_e64 s10, v70, v36
	global_inv scope:SCOPE_SE
	s_or_b32 s7, s9, s8
	s_wait_alu 0xfffe
	s_and_b32 s7, s10, s7
	s_wait_alu 0xfffe
	v_cndmask_b32_e64 v4, v6, v8, s7
	v_cndmask_b32_e64 v3, v5, v7, s7
	v_mov_b32_e32 v5, v50
	ds_store_2addr_b64 v13, v[1:2], v[3:4] offset1:1
	s_wait_loadcnt_dscnt 0x0
	s_barrier_signal -1
	s_barrier_wait -1
	global_inv scope:SCOPE_SE
	s_and_saveexec_b32 s8, s4
	s_cbranch_execz .LBB142_46
; %bb.43:                               ;   in Loop: Header=BB142_2 Depth=1
	v_mov_b32_e32 v5, v50
	v_mov_b32_e32 v1, v51
	s_mov_b32 s9, 0
.LBB142_44:                             ;   Parent Loop BB142_2 Depth=1
                                        ; =>  This Inner Loop Header: Depth=2
	s_delay_alu instid0(VALU_DEP_1) | instskip(NEXT) | instid1(VALU_DEP_1)
	v_sub_nc_u32_e32 v2, v1, v5
	v_lshrrev_b32_e32 v2, 1, v2
	s_delay_alu instid0(VALU_DEP_1) | instskip(NEXT) | instid1(VALU_DEP_1)
	v_add_nc_u32_e32 v4, v2, v5
	v_not_b32_e32 v2, v4
	v_lshl_add_u32 v3, v4, 3, v53
	s_delay_alu instid0(VALU_DEP_2)
	v_lshl_add_u32 v6, v2, 3, v67
	ds_load_b64 v[2:3], v3
	ds_load_b64 v[6:7], v6
	s_wait_dscnt 0x0
	v_cmp_lt_i64_e64 s7, v[6:7], v[2:3]
	v_add_nc_u32_e32 v2, 1, v4
	s_wait_alu 0xf1ff
	s_delay_alu instid0(VALU_DEP_2) | instskip(NEXT) | instid1(VALU_DEP_2)
	v_cndmask_b32_e64 v1, v1, v4, s7
	v_cndmask_b32_e64 v5, v2, v5, s7
	s_delay_alu instid0(VALU_DEP_1) | instskip(SKIP_1) | instid1(SALU_CYCLE_1)
	v_cmp_ge_i32_e64 s7, v5, v1
	s_or_b32 s9, s7, s9
	s_and_not1_b32 exec_lo, exec_lo, s9
	s_cbranch_execnz .LBB142_44
; %bb.45:                               ;   in Loop: Header=BB142_2 Depth=1
	s_or_b32 exec_lo, exec_lo, s9
.LBB142_46:                             ;   in Loop: Header=BB142_2 Depth=1
	s_delay_alu instid0(SALU_CYCLE_1) | instskip(SKIP_3) | instid1(VALU_DEP_3)
	s_or_b32 exec_lo, exec_lo, s8
	v_sub_nc_u32_e32 v70, v56, v5
	v_lshl_add_u32 v7, v5, 3, v53
	v_add_nc_u32_e32 v71, v5, v40
                                        ; implicit-def: $vgpr5_vgpr6
	v_lshlrev_b32_e32 v72, 3, v70
	v_cmp_gt_i32_e64 s9, v43, v70
	s_delay_alu instid0(VALU_DEP_3)
	v_cmp_le_i32_e64 s8, v42, v71
	ds_load_b64 v[1:2], v7
	ds_load_b64 v[3:4], v72
	s_wait_dscnt 0x0
	v_cmp_lt_i64_e64 s7, v[3:4], v[1:2]
	s_or_b32 s7, s8, s7
	s_wait_alu 0xfffe
	s_and_b32 s7, s9, s7
	s_wait_alu 0xfffe
	s_xor_b32 s8, s7, -1
	s_delay_alu instid0(SALU_CYCLE_1) | instskip(NEXT) | instid1(SALU_CYCLE_1)
	s_and_saveexec_b32 s9, s8
	s_xor_b32 s8, exec_lo, s9
; %bb.47:                               ;   in Loop: Header=BB142_2 Depth=1
	ds_load_b64 v[5:6], v7 offset:8
                                        ; implicit-def: $vgpr72
; %bb.48:                               ;   in Loop: Header=BB142_2 Depth=1
	s_or_saveexec_b32 s8, s8
	v_dual_mov_b32 v8, v4 :: v_dual_mov_b32 v7, v3
	s_xor_b32 exec_lo, exec_lo, s8
	s_cbranch_execz .LBB142_50
; %bb.49:                               ;   in Loop: Header=BB142_2 Depth=1
	ds_load_b64 v[7:8], v72 offset:8
	s_wait_dscnt 0x1
	v_dual_mov_b32 v6, v2 :: v_dual_mov_b32 v5, v1
.LBB142_50:                             ;   in Loop: Header=BB142_2 Depth=1
	s_or_b32 exec_lo, exec_lo, s8
	v_add_nc_u32_e32 v72, 1, v71
	v_add_nc_u32_e32 v73, 1, v70
	s_wait_dscnt 0x0
	v_cmp_lt_i64_e64 s8, v[7:8], v[5:6]
	v_cndmask_b32_e64 v2, v2, v4, s7
	v_cndmask_b32_e64 v1, v1, v3, s7
	;; [unrolled: 1-line block ×4, first 2 shown]
	s_wait_loadcnt 0x0
	s_barrier_signal -1
	s_barrier_wait -1
	v_cmp_ge_i32_e64 s9, v71, v42
	v_cmp_lt_i32_e64 s10, v70, v43
	global_inv scope:SCOPE_SE
	s_or_b32 s7, s9, s8
	s_wait_alu 0xfffe
	s_and_b32 s7, s10, s7
	s_wait_alu 0xfffe
	v_cndmask_b32_e64 v4, v6, v8, s7
	v_cndmask_b32_e64 v3, v5, v7, s7
	v_mov_b32_e32 v5, v54
	ds_store_2addr_b64 v13, v[1:2], v[3:4] offset1:1
	s_wait_loadcnt_dscnt 0x0
	s_barrier_signal -1
	s_barrier_wait -1
	global_inv scope:SCOPE_SE
	s_and_saveexec_b32 s8, s5
	s_cbranch_execz .LBB142_54
; %bb.51:                               ;   in Loop: Header=BB142_2 Depth=1
	v_mov_b32_e32 v5, v54
	v_mov_b32_e32 v1, v55
	s_mov_b32 s9, 0
.LBB142_52:                             ;   Parent Loop BB142_2 Depth=1
                                        ; =>  This Inner Loop Header: Depth=2
	s_delay_alu instid0(VALU_DEP_1) | instskip(NEXT) | instid1(VALU_DEP_1)
	v_sub_nc_u32_e32 v2, v1, v5
	v_lshrrev_b32_e32 v2, 1, v2
	s_delay_alu instid0(VALU_DEP_1) | instskip(NEXT) | instid1(VALU_DEP_1)
	v_add_nc_u32_e32 v4, v2, v5
	v_not_b32_e32 v2, v4
	v_lshl_add_u32 v3, v4, 3, v57
	s_delay_alu instid0(VALU_DEP_2)
	v_lshl_add_u32 v6, v2, 3, v68
	ds_load_b64 v[2:3], v3
	ds_load_b64 v[6:7], v6
	s_wait_dscnt 0x0
	v_cmp_lt_i64_e64 s7, v[6:7], v[2:3]
	v_add_nc_u32_e32 v2, 1, v4
	s_wait_alu 0xf1ff
	s_delay_alu instid0(VALU_DEP_2) | instskip(NEXT) | instid1(VALU_DEP_2)
	v_cndmask_b32_e64 v1, v1, v4, s7
	v_cndmask_b32_e64 v5, v2, v5, s7
	s_delay_alu instid0(VALU_DEP_1) | instskip(SKIP_1) | instid1(SALU_CYCLE_1)
	v_cmp_ge_i32_e64 s7, v5, v1
	s_or_b32 s9, s7, s9
	s_and_not1_b32 exec_lo, exec_lo, s9
	s_cbranch_execnz .LBB142_52
; %bb.53:                               ;   in Loop: Header=BB142_2 Depth=1
	s_or_b32 exec_lo, exec_lo, s9
.LBB142_54:                             ;   in Loop: Header=BB142_2 Depth=1
	s_delay_alu instid0(SALU_CYCLE_1) | instskip(SKIP_3) | instid1(VALU_DEP_3)
	s_or_b32 exec_lo, exec_lo, s8
	v_sub_nc_u32_e32 v70, v60, v5
	v_lshl_add_u32 v7, v5, 3, v57
	v_add_nc_u32_e32 v71, v5, v45
                                        ; implicit-def: $vgpr5_vgpr6
	v_lshlrev_b32_e32 v72, 3, v70
	v_cmp_gt_i32_e64 s9, v49, v70
	s_delay_alu instid0(VALU_DEP_3)
	v_cmp_le_i32_e64 s8, v48, v71
	ds_load_b64 v[1:2], v7
	ds_load_b64 v[3:4], v72
	s_wait_dscnt 0x0
	v_cmp_lt_i64_e64 s7, v[3:4], v[1:2]
	s_or_b32 s7, s8, s7
	s_wait_alu 0xfffe
	s_and_b32 s7, s9, s7
	s_wait_alu 0xfffe
	s_xor_b32 s8, s7, -1
	s_delay_alu instid0(SALU_CYCLE_1) | instskip(NEXT) | instid1(SALU_CYCLE_1)
	s_and_saveexec_b32 s9, s8
	s_xor_b32 s8, exec_lo, s9
; %bb.55:                               ;   in Loop: Header=BB142_2 Depth=1
	ds_load_b64 v[5:6], v7 offset:8
                                        ; implicit-def: $vgpr72
; %bb.56:                               ;   in Loop: Header=BB142_2 Depth=1
	s_or_saveexec_b32 s8, s8
	v_dual_mov_b32 v8, v4 :: v_dual_mov_b32 v7, v3
	s_xor_b32 exec_lo, exec_lo, s8
	s_cbranch_execz .LBB142_58
; %bb.57:                               ;   in Loop: Header=BB142_2 Depth=1
	ds_load_b64 v[7:8], v72 offset:8
	s_wait_dscnt 0x1
	v_dual_mov_b32 v6, v2 :: v_dual_mov_b32 v5, v1
.LBB142_58:                             ;   in Loop: Header=BB142_2 Depth=1
	s_or_b32 exec_lo, exec_lo, s8
	v_add_nc_u32_e32 v72, 1, v71
	v_add_nc_u32_e32 v73, 1, v70
	s_wait_dscnt 0x0
	v_cmp_lt_i64_e64 s8, v[7:8], v[5:6]
	v_cndmask_b32_e64 v2, v2, v4, s7
	v_cndmask_b32_e64 v1, v1, v3, s7
	;; [unrolled: 1-line block ×4, first 2 shown]
	s_wait_loadcnt 0x0
	s_barrier_signal -1
	s_barrier_wait -1
	v_cmp_ge_i32_e64 s9, v71, v48
	v_cmp_lt_i32_e64 s10, v70, v49
	v_mov_b32_e32 v70, v58
	global_inv scope:SCOPE_SE
	s_or_b32 s7, s9, s8
	s_wait_alu 0xfffe
	s_and_b32 s7, s10, s7
	s_wait_alu 0xfffe
	v_cndmask_b32_e64 v4, v6, v8, s7
	v_cndmask_b32_e64 v3, v5, v7, s7
	ds_store_2addr_b64 v13, v[1:2], v[3:4] offset1:1
	s_wait_loadcnt_dscnt 0x0
	s_barrier_signal -1
	s_barrier_wait -1
	global_inv scope:SCOPE_SE
	s_and_saveexec_b32 s8, s6
	s_cbranch_execz .LBB142_62
; %bb.59:                               ;   in Loop: Header=BB142_2 Depth=1
	v_dual_mov_b32 v70, v58 :: v_dual_mov_b32 v1, v59
	s_mov_b32 s9, 0
.LBB142_60:                             ;   Parent Loop BB142_2 Depth=1
                                        ; =>  This Inner Loop Header: Depth=2
	s_delay_alu instid0(VALU_DEP_1) | instskip(NEXT) | instid1(VALU_DEP_1)
	v_sub_nc_u32_e32 v2, v1, v70
	v_lshrrev_b32_e32 v2, 1, v2
	s_delay_alu instid0(VALU_DEP_1) | instskip(NEXT) | instid1(VALU_DEP_1)
	v_add_nc_u32_e32 v6, v2, v70
	v_not_b32_e32 v2, v6
	v_lshlrev_b32_e32 v3, 3, v6
	s_delay_alu instid0(VALU_DEP_2)
	v_lshl_add_u32 v4, v2, 3, v69
	ds_load_b64 v[2:3], v3
	ds_load_b64 v[4:5], v4
	s_wait_dscnt 0x0
	v_cmp_lt_i64_e64 s7, v[4:5], v[2:3]
	v_add_nc_u32_e32 v2, 1, v6
	s_wait_alu 0xf1ff
	s_delay_alu instid0(VALU_DEP_2) | instskip(NEXT) | instid1(VALU_DEP_2)
	v_cndmask_b32_e64 v1, v1, v6, s7
	v_cndmask_b32_e64 v70, v2, v70, s7
	s_delay_alu instid0(VALU_DEP_1) | instskip(SKIP_1) | instid1(SALU_CYCLE_1)
	v_cmp_ge_i32_e64 s7, v70, v1
	s_or_b32 s9, s7, s9
	s_and_not1_b32 exec_lo, exec_lo, s9
	s_cbranch_execnz .LBB142_60
; %bb.61:                               ;   in Loop: Header=BB142_2 Depth=1
	s_or_b32 exec_lo, exec_lo, s9
.LBB142_62:                             ;   in Loop: Header=BB142_2 Depth=1
	s_delay_alu instid0(SALU_CYCLE_1) | instskip(SKIP_3) | instid1(VALU_DEP_3)
	s_or_b32 exec_lo, exec_lo, s8
	v_sub_nc_u32_e32 v71, v61, v70
	v_lshlrev_b32_e32 v7, 3, v70
	v_cmp_le_i32_e64 s8, 0x100, v70
                                        ; implicit-def: $vgpr5_vgpr6
	v_lshlrev_b32_e32 v72, 3, v71
	v_cmp_gt_i32_e64 s9, 0x200, v71
	ds_load_b64 v[1:2], v7
	ds_load_b64 v[3:4], v72
	s_wait_dscnt 0x0
	v_cmp_lt_i64_e64 s7, v[3:4], v[1:2]
	s_or_b32 s7, s8, s7
	s_wait_alu 0xfffe
	s_and_b32 s7, s9, s7
	s_wait_alu 0xfffe
	s_xor_b32 s8, s7, -1
	s_delay_alu instid0(SALU_CYCLE_1) | instskip(NEXT) | instid1(SALU_CYCLE_1)
	s_and_saveexec_b32 s9, s8
	s_xor_b32 s8, exec_lo, s9
; %bb.63:                               ;   in Loop: Header=BB142_2 Depth=1
	ds_load_b64 v[5:6], v7 offset:8
	v_add_nc_u32_e32 v70, 1, v70
                                        ; implicit-def: $vgpr72
; %bb.64:                               ;   in Loop: Header=BB142_2 Depth=1
	s_or_saveexec_b32 s8, s8
	v_dual_mov_b32 v8, v4 :: v_dual_mov_b32 v7, v3
	s_xor_b32 exec_lo, exec_lo, s8
	s_cbranch_execz .LBB142_1
; %bb.65:                               ;   in Loop: Header=BB142_2 Depth=1
	ds_load_b64 v[7:8], v72 offset:8
	s_wait_dscnt 0x1
	v_dual_mov_b32 v6, v2 :: v_dual_add_nc_u32 v71, 1, v71
	v_mov_b32_e32 v5, v1
	s_branch .LBB142_1
.LBB142_66:
	v_lshlrev_b32_e32 v0, 3, v0
	s_add_nc_u64 s[0:1], s[14:15], s[16:17]
	s_clause 0x1
	global_store_b64 v0, v[1:2], s[0:1]
	global_store_b64 v0, v[3:4], s[0:1] offset:2048
	s_endpgm
	.section	.rodata,"a",@progbits
	.p2align	6, 0x0
	.amdhsa_kernel _Z16sort_keys_kernelIxLj256ELj2EN10test_utils4lessELj10EEvPKT_PS2_T2_
		.amdhsa_group_segment_fixed_size 4104
		.amdhsa_private_segment_fixed_size 0
		.amdhsa_kernarg_size 20
		.amdhsa_user_sgpr_count 2
		.amdhsa_user_sgpr_dispatch_ptr 0
		.amdhsa_user_sgpr_queue_ptr 0
		.amdhsa_user_sgpr_kernarg_segment_ptr 1
		.amdhsa_user_sgpr_dispatch_id 0
		.amdhsa_user_sgpr_private_segment_size 0
		.amdhsa_wavefront_size32 1
		.amdhsa_uses_dynamic_stack 0
		.amdhsa_enable_private_segment 0
		.amdhsa_system_sgpr_workgroup_id_x 1
		.amdhsa_system_sgpr_workgroup_id_y 0
		.amdhsa_system_sgpr_workgroup_id_z 0
		.amdhsa_system_sgpr_workgroup_info 0
		.amdhsa_system_vgpr_workitem_id 0
		.amdhsa_next_free_vgpr 74
		.amdhsa_next_free_sgpr 18
		.amdhsa_reserve_vcc 1
		.amdhsa_float_round_mode_32 0
		.amdhsa_float_round_mode_16_64 0
		.amdhsa_float_denorm_mode_32 3
		.amdhsa_float_denorm_mode_16_64 3
		.amdhsa_fp16_overflow 0
		.amdhsa_workgroup_processor_mode 1
		.amdhsa_memory_ordered 1
		.amdhsa_forward_progress 1
		.amdhsa_inst_pref_size 36
		.amdhsa_round_robin_scheduling 0
		.amdhsa_exception_fp_ieee_invalid_op 0
		.amdhsa_exception_fp_denorm_src 0
		.amdhsa_exception_fp_ieee_div_zero 0
		.amdhsa_exception_fp_ieee_overflow 0
		.amdhsa_exception_fp_ieee_underflow 0
		.amdhsa_exception_fp_ieee_inexact 0
		.amdhsa_exception_int_div_zero 0
	.end_amdhsa_kernel
	.section	.text._Z16sort_keys_kernelIxLj256ELj2EN10test_utils4lessELj10EEvPKT_PS2_T2_,"axG",@progbits,_Z16sort_keys_kernelIxLj256ELj2EN10test_utils4lessELj10EEvPKT_PS2_T2_,comdat
.Lfunc_end142:
	.size	_Z16sort_keys_kernelIxLj256ELj2EN10test_utils4lessELj10EEvPKT_PS2_T2_, .Lfunc_end142-_Z16sort_keys_kernelIxLj256ELj2EN10test_utils4lessELj10EEvPKT_PS2_T2_
                                        ; -- End function
	.set _Z16sort_keys_kernelIxLj256ELj2EN10test_utils4lessELj10EEvPKT_PS2_T2_.num_vgpr, 74
	.set _Z16sort_keys_kernelIxLj256ELj2EN10test_utils4lessELj10EEvPKT_PS2_T2_.num_agpr, 0
	.set _Z16sort_keys_kernelIxLj256ELj2EN10test_utils4lessELj10EEvPKT_PS2_T2_.numbered_sgpr, 18
	.set _Z16sort_keys_kernelIxLj256ELj2EN10test_utils4lessELj10EEvPKT_PS2_T2_.num_named_barrier, 0
	.set _Z16sort_keys_kernelIxLj256ELj2EN10test_utils4lessELj10EEvPKT_PS2_T2_.private_seg_size, 0
	.set _Z16sort_keys_kernelIxLj256ELj2EN10test_utils4lessELj10EEvPKT_PS2_T2_.uses_vcc, 1
	.set _Z16sort_keys_kernelIxLj256ELj2EN10test_utils4lessELj10EEvPKT_PS2_T2_.uses_flat_scratch, 0
	.set _Z16sort_keys_kernelIxLj256ELj2EN10test_utils4lessELj10EEvPKT_PS2_T2_.has_dyn_sized_stack, 0
	.set _Z16sort_keys_kernelIxLj256ELj2EN10test_utils4lessELj10EEvPKT_PS2_T2_.has_recursion, 0
	.set _Z16sort_keys_kernelIxLj256ELj2EN10test_utils4lessELj10EEvPKT_PS2_T2_.has_indirect_call, 0
	.section	.AMDGPU.csdata,"",@progbits
; Kernel info:
; codeLenInByte = 4528
; TotalNumSgprs: 20
; NumVgprs: 74
; ScratchSize: 0
; MemoryBound: 0
; FloatMode: 240
; IeeeMode: 1
; LDSByteSize: 4104 bytes/workgroup (compile time only)
; SGPRBlocks: 0
; VGPRBlocks: 9
; NumSGPRsForWavesPerEU: 20
; NumVGPRsForWavesPerEU: 74
; Occupancy: 16
; WaveLimiterHint : 1
; COMPUTE_PGM_RSRC2:SCRATCH_EN: 0
; COMPUTE_PGM_RSRC2:USER_SGPR: 2
; COMPUTE_PGM_RSRC2:TRAP_HANDLER: 0
; COMPUTE_PGM_RSRC2:TGID_X_EN: 1
; COMPUTE_PGM_RSRC2:TGID_Y_EN: 0
; COMPUTE_PGM_RSRC2:TGID_Z_EN: 0
; COMPUTE_PGM_RSRC2:TIDIG_COMP_CNT: 0
	.section	.text._Z17sort_pairs_kernelIxLj256ELj2EN10test_utils4lessELj10EEvPKT_PS2_T2_,"axG",@progbits,_Z17sort_pairs_kernelIxLj256ELj2EN10test_utils4lessELj10EEvPKT_PS2_T2_,comdat
	.protected	_Z17sort_pairs_kernelIxLj256ELj2EN10test_utils4lessELj10EEvPKT_PS2_T2_ ; -- Begin function _Z17sort_pairs_kernelIxLj256ELj2EN10test_utils4lessELj10EEvPKT_PS2_T2_
	.globl	_Z17sort_pairs_kernelIxLj256ELj2EN10test_utils4lessELj10EEvPKT_PS2_T2_
	.p2align	8
	.type	_Z17sort_pairs_kernelIxLj256ELj2EN10test_utils4lessELj10EEvPKT_PS2_T2_,@function
_Z17sort_pairs_kernelIxLj256ELj2EN10test_utils4lessELj10EEvPKT_PS2_T2_: ; @_Z17sort_pairs_kernelIxLj256ELj2EN10test_utils4lessELj10EEvPKT_PS2_T2_
; %bb.0:
	s_load_b128 s[12:15], s[0:1], 0x0
	s_lshl_b32 s18, ttmp9, 9
	s_mov_b32 s19, 0
	v_lshlrev_b32_e32 v1, 3, v0
	s_lshl_b64 s[16:17], s[18:19], 3
	v_lshlrev_b32_e32 v5, 1, v0
	v_lshlrev_b32_e32 v17, 4, v0
	s_delay_alu instid0(VALU_DEP_2)
	v_and_b32_e32 v18, 0x1fc, v5
	v_and_b32_e32 v6, 2, v5
	;; [unrolled: 1-line block ×5, first 2 shown]
	v_or_b32_e32 v28, 2, v18
	v_add_nc_u32_e32 v29, 4, v18
	v_and_b32_e32 v8, 14, v5
	v_and_b32_e32 v21, 0x1e0, v5
	;; [unrolled: 1-line block ×3, first 2 shown]
	s_wait_kmcnt 0x0
	s_add_nc_u64 s[0:1], s[12:13], s[16:17]
	v_and_b32_e32 v22, 0x1c0, v5
	s_clause 0x1
	global_load_b64 v[3:4], v1, s[0:1]
	global_load_b64 v[1:2], v1, s[0:1] offset:2048
	v_and_b32_e32 v10, 62, v5
	v_and_b32_e32 v23, 0x180, v5
	;; [unrolled: 1-line block ×5, first 2 shown]
	v_subrev_nc_u32_e64 v25, 0x100, v5 clamp
	v_min_i32_e32 v26, 0x100, v5
	v_add_nc_u32_e32 v27, 0x100, v5
	v_or_b32_e32 v31, 4, v19
	v_add_nc_u32_e32 v32, 8, v19
	v_lshlrev_b32_e32 v5, 3, v6
	v_sub_nc_u32_e32 v70, v29, v28
	v_or_b32_e32 v34, 8, v20
	v_add_nc_u32_e32 v35, 16, v20
	v_lshlrev_b32_e32 v13, 3, v7
	v_sub_nc_u32_e32 v71, v32, v31
	v_lshl_add_u32 v56, v28, 3, v5
	v_sub_nc_u32_e32 v5, v6, v70
	v_cmp_ge_i32_e64 s0, v6, v70
	v_or_b32_e32 v37, 16, v21
	v_add_nc_u32_e32 v38, 32, v21
	v_lshlrev_b32_e32 v14, 3, v8
	v_sub_nc_u32_e32 v72, v35, v34
	v_lshl_add_u32 v57, v31, 3, v13
	v_sub_nc_u32_e32 v13, v7, v71
	v_cndmask_b32_e64 v70, 0, v5, s0
	v_cmp_ge_i32_e64 s0, v7, v71
	v_or_b32_e32 v40, 32, v22
	v_add_nc_u32_e32 v41, 64, v22
	v_lshlrev_b32_e32 v15, 3, v9
	v_sub_nc_u32_e32 v73, v38, v37
	v_lshl_add_u32 v58, v34, 3, v14
	v_sub_nc_u32_e32 v14, v8, v72
	s_wait_alu 0xf1ff
	v_cndmask_b32_e64 v71, 0, v13, s0
	v_cmp_ge_i32_e64 s0, v8, v72
	v_or_b32_e32 v43, 64, v23
	v_add_nc_u32_e32 v44, 0x80, v23
	v_lshlrev_b32_e32 v16, 3, v10
	v_sub_nc_u32_e32 v74, v41, v40
	v_lshl_add_u32 v59, v37, 3, v15
	v_sub_nc_u32_e32 v15, v9, v73
	s_wait_alu 0xf1ff
	v_cndmask_b32_e64 v72, 0, v14, s0
	v_cmp_ge_i32_e64 s0, v9, v73
	v_or_b32_e32 v46, 0x80, v24
	v_add_nc_u32_e32 v47, 0x100, v24
	v_sub_nc_u32_e32 v75, v44, v43
	v_lshl_add_u32 v60, v40, 3, v16
	v_sub_nc_u32_e32 v16, v10, v74
	s_wait_alu 0xf1ff
	v_cndmask_b32_e64 v73, 0, v15, s0
	v_cmp_ge_i32_e64 s0, v10, v74
	v_sub_nc_u32_e32 v76, v47, v46
	v_sub_nc_u32_e32 v77, v11, v75
	;; [unrolled: 1-line block ×4, first 2 shown]
	s_wait_alu 0xf1ff
	v_cndmask_b32_e64 v74, 0, v16, s0
	v_cmp_ge_i32_e64 s0, v11, v75
	v_sub_nc_u32_e32 v65, v34, v20
	v_sub_nc_u32_e32 v66, v37, v21
	;; [unrolled: 1-line block ×6, first 2 shown]
	s_wait_alu 0xf1ff
	v_cndmask_b32_e64 v75, 0, v77, s0
	v_cmp_ge_i32_e64 s0, v12, v76
	v_lshlrev_b32_e32 v61, 3, v11
	v_lshlrev_b32_e32 v62, 3, v12
	v_min_i32_e32 v63, v6, v63
	v_min_i32_e32 v64, v7, v64
	;; [unrolled: 1-line block ×7, first 2 shown]
	s_wait_alu 0xf1ff
	v_cndmask_b32_e64 v76, 0, v78, s0
	v_add_nc_u32_e32 v50, v31, v7
	v_add_nc_u32_e32 v51, v34, v8
	v_lshlrev_b32_e32 v30, 3, v18
	v_lshlrev_b32_e32 v33, 3, v19
	;; [unrolled: 1-line block ×7, first 2 shown]
	v_add_nc_u32_e32 v49, v28, v6
	v_add_nc_u32_e32 v52, v37, v9
	;; [unrolled: 1-line block ×5, first 2 shown]
	v_lshl_add_u32 v61, v43, 3, v61
	v_lshl_add_u32 v62, v46, 3, v62
	v_cmp_lt_i32_e64 s0, v70, v63
	v_cmp_lt_i32_e64 s1, v71, v64
	;; [unrolled: 1-line block ×7, first 2 shown]
	v_add_nc_u32_e32 v77, 0x800, v17
	v_cmp_lt_i32_e32 vcc_lo, v25, v26
	s_wait_loadcnt 0x1
	v_add_co_u32 v7, s7, v3, 1
	s_delay_alu instid0(VALU_DEP_1)
	v_add_co_ci_u32_e64 v8, null, 0, v4, s7
	s_wait_loadcnt 0x0
	v_add_co_u32 v5, s7, v1, 1
	s_wait_alu 0xf1ff
	v_add_co_ci_u32_e64 v6, null, 0, v2, s7
	s_branch .LBB143_2
.LBB143_1:                              ;   in Loop: Header=BB143_2 Depth=1
	s_or_b32 exec_lo, exec_lo, s8
	s_wait_dscnt 0x0
	s_delay_alu instid0(VALU_DEP_1)
	v_cmp_lt_i64_e64 s8, v[13:14], v[1:2]
	v_cmp_le_i32_e64 s9, 0x100, v15
	v_cmp_gt_i32_e64 s10, 0x200, v8
	s_wait_loadcnt 0x0
	s_barrier_signal -1
	s_barrier_wait -1
	s_or_b32 s8, s9, s8
	global_inv scope:SCOPE_SE
	s_wait_alu 0xfffe
	s_and_b32 s8, s10, s8
	ds_store_2addr_b64 v17, v[3:4], v[5:6] offset1:1
	s_wait_alu 0xfffe
	v_cndmask_b32_e64 v7, v15, v8, s8
	v_lshlrev_b32_e32 v3, 3, v16
	s_wait_loadcnt_dscnt 0x0
	s_barrier_signal -1
	s_barrier_wait -1
	v_lshlrev_b32_e32 v4, 3, v7
	global_inv scope:SCOPE_SE
	v_cndmask_b32_e64 v2, v2, v14, s8
	v_cndmask_b32_e64 v1, v1, v13, s8
	ds_load_b64 v[7:8], v3
	ds_load_b64 v[5:6], v4
	v_cndmask_b32_e64 v4, v10, v12, s7
	v_cndmask_b32_e64 v3, v9, v11, s7
	s_add_co_i32 s19, s19, 1
	s_delay_alu instid0(SALU_CYCLE_1)
	s_cmp_eq_u32 s19, 10
	s_cbranch_scc1 .LBB143_66
.LBB143_2:                              ; =>This Loop Header: Depth=1
                                        ;     Child Loop BB143_4 Depth 2
                                        ;     Child Loop BB143_12 Depth 2
	;; [unrolled: 1-line block ×8, first 2 shown]
	s_delay_alu instid0(VALU_DEP_1)
	v_cmp_lt_i64_e64 s7, v[1:2], v[3:4]
	s_barrier_signal -1
	s_barrier_wait -1
	global_inv scope:SCOPE_SE
	s_wait_alu 0xf1ff
	v_cndmask_b32_e64 v10, v2, v4, s7
	v_cndmask_b32_e64 v9, v1, v3, s7
	;; [unrolled: 1-line block ×4, first 2 shown]
	v_mov_b32_e32 v2, v70
	ds_store_2addr_b64 v17, v[3:4], v[9:10] offset1:1
	s_wait_loadcnt_dscnt 0x0
	s_barrier_signal -1
	s_barrier_wait -1
	global_inv scope:SCOPE_SE
	s_and_saveexec_b32 s9, s0
	s_cbranch_execz .LBB143_6
; %bb.3:                                ;   in Loop: Header=BB143_2 Depth=1
	v_dual_mov_b32 v2, v70 :: v_dual_mov_b32 v1, v63
	s_mov_b32 s10, 0
.LBB143_4:                              ;   Parent Loop BB143_2 Depth=1
                                        ; =>  This Inner Loop Header: Depth=2
	s_delay_alu instid0(VALU_DEP_1) | instskip(NEXT) | instid1(VALU_DEP_1)
	v_sub_nc_u32_e32 v3, v1, v2
	v_lshrrev_b32_e32 v3, 1, v3
	s_delay_alu instid0(VALU_DEP_1) | instskip(NEXT) | instid1(VALU_DEP_1)
	v_add_nc_u32_e32 v11, v3, v2
	v_not_b32_e32 v3, v11
	v_lshl_add_u32 v4, v11, 3, v30
	s_delay_alu instid0(VALU_DEP_2)
	v_lshl_add_u32 v9, v3, 3, v56
	ds_load_b64 v[3:4], v4
	ds_load_b64 v[9:10], v9
	s_wait_dscnt 0x0
	v_cmp_lt_i64_e64 s8, v[9:10], v[3:4]
	v_add_nc_u32_e32 v3, 1, v11
	s_wait_alu 0xf1ff
	s_delay_alu instid0(VALU_DEP_2) | instskip(NEXT) | instid1(VALU_DEP_2)
	v_cndmask_b32_e64 v1, v1, v11, s8
	v_cndmask_b32_e64 v2, v3, v2, s8
	s_delay_alu instid0(VALU_DEP_1) | instskip(SKIP_1) | instid1(SALU_CYCLE_1)
	v_cmp_ge_i32_e64 s8, v2, v1
	s_or_b32 s10, s8, s10
	s_and_not1_b32 exec_lo, exec_lo, s10
	s_cbranch_execnz .LBB143_4
; %bb.5:                                ;   in Loop: Header=BB143_2 Depth=1
	s_or_b32 exec_lo, exec_lo, s10
.LBB143_6:                              ;   in Loop: Header=BB143_2 Depth=1
	s_wait_alu 0xfffe
	s_or_b32 exec_lo, exec_lo, s9
	v_sub_nc_u32_e32 v1, v49, v2
	v_lshl_add_u32 v4, v2, 3, v30
	v_add_nc_u32_e32 v2, v2, v18
                                        ; implicit-def: $vgpr13_vgpr14
	s_delay_alu instid0(VALU_DEP_3) | instskip(SKIP_1) | instid1(VALU_DEP_3)
	v_lshlrev_b32_e32 v3, 3, v1
	v_cmp_gt_i32_e64 s10, v29, v1
	v_cmp_le_i32_e64 s9, v28, v2
	ds_load_b64 v[9:10], v4
	ds_load_b64 v[11:12], v3
	s_wait_dscnt 0x0
	v_cmp_lt_i64_e64 s8, v[11:12], v[9:10]
	s_or_b32 s8, s9, s8
	s_wait_alu 0xfffe
	s_and_b32 s8, s10, s8
	s_wait_alu 0xfffe
	s_xor_b32 s9, s8, -1
	s_wait_alu 0xfffe
	s_and_saveexec_b32 s10, s9
	s_delay_alu instid0(SALU_CYCLE_1)
	s_xor_b32 s9, exec_lo, s10
; %bb.7:                                ;   in Loop: Header=BB143_2 Depth=1
	ds_load_b64 v[13:14], v4 offset:8
                                        ; implicit-def: $vgpr3
; %bb.8:                                ;   in Loop: Header=BB143_2 Depth=1
	s_wait_alu 0xfffe
	s_or_saveexec_b32 s9, s9
	v_dual_mov_b32 v16, v12 :: v_dual_mov_b32 v15, v11
	s_wait_alu 0xfffe
	s_xor_b32 exec_lo, exec_lo, s9
	s_cbranch_execz .LBB143_10
; %bb.9:                                ;   in Loop: Header=BB143_2 Depth=1
	ds_load_b64 v[15:16], v3 offset:8
	s_wait_dscnt 0x1
	v_dual_mov_b32 v14, v10 :: v_dual_mov_b32 v13, v9
.LBB143_10:                             ;   in Loop: Header=BB143_2 Depth=1
	s_or_b32 exec_lo, exec_lo, s9
	v_add_nc_u32_e32 v3, 1, v2
	v_add_nc_u32_e32 v4, 1, v1
	s_wait_dscnt 0x0
	v_cmp_lt_i64_e64 s9, v[15:16], v[13:14]
	v_cndmask_b32_e64 v78, v2, v1, s8
	s_wait_loadcnt 0x0
	v_cndmask_b32_e64 v79, v3, v2, s8
	v_cndmask_b32_e64 v80, v1, v4, s8
	;; [unrolled: 1-line block ×5, first 2 shown]
	v_cmp_ge_i32_e64 s10, v79, v28
	v_cmp_lt_i32_e64 s11, v80, v29
	v_cndmask_b32_e64 v3, v7, v5, s7
	s_barrier_signal -1
	s_barrier_wait -1
	s_or_b32 s7, s10, s9
	global_inv scope:SCOPE_SE
	s_wait_alu 0xfffe
	s_and_b32 s7, s11, s7
	ds_store_2addr_b64 v17, v[3:4], v[1:2] offset1:1
	s_wait_alu 0xfffe
	v_cndmask_b32_e64 v5, v79, v80, s7
	v_lshlrev_b32_e32 v1, 3, v78
	s_wait_loadcnt_dscnt 0x0
	s_barrier_signal -1
	s_barrier_wait -1
	v_lshlrev_b32_e32 v3, 3, v5
	global_inv scope:SCOPE_SE
	v_cndmask_b32_e64 v6, v14, v16, s7
	v_cndmask_b32_e64 v8, v10, v12, s8
	ds_load_b64 v[1:2], v1
	ds_load_b64 v[3:4], v3
	v_cndmask_b32_e64 v7, v9, v11, s8
	v_cndmask_b32_e64 v5, v13, v15, s7
	v_mov_b32_e32 v9, v71
	s_wait_loadcnt_dscnt 0x0
	s_barrier_signal -1
	s_barrier_wait -1
	global_inv scope:SCOPE_SE
	ds_store_2addr_b64 v17, v[7:8], v[5:6] offset1:1
	s_wait_loadcnt_dscnt 0x0
	s_barrier_signal -1
	s_barrier_wait -1
	global_inv scope:SCOPE_SE
	s_and_saveexec_b32 s8, s1
	s_cbranch_execz .LBB143_14
; %bb.11:                               ;   in Loop: Header=BB143_2 Depth=1
	v_mov_b32_e32 v9, v71
	v_mov_b32_e32 v5, v64
	s_mov_b32 s9, 0
.LBB143_12:                             ;   Parent Loop BB143_2 Depth=1
                                        ; =>  This Inner Loop Header: Depth=2
	s_delay_alu instid0(VALU_DEP_1) | instskip(NEXT) | instid1(VALU_DEP_1)
	v_sub_nc_u32_e32 v6, v5, v9
	v_lshrrev_b32_e32 v6, 1, v6
	s_delay_alu instid0(VALU_DEP_1) | instskip(NEXT) | instid1(VALU_DEP_1)
	v_add_nc_u32_e32 v8, v6, v9
	v_not_b32_e32 v6, v8
	v_lshl_add_u32 v7, v8, 3, v33
	s_delay_alu instid0(VALU_DEP_2)
	v_lshl_add_u32 v10, v6, 3, v57
	ds_load_b64 v[6:7], v7
	ds_load_b64 v[10:11], v10
	s_wait_dscnt 0x0
	v_cmp_lt_i64_e64 s7, v[10:11], v[6:7]
	v_add_nc_u32_e32 v6, 1, v8
	s_wait_alu 0xf1ff
	s_delay_alu instid0(VALU_DEP_2) | instskip(NEXT) | instid1(VALU_DEP_2)
	v_cndmask_b32_e64 v5, v5, v8, s7
	v_cndmask_b32_e64 v9, v6, v9, s7
	s_delay_alu instid0(VALU_DEP_1)
	v_cmp_ge_i32_e64 s7, v9, v5
	s_wait_alu 0xfffe
	s_or_b32 s9, s7, s9
	s_wait_alu 0xfffe
	s_and_not1_b32 exec_lo, exec_lo, s9
	s_cbranch_execnz .LBB143_12
; %bb.13:                               ;   in Loop: Header=BB143_2 Depth=1
	s_or_b32 exec_lo, exec_lo, s9
.LBB143_14:                             ;   in Loop: Header=BB143_2 Depth=1
	s_wait_alu 0xfffe
	s_or_b32 exec_lo, exec_lo, s8
	v_sub_nc_u32_e32 v13, v50, v9
	v_lshl_add_u32 v11, v9, 3, v33
	v_add_nc_u32_e32 v14, v9, v19
                                        ; implicit-def: $vgpr9_vgpr10
	s_delay_alu instid0(VALU_DEP_3) | instskip(SKIP_1) | instid1(VALU_DEP_3)
	v_lshlrev_b32_e32 v15, 3, v13
	v_cmp_gt_i32_e64 s9, v32, v13
	v_cmp_le_i32_e64 s8, v31, v14
	ds_load_b64 v[5:6], v11
	ds_load_b64 v[7:8], v15
	s_wait_dscnt 0x0
	v_cmp_lt_i64_e64 s7, v[7:8], v[5:6]
	s_or_b32 s7, s8, s7
	s_wait_alu 0xfffe
	s_and_b32 s7, s9, s7
	s_wait_alu 0xfffe
	s_xor_b32 s8, s7, -1
	s_wait_alu 0xfffe
	s_and_saveexec_b32 s9, s8
	s_wait_alu 0xfffe
	s_xor_b32 s8, exec_lo, s9
; %bb.15:                               ;   in Loop: Header=BB143_2 Depth=1
	ds_load_b64 v[9:10], v11 offset:8
                                        ; implicit-def: $vgpr15
; %bb.16:                               ;   in Loop: Header=BB143_2 Depth=1
	s_wait_alu 0xfffe
	s_or_saveexec_b32 s8, s8
	v_dual_mov_b32 v12, v8 :: v_dual_mov_b32 v11, v7
	s_wait_alu 0xfffe
	s_xor_b32 exec_lo, exec_lo, s8
	s_cbranch_execz .LBB143_18
; %bb.17:                               ;   in Loop: Header=BB143_2 Depth=1
	ds_load_b64 v[11:12], v15 offset:8
	s_wait_dscnt 0x1
	v_dual_mov_b32 v10, v6 :: v_dual_mov_b32 v9, v5
.LBB143_18:                             ;   in Loop: Header=BB143_2 Depth=1
	s_or_b32 exec_lo, exec_lo, s8
	v_add_nc_u32_e32 v15, 1, v14
	v_add_nc_u32_e32 v16, 1, v13
	s_wait_dscnt 0x0
	v_cmp_lt_i64_e64 s8, v[11:12], v[9:10]
	s_wait_loadcnt 0x0
	s_barrier_signal -1
	v_cndmask_b32_e64 v15, v15, v14, s7
	v_cndmask_b32_e64 v16, v13, v16, s7
	;; [unrolled: 1-line block ×3, first 2 shown]
	s_barrier_wait -1
	global_inv scope:SCOPE_SE
	v_cmp_ge_i32_e64 s9, v15, v31
	v_cmp_lt_i32_e64 s10, v16, v32
	ds_store_2addr_b64 v17, v[1:2], v[3:4] offset1:1
	v_lshlrev_b32_e32 v1, 3, v13
	s_wait_loadcnt_dscnt 0x0
	s_or_b32 s8, s9, s8
	s_barrier_signal -1
	s_wait_alu 0xfffe
	s_and_b32 s8, s10, s8
	s_barrier_wait -1
	s_wait_alu 0xfffe
	v_cndmask_b32_e64 v10, v10, v12, s8
	v_cndmask_b32_e64 v12, v15, v16, s8
	global_inv scope:SCOPE_SE
	v_cndmask_b32_e64 v6, v6, v8, s7
	v_cndmask_b32_e64 v5, v5, v7, s7
	;; [unrolled: 1-line block ×3, first 2 shown]
	v_lshlrev_b32_e32 v3, 3, v12
	ds_load_b64 v[1:2], v1
	ds_load_b64 v[3:4], v3
	s_wait_loadcnt_dscnt 0x0
	s_barrier_signal -1
	s_barrier_wait -1
	global_inv scope:SCOPE_SE
	ds_store_2addr_b64 v17, v[5:6], v[9:10] offset1:1
	v_mov_b32_e32 v9, v72
	s_wait_loadcnt_dscnt 0x0
	s_barrier_signal -1
	s_barrier_wait -1
	global_inv scope:SCOPE_SE
	s_and_saveexec_b32 s8, s2
	s_cbranch_execz .LBB143_22
; %bb.19:                               ;   in Loop: Header=BB143_2 Depth=1
	v_mov_b32_e32 v9, v72
	v_mov_b32_e32 v5, v65
	s_mov_b32 s9, 0
.LBB143_20:                             ;   Parent Loop BB143_2 Depth=1
                                        ; =>  This Inner Loop Header: Depth=2
	s_delay_alu instid0(VALU_DEP_1) | instskip(NEXT) | instid1(VALU_DEP_1)
	v_sub_nc_u32_e32 v6, v5, v9
	v_lshrrev_b32_e32 v6, 1, v6
	s_delay_alu instid0(VALU_DEP_1) | instskip(NEXT) | instid1(VALU_DEP_1)
	v_add_nc_u32_e32 v8, v6, v9
	v_not_b32_e32 v6, v8
	v_lshl_add_u32 v7, v8, 3, v36
	s_delay_alu instid0(VALU_DEP_2)
	v_lshl_add_u32 v10, v6, 3, v58
	ds_load_b64 v[6:7], v7
	ds_load_b64 v[10:11], v10
	s_wait_dscnt 0x0
	v_cmp_lt_i64_e64 s7, v[10:11], v[6:7]
	v_add_nc_u32_e32 v6, 1, v8
	s_wait_alu 0xf1ff
	s_delay_alu instid0(VALU_DEP_2) | instskip(NEXT) | instid1(VALU_DEP_2)
	v_cndmask_b32_e64 v5, v5, v8, s7
	v_cndmask_b32_e64 v9, v6, v9, s7
	s_delay_alu instid0(VALU_DEP_1)
	v_cmp_ge_i32_e64 s7, v9, v5
	s_wait_alu 0xfffe
	s_or_b32 s9, s7, s9
	s_wait_alu 0xfffe
	s_and_not1_b32 exec_lo, exec_lo, s9
	s_cbranch_execnz .LBB143_20
; %bb.21:                               ;   in Loop: Header=BB143_2 Depth=1
	s_or_b32 exec_lo, exec_lo, s9
.LBB143_22:                             ;   in Loop: Header=BB143_2 Depth=1
	s_wait_alu 0xfffe
	s_or_b32 exec_lo, exec_lo, s8
	v_sub_nc_u32_e32 v13, v51, v9
	v_lshl_add_u32 v11, v9, 3, v36
	v_add_nc_u32_e32 v14, v9, v20
                                        ; implicit-def: $vgpr9_vgpr10
	s_delay_alu instid0(VALU_DEP_3) | instskip(SKIP_1) | instid1(VALU_DEP_3)
	v_lshlrev_b32_e32 v15, 3, v13
	v_cmp_gt_i32_e64 s9, v35, v13
	v_cmp_le_i32_e64 s8, v34, v14
	ds_load_b64 v[5:6], v11
	ds_load_b64 v[7:8], v15
	s_wait_dscnt 0x0
	v_cmp_lt_i64_e64 s7, v[7:8], v[5:6]
	s_or_b32 s7, s8, s7
	s_wait_alu 0xfffe
	s_and_b32 s7, s9, s7
	s_wait_alu 0xfffe
	s_xor_b32 s8, s7, -1
	s_wait_alu 0xfffe
	s_and_saveexec_b32 s9, s8
	s_wait_alu 0xfffe
	s_xor_b32 s8, exec_lo, s9
; %bb.23:                               ;   in Loop: Header=BB143_2 Depth=1
	ds_load_b64 v[9:10], v11 offset:8
                                        ; implicit-def: $vgpr15
; %bb.24:                               ;   in Loop: Header=BB143_2 Depth=1
	s_wait_alu 0xfffe
	s_or_saveexec_b32 s8, s8
	v_dual_mov_b32 v12, v8 :: v_dual_mov_b32 v11, v7
	s_wait_alu 0xfffe
	s_xor_b32 exec_lo, exec_lo, s8
	s_cbranch_execz .LBB143_26
; %bb.25:                               ;   in Loop: Header=BB143_2 Depth=1
	ds_load_b64 v[11:12], v15 offset:8
	s_wait_dscnt 0x1
	v_dual_mov_b32 v10, v6 :: v_dual_mov_b32 v9, v5
.LBB143_26:                             ;   in Loop: Header=BB143_2 Depth=1
	s_or_b32 exec_lo, exec_lo, s8
	v_add_nc_u32_e32 v15, 1, v14
	v_add_nc_u32_e32 v16, 1, v13
	s_wait_dscnt 0x0
	v_cmp_lt_i64_e64 s8, v[11:12], v[9:10]
	s_wait_loadcnt 0x0
	s_barrier_signal -1
	v_cndmask_b32_e64 v15, v15, v14, s7
	v_cndmask_b32_e64 v16, v13, v16, s7
	;; [unrolled: 1-line block ×3, first 2 shown]
	s_barrier_wait -1
	global_inv scope:SCOPE_SE
	v_cmp_ge_i32_e64 s9, v15, v34
	v_cmp_lt_i32_e64 s10, v16, v35
	ds_store_2addr_b64 v17, v[1:2], v[3:4] offset1:1
	v_lshlrev_b32_e32 v1, 3, v13
	s_wait_loadcnt_dscnt 0x0
	s_or_b32 s8, s9, s8
	s_barrier_signal -1
	s_wait_alu 0xfffe
	s_and_b32 s8, s10, s8
	s_barrier_wait -1
	s_wait_alu 0xfffe
	v_cndmask_b32_e64 v10, v10, v12, s8
	v_cndmask_b32_e64 v12, v15, v16, s8
	global_inv scope:SCOPE_SE
	v_cndmask_b32_e64 v6, v6, v8, s7
	v_cndmask_b32_e64 v5, v5, v7, s7
	;; [unrolled: 1-line block ×3, first 2 shown]
	v_lshlrev_b32_e32 v3, 3, v12
	ds_load_b64 v[1:2], v1
	ds_load_b64 v[3:4], v3
	s_wait_loadcnt_dscnt 0x0
	s_barrier_signal -1
	s_barrier_wait -1
	global_inv scope:SCOPE_SE
	ds_store_2addr_b64 v17, v[5:6], v[9:10] offset1:1
	v_mov_b32_e32 v9, v73
	s_wait_loadcnt_dscnt 0x0
	s_barrier_signal -1
	s_barrier_wait -1
	global_inv scope:SCOPE_SE
	s_and_saveexec_b32 s8, s3
	s_cbranch_execz .LBB143_30
; %bb.27:                               ;   in Loop: Header=BB143_2 Depth=1
	v_mov_b32_e32 v9, v73
	v_mov_b32_e32 v5, v66
	s_mov_b32 s9, 0
.LBB143_28:                             ;   Parent Loop BB143_2 Depth=1
                                        ; =>  This Inner Loop Header: Depth=2
	s_delay_alu instid0(VALU_DEP_1) | instskip(NEXT) | instid1(VALU_DEP_1)
	v_sub_nc_u32_e32 v6, v5, v9
	v_lshrrev_b32_e32 v6, 1, v6
	s_delay_alu instid0(VALU_DEP_1) | instskip(NEXT) | instid1(VALU_DEP_1)
	v_add_nc_u32_e32 v8, v6, v9
	v_not_b32_e32 v6, v8
	v_lshl_add_u32 v7, v8, 3, v39
	s_delay_alu instid0(VALU_DEP_2)
	v_lshl_add_u32 v10, v6, 3, v59
	ds_load_b64 v[6:7], v7
	ds_load_b64 v[10:11], v10
	s_wait_dscnt 0x0
	v_cmp_lt_i64_e64 s7, v[10:11], v[6:7]
	v_add_nc_u32_e32 v6, 1, v8
	s_wait_alu 0xf1ff
	s_delay_alu instid0(VALU_DEP_2) | instskip(NEXT) | instid1(VALU_DEP_2)
	v_cndmask_b32_e64 v5, v5, v8, s7
	v_cndmask_b32_e64 v9, v6, v9, s7
	s_delay_alu instid0(VALU_DEP_1)
	v_cmp_ge_i32_e64 s7, v9, v5
	s_wait_alu 0xfffe
	s_or_b32 s9, s7, s9
	s_wait_alu 0xfffe
	s_and_not1_b32 exec_lo, exec_lo, s9
	s_cbranch_execnz .LBB143_28
; %bb.29:                               ;   in Loop: Header=BB143_2 Depth=1
	s_or_b32 exec_lo, exec_lo, s9
.LBB143_30:                             ;   in Loop: Header=BB143_2 Depth=1
	s_wait_alu 0xfffe
	s_or_b32 exec_lo, exec_lo, s8
	v_sub_nc_u32_e32 v13, v52, v9
	v_lshl_add_u32 v11, v9, 3, v39
	v_add_nc_u32_e32 v14, v9, v21
                                        ; implicit-def: $vgpr9_vgpr10
	s_delay_alu instid0(VALU_DEP_3) | instskip(SKIP_1) | instid1(VALU_DEP_3)
	v_lshlrev_b32_e32 v15, 3, v13
	v_cmp_gt_i32_e64 s9, v38, v13
	v_cmp_le_i32_e64 s8, v37, v14
	ds_load_b64 v[5:6], v11
	ds_load_b64 v[7:8], v15
	s_wait_dscnt 0x0
	v_cmp_lt_i64_e64 s7, v[7:8], v[5:6]
	s_or_b32 s7, s8, s7
	s_wait_alu 0xfffe
	s_and_b32 s7, s9, s7
	s_wait_alu 0xfffe
	s_xor_b32 s8, s7, -1
	s_wait_alu 0xfffe
	s_and_saveexec_b32 s9, s8
	s_wait_alu 0xfffe
	s_xor_b32 s8, exec_lo, s9
; %bb.31:                               ;   in Loop: Header=BB143_2 Depth=1
	ds_load_b64 v[9:10], v11 offset:8
                                        ; implicit-def: $vgpr15
; %bb.32:                               ;   in Loop: Header=BB143_2 Depth=1
	s_wait_alu 0xfffe
	s_or_saveexec_b32 s8, s8
	v_dual_mov_b32 v12, v8 :: v_dual_mov_b32 v11, v7
	s_wait_alu 0xfffe
	s_xor_b32 exec_lo, exec_lo, s8
	s_cbranch_execz .LBB143_34
; %bb.33:                               ;   in Loop: Header=BB143_2 Depth=1
	ds_load_b64 v[11:12], v15 offset:8
	s_wait_dscnt 0x1
	v_dual_mov_b32 v10, v6 :: v_dual_mov_b32 v9, v5
.LBB143_34:                             ;   in Loop: Header=BB143_2 Depth=1
	s_or_b32 exec_lo, exec_lo, s8
	v_add_nc_u32_e32 v15, 1, v14
	v_add_nc_u32_e32 v16, 1, v13
	s_wait_dscnt 0x0
	v_cmp_lt_i64_e64 s8, v[11:12], v[9:10]
	s_wait_loadcnt 0x0
	s_barrier_signal -1
	v_cndmask_b32_e64 v15, v15, v14, s7
	v_cndmask_b32_e64 v16, v13, v16, s7
	v_cndmask_b32_e64 v13, v14, v13, s7
	s_barrier_wait -1
	global_inv scope:SCOPE_SE
	v_cmp_ge_i32_e64 s9, v15, v37
	v_cmp_lt_i32_e64 s10, v16, v38
	ds_store_2addr_b64 v17, v[1:2], v[3:4] offset1:1
	v_lshlrev_b32_e32 v1, 3, v13
	s_wait_loadcnt_dscnt 0x0
	s_or_b32 s8, s9, s8
	s_barrier_signal -1
	s_wait_alu 0xfffe
	s_and_b32 s8, s10, s8
	s_barrier_wait -1
	s_wait_alu 0xfffe
	v_cndmask_b32_e64 v10, v10, v12, s8
	v_cndmask_b32_e64 v12, v15, v16, s8
	global_inv scope:SCOPE_SE
	v_cndmask_b32_e64 v6, v6, v8, s7
	v_cndmask_b32_e64 v5, v5, v7, s7
	;; [unrolled: 1-line block ×3, first 2 shown]
	v_lshlrev_b32_e32 v3, 3, v12
	ds_load_b64 v[1:2], v1
	ds_load_b64 v[3:4], v3
	s_wait_loadcnt_dscnt 0x0
	s_barrier_signal -1
	s_barrier_wait -1
	global_inv scope:SCOPE_SE
	ds_store_2addr_b64 v17, v[5:6], v[9:10] offset1:1
	v_mov_b32_e32 v9, v74
	s_wait_loadcnt_dscnt 0x0
	s_barrier_signal -1
	s_barrier_wait -1
	global_inv scope:SCOPE_SE
	s_and_saveexec_b32 s8, s4
	s_cbranch_execz .LBB143_38
; %bb.35:                               ;   in Loop: Header=BB143_2 Depth=1
	v_mov_b32_e32 v9, v74
	v_mov_b32_e32 v5, v67
	s_mov_b32 s9, 0
.LBB143_36:                             ;   Parent Loop BB143_2 Depth=1
                                        ; =>  This Inner Loop Header: Depth=2
	s_delay_alu instid0(VALU_DEP_1) | instskip(NEXT) | instid1(VALU_DEP_1)
	v_sub_nc_u32_e32 v6, v5, v9
	v_lshrrev_b32_e32 v6, 1, v6
	s_delay_alu instid0(VALU_DEP_1) | instskip(NEXT) | instid1(VALU_DEP_1)
	v_add_nc_u32_e32 v8, v6, v9
	v_not_b32_e32 v6, v8
	v_lshl_add_u32 v7, v8, 3, v42
	s_delay_alu instid0(VALU_DEP_2)
	v_lshl_add_u32 v10, v6, 3, v60
	ds_load_b64 v[6:7], v7
	ds_load_b64 v[10:11], v10
	s_wait_dscnt 0x0
	v_cmp_lt_i64_e64 s7, v[10:11], v[6:7]
	v_add_nc_u32_e32 v6, 1, v8
	s_wait_alu 0xf1ff
	s_delay_alu instid0(VALU_DEP_2) | instskip(NEXT) | instid1(VALU_DEP_2)
	v_cndmask_b32_e64 v5, v5, v8, s7
	v_cndmask_b32_e64 v9, v6, v9, s7
	s_delay_alu instid0(VALU_DEP_1)
	v_cmp_ge_i32_e64 s7, v9, v5
	s_wait_alu 0xfffe
	s_or_b32 s9, s7, s9
	s_wait_alu 0xfffe
	s_and_not1_b32 exec_lo, exec_lo, s9
	s_cbranch_execnz .LBB143_36
; %bb.37:                               ;   in Loop: Header=BB143_2 Depth=1
	s_or_b32 exec_lo, exec_lo, s9
.LBB143_38:                             ;   in Loop: Header=BB143_2 Depth=1
	s_wait_alu 0xfffe
	s_or_b32 exec_lo, exec_lo, s8
	v_sub_nc_u32_e32 v13, v53, v9
	v_lshl_add_u32 v11, v9, 3, v42
	v_add_nc_u32_e32 v14, v9, v22
                                        ; implicit-def: $vgpr9_vgpr10
	s_delay_alu instid0(VALU_DEP_3) | instskip(SKIP_1) | instid1(VALU_DEP_3)
	v_lshlrev_b32_e32 v15, 3, v13
	v_cmp_gt_i32_e64 s9, v41, v13
	v_cmp_le_i32_e64 s8, v40, v14
	ds_load_b64 v[5:6], v11
	ds_load_b64 v[7:8], v15
	s_wait_dscnt 0x0
	v_cmp_lt_i64_e64 s7, v[7:8], v[5:6]
	s_or_b32 s7, s8, s7
	s_wait_alu 0xfffe
	s_and_b32 s7, s9, s7
	s_wait_alu 0xfffe
	s_xor_b32 s8, s7, -1
	s_wait_alu 0xfffe
	s_and_saveexec_b32 s9, s8
	s_wait_alu 0xfffe
	s_xor_b32 s8, exec_lo, s9
; %bb.39:                               ;   in Loop: Header=BB143_2 Depth=1
	ds_load_b64 v[9:10], v11 offset:8
                                        ; implicit-def: $vgpr15
; %bb.40:                               ;   in Loop: Header=BB143_2 Depth=1
	s_wait_alu 0xfffe
	s_or_saveexec_b32 s8, s8
	v_dual_mov_b32 v12, v8 :: v_dual_mov_b32 v11, v7
	s_wait_alu 0xfffe
	s_xor_b32 exec_lo, exec_lo, s8
	s_cbranch_execz .LBB143_42
; %bb.41:                               ;   in Loop: Header=BB143_2 Depth=1
	ds_load_b64 v[11:12], v15 offset:8
	s_wait_dscnt 0x1
	v_dual_mov_b32 v10, v6 :: v_dual_mov_b32 v9, v5
.LBB143_42:                             ;   in Loop: Header=BB143_2 Depth=1
	s_or_b32 exec_lo, exec_lo, s8
	v_add_nc_u32_e32 v15, 1, v14
	v_add_nc_u32_e32 v16, 1, v13
	s_wait_dscnt 0x0
	v_cmp_lt_i64_e64 s8, v[11:12], v[9:10]
	s_wait_loadcnt 0x0
	s_barrier_signal -1
	v_cndmask_b32_e64 v15, v15, v14, s7
	v_cndmask_b32_e64 v16, v13, v16, s7
	;; [unrolled: 1-line block ×3, first 2 shown]
	s_barrier_wait -1
	global_inv scope:SCOPE_SE
	v_cmp_ge_i32_e64 s9, v15, v40
	v_cmp_lt_i32_e64 s10, v16, v41
	ds_store_2addr_b64 v17, v[1:2], v[3:4] offset1:1
	v_lshlrev_b32_e32 v1, 3, v13
	s_wait_loadcnt_dscnt 0x0
	s_or_b32 s8, s9, s8
	s_barrier_signal -1
	s_wait_alu 0xfffe
	s_and_b32 s8, s10, s8
	s_barrier_wait -1
	s_wait_alu 0xfffe
	v_cndmask_b32_e64 v10, v10, v12, s8
	v_cndmask_b32_e64 v12, v15, v16, s8
	global_inv scope:SCOPE_SE
	v_cndmask_b32_e64 v6, v6, v8, s7
	v_cndmask_b32_e64 v5, v5, v7, s7
	;; [unrolled: 1-line block ×3, first 2 shown]
	v_lshlrev_b32_e32 v3, 3, v12
	ds_load_b64 v[1:2], v1
	ds_load_b64 v[3:4], v3
	s_wait_loadcnt_dscnt 0x0
	s_barrier_signal -1
	s_barrier_wait -1
	global_inv scope:SCOPE_SE
	ds_store_2addr_b64 v17, v[5:6], v[9:10] offset1:1
	v_mov_b32_e32 v9, v75
	s_wait_loadcnt_dscnt 0x0
	s_barrier_signal -1
	s_barrier_wait -1
	global_inv scope:SCOPE_SE
	s_and_saveexec_b32 s8, s5
	s_cbranch_execz .LBB143_46
; %bb.43:                               ;   in Loop: Header=BB143_2 Depth=1
	v_mov_b32_e32 v9, v75
	v_mov_b32_e32 v5, v68
	s_mov_b32 s9, 0
.LBB143_44:                             ;   Parent Loop BB143_2 Depth=1
                                        ; =>  This Inner Loop Header: Depth=2
	s_delay_alu instid0(VALU_DEP_1) | instskip(NEXT) | instid1(VALU_DEP_1)
	v_sub_nc_u32_e32 v6, v5, v9
	v_lshrrev_b32_e32 v6, 1, v6
	s_delay_alu instid0(VALU_DEP_1) | instskip(NEXT) | instid1(VALU_DEP_1)
	v_add_nc_u32_e32 v8, v6, v9
	v_not_b32_e32 v6, v8
	v_lshl_add_u32 v7, v8, 3, v45
	s_delay_alu instid0(VALU_DEP_2)
	v_lshl_add_u32 v10, v6, 3, v61
	ds_load_b64 v[6:7], v7
	ds_load_b64 v[10:11], v10
	s_wait_dscnt 0x0
	v_cmp_lt_i64_e64 s7, v[10:11], v[6:7]
	v_add_nc_u32_e32 v6, 1, v8
	s_wait_alu 0xf1ff
	s_delay_alu instid0(VALU_DEP_2) | instskip(NEXT) | instid1(VALU_DEP_2)
	v_cndmask_b32_e64 v5, v5, v8, s7
	v_cndmask_b32_e64 v9, v6, v9, s7
	s_delay_alu instid0(VALU_DEP_1)
	v_cmp_ge_i32_e64 s7, v9, v5
	s_wait_alu 0xfffe
	s_or_b32 s9, s7, s9
	s_wait_alu 0xfffe
	s_and_not1_b32 exec_lo, exec_lo, s9
	s_cbranch_execnz .LBB143_44
; %bb.45:                               ;   in Loop: Header=BB143_2 Depth=1
	s_or_b32 exec_lo, exec_lo, s9
.LBB143_46:                             ;   in Loop: Header=BB143_2 Depth=1
	s_wait_alu 0xfffe
	s_or_b32 exec_lo, exec_lo, s8
	v_sub_nc_u32_e32 v13, v54, v9
	v_lshl_add_u32 v11, v9, 3, v45
	v_add_nc_u32_e32 v14, v9, v23
                                        ; implicit-def: $vgpr9_vgpr10
	s_delay_alu instid0(VALU_DEP_3) | instskip(SKIP_1) | instid1(VALU_DEP_3)
	v_lshlrev_b32_e32 v15, 3, v13
	v_cmp_gt_i32_e64 s9, v44, v13
	v_cmp_le_i32_e64 s8, v43, v14
	ds_load_b64 v[5:6], v11
	ds_load_b64 v[7:8], v15
	s_wait_dscnt 0x0
	v_cmp_lt_i64_e64 s7, v[7:8], v[5:6]
	s_or_b32 s7, s8, s7
	s_wait_alu 0xfffe
	s_and_b32 s7, s9, s7
	s_wait_alu 0xfffe
	s_xor_b32 s8, s7, -1
	s_wait_alu 0xfffe
	s_and_saveexec_b32 s9, s8
	s_wait_alu 0xfffe
	s_xor_b32 s8, exec_lo, s9
; %bb.47:                               ;   in Loop: Header=BB143_2 Depth=1
	ds_load_b64 v[9:10], v11 offset:8
                                        ; implicit-def: $vgpr15
; %bb.48:                               ;   in Loop: Header=BB143_2 Depth=1
	s_wait_alu 0xfffe
	s_or_saveexec_b32 s8, s8
	v_dual_mov_b32 v12, v8 :: v_dual_mov_b32 v11, v7
	s_wait_alu 0xfffe
	s_xor_b32 exec_lo, exec_lo, s8
	s_cbranch_execz .LBB143_50
; %bb.49:                               ;   in Loop: Header=BB143_2 Depth=1
	ds_load_b64 v[11:12], v15 offset:8
	s_wait_dscnt 0x1
	v_dual_mov_b32 v10, v6 :: v_dual_mov_b32 v9, v5
.LBB143_50:                             ;   in Loop: Header=BB143_2 Depth=1
	s_or_b32 exec_lo, exec_lo, s8
	v_add_nc_u32_e32 v15, 1, v14
	v_add_nc_u32_e32 v16, 1, v13
	s_wait_dscnt 0x0
	v_cmp_lt_i64_e64 s8, v[11:12], v[9:10]
	s_wait_loadcnt 0x0
	s_barrier_signal -1
	v_cndmask_b32_e64 v15, v15, v14, s7
	v_cndmask_b32_e64 v16, v13, v16, s7
	;; [unrolled: 1-line block ×3, first 2 shown]
	s_barrier_wait -1
	global_inv scope:SCOPE_SE
	v_cmp_ge_i32_e64 s9, v15, v43
	v_cmp_lt_i32_e64 s10, v16, v44
	ds_store_2addr_b64 v17, v[1:2], v[3:4] offset1:1
	v_lshlrev_b32_e32 v1, 3, v13
	s_wait_loadcnt_dscnt 0x0
	s_or_b32 s8, s9, s8
	s_barrier_signal -1
	s_wait_alu 0xfffe
	s_and_b32 s8, s10, s8
	s_barrier_wait -1
	s_wait_alu 0xfffe
	v_cndmask_b32_e64 v10, v10, v12, s8
	v_cndmask_b32_e64 v12, v15, v16, s8
	global_inv scope:SCOPE_SE
	v_cndmask_b32_e64 v6, v6, v8, s7
	v_cndmask_b32_e64 v5, v5, v7, s7
	;; [unrolled: 1-line block ×3, first 2 shown]
	v_lshlrev_b32_e32 v3, 3, v12
	ds_load_b64 v[1:2], v1
	ds_load_b64 v[3:4], v3
	s_wait_loadcnt_dscnt 0x0
	s_barrier_signal -1
	s_barrier_wait -1
	global_inv scope:SCOPE_SE
	ds_store_2addr_b64 v17, v[5:6], v[9:10] offset1:1
	v_mov_b32_e32 v6, v76
	s_wait_loadcnt_dscnt 0x0
	s_barrier_signal -1
	s_barrier_wait -1
	global_inv scope:SCOPE_SE
	s_and_saveexec_b32 s8, s6
	s_cbranch_execz .LBB143_54
; %bb.51:                               ;   in Loop: Header=BB143_2 Depth=1
	v_dual_mov_b32 v6, v76 :: v_dual_mov_b32 v5, v69
	s_mov_b32 s9, 0
.LBB143_52:                             ;   Parent Loop BB143_2 Depth=1
                                        ; =>  This Inner Loop Header: Depth=2
	s_delay_alu instid0(VALU_DEP_1) | instskip(NEXT) | instid1(VALU_DEP_1)
	v_sub_nc_u32_e32 v7, v5, v6
	v_lshrrev_b32_e32 v7, 1, v7
	s_delay_alu instid0(VALU_DEP_1) | instskip(NEXT) | instid1(VALU_DEP_1)
	v_add_nc_u32_e32 v11, v7, v6
	v_not_b32_e32 v7, v11
	v_lshl_add_u32 v8, v11, 3, v48
	s_delay_alu instid0(VALU_DEP_2)
	v_lshl_add_u32 v9, v7, 3, v62
	ds_load_b64 v[7:8], v8
	ds_load_b64 v[9:10], v9
	s_wait_dscnt 0x0
	v_cmp_lt_i64_e64 s7, v[9:10], v[7:8]
	v_add_nc_u32_e32 v7, 1, v11
	s_wait_alu 0xf1ff
	s_delay_alu instid0(VALU_DEP_2) | instskip(NEXT) | instid1(VALU_DEP_2)
	v_cndmask_b32_e64 v5, v5, v11, s7
	v_cndmask_b32_e64 v6, v7, v6, s7
	s_delay_alu instid0(VALU_DEP_1)
	v_cmp_ge_i32_e64 s7, v6, v5
	s_wait_alu 0xfffe
	s_or_b32 s9, s7, s9
	s_wait_alu 0xfffe
	s_and_not1_b32 exec_lo, exec_lo, s9
	s_cbranch_execnz .LBB143_52
; %bb.53:                               ;   in Loop: Header=BB143_2 Depth=1
	s_or_b32 exec_lo, exec_lo, s9
.LBB143_54:                             ;   in Loop: Header=BB143_2 Depth=1
	s_wait_alu 0xfffe
	s_or_b32 exec_lo, exec_lo, s8
	v_sub_nc_u32_e32 v5, v55, v6
	v_lshl_add_u32 v13, v6, 3, v48
	v_add_nc_u32_e32 v6, v6, v24
                                        ; implicit-def: $vgpr11_vgpr12
	s_delay_alu instid0(VALU_DEP_3) | instskip(SKIP_1) | instid1(VALU_DEP_3)
	v_lshlrev_b32_e32 v15, 3, v5
	v_cmp_gt_i32_e64 s9, v47, v5
	v_cmp_le_i32_e64 s8, v46, v6
	ds_load_b64 v[7:8], v13
	ds_load_b64 v[9:10], v15
	s_wait_dscnt 0x0
	v_cmp_lt_i64_e64 s7, v[9:10], v[7:8]
	s_or_b32 s7, s8, s7
	s_wait_alu 0xfffe
	s_and_b32 s7, s9, s7
	s_wait_alu 0xfffe
	s_xor_b32 s8, s7, -1
	s_wait_alu 0xfffe
	s_and_saveexec_b32 s9, s8
	s_wait_alu 0xfffe
	s_xor_b32 s8, exec_lo, s9
; %bb.55:                               ;   in Loop: Header=BB143_2 Depth=1
	ds_load_b64 v[11:12], v13 offset:8
                                        ; implicit-def: $vgpr15
; %bb.56:                               ;   in Loop: Header=BB143_2 Depth=1
	s_wait_alu 0xfffe
	s_or_saveexec_b32 s8, s8
	v_dual_mov_b32 v14, v10 :: v_dual_mov_b32 v13, v9
	s_wait_alu 0xfffe
	s_xor_b32 exec_lo, exec_lo, s8
	s_cbranch_execz .LBB143_58
; %bb.57:                               ;   in Loop: Header=BB143_2 Depth=1
	ds_load_b64 v[13:14], v15 offset:8
	s_wait_dscnt 0x1
	v_dual_mov_b32 v12, v8 :: v_dual_mov_b32 v11, v7
.LBB143_58:                             ;   in Loop: Header=BB143_2 Depth=1
	s_or_b32 exec_lo, exec_lo, s8
	v_add_nc_u32_e32 v15, 1, v6
	v_add_nc_u32_e32 v16, 1, v5
	s_wait_dscnt 0x0
	v_cmp_lt_i64_e64 s8, v[13:14], v[11:12]
	s_wait_loadcnt 0x0
	s_barrier_signal -1
	v_cndmask_b32_e64 v15, v15, v6, s7
	v_cndmask_b32_e64 v16, v5, v16, s7
	;; [unrolled: 1-line block ×3, first 2 shown]
	s_barrier_wait -1
	global_inv scope:SCOPE_SE
	v_cmp_ge_i32_e64 s9, v15, v46
	v_cmp_lt_i32_e64 s10, v16, v47
	ds_store_2addr_b64 v17, v[1:2], v[3:4] offset1:1
	v_lshlrev_b32_e32 v1, 3, v5
	s_wait_loadcnt_dscnt 0x0
	s_or_b32 s8, s9, s8
	s_barrier_signal -1
	s_wait_alu 0xfffe
	s_and_b32 s8, s10, s8
	s_barrier_wait -1
	s_wait_alu 0xfffe
	v_cndmask_b32_e64 v6, v15, v16, s8
	global_inv scope:SCOPE_SE
	v_cndmask_b32_e64 v12, v12, v14, s8
	v_cndmask_b32_e64 v11, v11, v13, s8
	v_lshlrev_b32_e32 v2, 3, v6
	ds_load_b64 v[3:4], v1
	ds_load_b64 v[5:6], v2
	v_cndmask_b32_e64 v2, v8, v10, s7
	v_cndmask_b32_e64 v1, v7, v9, s7
	v_mov_b32_e32 v7, v25
	s_wait_loadcnt_dscnt 0x0
	s_barrier_signal -1
	s_barrier_wait -1
	global_inv scope:SCOPE_SE
	ds_store_2addr_b64 v17, v[1:2], v[11:12] offset1:1
	s_wait_loadcnt_dscnt 0x0
	s_barrier_signal -1
	s_barrier_wait -1
	global_inv scope:SCOPE_SE
	s_and_saveexec_b32 s8, vcc_lo
	s_cbranch_execz .LBB143_62
; %bb.59:                               ;   in Loop: Header=BB143_2 Depth=1
	v_mov_b32_e32 v7, v25
	v_mov_b32_e32 v1, v26
	s_mov_b32 s9, 0
.LBB143_60:                             ;   Parent Loop BB143_2 Depth=1
                                        ; =>  This Inner Loop Header: Depth=2
	s_delay_alu instid0(VALU_DEP_1) | instskip(NEXT) | instid1(VALU_DEP_1)
	v_sub_nc_u32_e32 v2, v1, v7
	v_lshrrev_b32_e32 v2, 1, v2
	s_delay_alu instid0(VALU_DEP_1) | instskip(NEXT) | instid1(VALU_DEP_1)
	v_add_nc_u32_e32 v2, v2, v7
	v_not_b32_e32 v8, v2
	v_lshlrev_b32_e32 v9, 3, v2
	s_delay_alu instid0(VALU_DEP_2)
	v_lshl_add_u32 v10, v8, 3, v77
	ds_load_b64 v[8:9], v9
	ds_load_b64 v[10:11], v10
	s_wait_dscnt 0x0
	v_cmp_lt_i64_e64 s7, v[10:11], v[8:9]
	v_add_nc_u32_e32 v8, 1, v2
	s_wait_alu 0xf1ff
	s_delay_alu instid0(VALU_DEP_2) | instskip(NEXT) | instid1(VALU_DEP_2)
	v_cndmask_b32_e64 v1, v1, v2, s7
	v_cndmask_b32_e64 v7, v8, v7, s7
	s_delay_alu instid0(VALU_DEP_1)
	v_cmp_ge_i32_e64 s7, v7, v1
	s_wait_alu 0xfffe
	s_or_b32 s9, s7, s9
	s_wait_alu 0xfffe
	s_and_not1_b32 exec_lo, exec_lo, s9
	s_cbranch_execnz .LBB143_60
; %bb.61:                               ;   in Loop: Header=BB143_2 Depth=1
	s_or_b32 exec_lo, exec_lo, s9
.LBB143_62:                             ;   in Loop: Header=BB143_2 Depth=1
	s_wait_alu 0xfffe
	s_or_b32 exec_lo, exec_lo, s8
	v_sub_nc_u32_e32 v8, v27, v7
	v_lshlrev_b32_e32 v13, 3, v7
	v_cmp_le_i32_e64 s8, 0x100, v7
                                        ; implicit-def: $vgpr1_vgpr2
                                        ; implicit-def: $vgpr15
	s_delay_alu instid0(VALU_DEP_3)
	v_lshlrev_b32_e32 v78, 3, v8
	v_cmp_gt_i32_e64 s9, 0x200, v8
	ds_load_b64 v[9:10], v13
	ds_load_b64 v[11:12], v78
	s_wait_dscnt 0x0
	v_cmp_lt_i64_e64 s7, v[11:12], v[9:10]
	s_or_b32 s7, s8, s7
	s_wait_alu 0xfffe
	s_and_b32 s7, s9, s7
	s_wait_alu 0xfffe
	s_xor_b32 s8, s7, -1
	s_wait_alu 0xfffe
	s_and_saveexec_b32 s9, s8
	s_wait_alu 0xfffe
	s_xor_b32 s8, exec_lo, s9
; %bb.63:                               ;   in Loop: Header=BB143_2 Depth=1
	ds_load_b64 v[1:2], v13 offset:8
	v_add_nc_u32_e32 v15, 1, v7
                                        ; implicit-def: $vgpr78
; %bb.64:                               ;   in Loop: Header=BB143_2 Depth=1
	s_wait_alu 0xfffe
	s_or_saveexec_b32 s8, s8
	v_mov_b32_e32 v14, v12
	v_dual_mov_b32 v16, v7 :: v_dual_mov_b32 v13, v11
	s_wait_alu 0xfffe
	s_xor_b32 exec_lo, exec_lo, s8
	s_cbranch_execz .LBB143_1
; %bb.65:                               ;   in Loop: Header=BB143_2 Depth=1
	ds_load_b64 v[13:14], v78 offset:8
	s_wait_dscnt 0x1
	v_dual_mov_b32 v16, v8 :: v_dual_add_nc_u32 v1, 1, v8
	s_delay_alu instid0(VALU_DEP_1)
	v_dual_mov_b32 v15, v7 :: v_dual_mov_b32 v8, v1
	v_dual_mov_b32 v1, v9 :: v_dual_mov_b32 v2, v10
	s_branch .LBB143_1
.LBB143_66:
	s_wait_dscnt 0x1
	v_add_co_u32 v3, vcc_lo, v3, v7
	s_delay_alu instid0(VALU_DEP_1)
	v_add_co_ci_u32_e64 v4, null, v4, v8, vcc_lo
	v_lshlrev_b32_e32 v7, 3, v0
	s_wait_dscnt 0x0
	v_add_co_u32 v0, vcc_lo, v1, v5
	s_wait_alu 0xfffd
	v_add_co_ci_u32_e64 v1, null, v2, v6, vcc_lo
	s_add_nc_u64 s[0:1], s[14:15], s[16:17]
	s_clause 0x1
	global_store_b64 v7, v[3:4], s[0:1]
	global_store_b64 v7, v[0:1], s[0:1] offset:2048
	s_endpgm
	.section	.rodata,"a",@progbits
	.p2align	6, 0x0
	.amdhsa_kernel _Z17sort_pairs_kernelIxLj256ELj2EN10test_utils4lessELj10EEvPKT_PS2_T2_
		.amdhsa_group_segment_fixed_size 4104
		.amdhsa_private_segment_fixed_size 0
		.amdhsa_kernarg_size 20
		.amdhsa_user_sgpr_count 2
		.amdhsa_user_sgpr_dispatch_ptr 0
		.amdhsa_user_sgpr_queue_ptr 0
		.amdhsa_user_sgpr_kernarg_segment_ptr 1
		.amdhsa_user_sgpr_dispatch_id 0
		.amdhsa_user_sgpr_private_segment_size 0
		.amdhsa_wavefront_size32 1
		.amdhsa_uses_dynamic_stack 0
		.amdhsa_enable_private_segment 0
		.amdhsa_system_sgpr_workgroup_id_x 1
		.amdhsa_system_sgpr_workgroup_id_y 0
		.amdhsa_system_sgpr_workgroup_id_z 0
		.amdhsa_system_sgpr_workgroup_info 0
		.amdhsa_system_vgpr_workitem_id 0
		.amdhsa_next_free_vgpr 81
		.amdhsa_next_free_sgpr 20
		.amdhsa_reserve_vcc 1
		.amdhsa_float_round_mode_32 0
		.amdhsa_float_round_mode_16_64 0
		.amdhsa_float_denorm_mode_32 3
		.amdhsa_float_denorm_mode_16_64 3
		.amdhsa_fp16_overflow 0
		.amdhsa_workgroup_processor_mode 1
		.amdhsa_memory_ordered 1
		.amdhsa_forward_progress 1
		.amdhsa_inst_pref_size 44
		.amdhsa_round_robin_scheduling 0
		.amdhsa_exception_fp_ieee_invalid_op 0
		.amdhsa_exception_fp_denorm_src 0
		.amdhsa_exception_fp_ieee_div_zero 0
		.amdhsa_exception_fp_ieee_overflow 0
		.amdhsa_exception_fp_ieee_underflow 0
		.amdhsa_exception_fp_ieee_inexact 0
		.amdhsa_exception_int_div_zero 0
	.end_amdhsa_kernel
	.section	.text._Z17sort_pairs_kernelIxLj256ELj2EN10test_utils4lessELj10EEvPKT_PS2_T2_,"axG",@progbits,_Z17sort_pairs_kernelIxLj256ELj2EN10test_utils4lessELj10EEvPKT_PS2_T2_,comdat
.Lfunc_end143:
	.size	_Z17sort_pairs_kernelIxLj256ELj2EN10test_utils4lessELj10EEvPKT_PS2_T2_, .Lfunc_end143-_Z17sort_pairs_kernelIxLj256ELj2EN10test_utils4lessELj10EEvPKT_PS2_T2_
                                        ; -- End function
	.set _Z17sort_pairs_kernelIxLj256ELj2EN10test_utils4lessELj10EEvPKT_PS2_T2_.num_vgpr, 81
	.set _Z17sort_pairs_kernelIxLj256ELj2EN10test_utils4lessELj10EEvPKT_PS2_T2_.num_agpr, 0
	.set _Z17sort_pairs_kernelIxLj256ELj2EN10test_utils4lessELj10EEvPKT_PS2_T2_.numbered_sgpr, 20
	.set _Z17sort_pairs_kernelIxLj256ELj2EN10test_utils4lessELj10EEvPKT_PS2_T2_.num_named_barrier, 0
	.set _Z17sort_pairs_kernelIxLj256ELj2EN10test_utils4lessELj10EEvPKT_PS2_T2_.private_seg_size, 0
	.set _Z17sort_pairs_kernelIxLj256ELj2EN10test_utils4lessELj10EEvPKT_PS2_T2_.uses_vcc, 1
	.set _Z17sort_pairs_kernelIxLj256ELj2EN10test_utils4lessELj10EEvPKT_PS2_T2_.uses_flat_scratch, 0
	.set _Z17sort_pairs_kernelIxLj256ELj2EN10test_utils4lessELj10EEvPKT_PS2_T2_.has_dyn_sized_stack, 0
	.set _Z17sort_pairs_kernelIxLj256ELj2EN10test_utils4lessELj10EEvPKT_PS2_T2_.has_recursion, 0
	.set _Z17sort_pairs_kernelIxLj256ELj2EN10test_utils4lessELj10EEvPKT_PS2_T2_.has_indirect_call, 0
	.section	.AMDGPU.csdata,"",@progbits
; Kernel info:
; codeLenInByte = 5620
; TotalNumSgprs: 22
; NumVgprs: 81
; ScratchSize: 0
; MemoryBound: 0
; FloatMode: 240
; IeeeMode: 1
; LDSByteSize: 4104 bytes/workgroup (compile time only)
; SGPRBlocks: 0
; VGPRBlocks: 10
; NumSGPRsForWavesPerEU: 22
; NumVGPRsForWavesPerEU: 81
; Occupancy: 16
; WaveLimiterHint : 1
; COMPUTE_PGM_RSRC2:SCRATCH_EN: 0
; COMPUTE_PGM_RSRC2:USER_SGPR: 2
; COMPUTE_PGM_RSRC2:TRAP_HANDLER: 0
; COMPUTE_PGM_RSRC2:TGID_X_EN: 1
; COMPUTE_PGM_RSRC2:TGID_Y_EN: 0
; COMPUTE_PGM_RSRC2:TGID_Z_EN: 0
; COMPUTE_PGM_RSRC2:TIDIG_COMP_CNT: 0
	.section	.text._Z16sort_keys_kernelIxLj256ELj3EN10test_utils4lessELj10EEvPKT_PS2_T2_,"axG",@progbits,_Z16sort_keys_kernelIxLj256ELj3EN10test_utils4lessELj10EEvPKT_PS2_T2_,comdat
	.protected	_Z16sort_keys_kernelIxLj256ELj3EN10test_utils4lessELj10EEvPKT_PS2_T2_ ; -- Begin function _Z16sort_keys_kernelIxLj256ELj3EN10test_utils4lessELj10EEvPKT_PS2_T2_
	.globl	_Z16sort_keys_kernelIxLj256ELj3EN10test_utils4lessELj10EEvPKT_PS2_T2_
	.p2align	8
	.type	_Z16sort_keys_kernelIxLj256ELj3EN10test_utils4lessELj10EEvPKT_PS2_T2_,@function
_Z16sort_keys_kernelIxLj256ELj3EN10test_utils4lessELj10EEvPKT_PS2_T2_: ; @_Z16sort_keys_kernelIxLj256ELj3EN10test_utils4lessELj10EEvPKT_PS2_T2_
; %bb.0:
	s_load_b128 s[12:15], s[0:1], 0x0
	s_mul_i32 s16, ttmp9, 0x300
	s_mov_b32 s17, 0
	v_lshlrev_b32_e32 v1, 3, v0
	s_lshl_b64 s[18:19], s[16:17], 3
	v_and_b32_e32 v7, 0xfe, v0
	v_and_b32_e32 v10, 1, v0
	;; [unrolled: 1-line block ×5, first 2 shown]
	v_mul_u32_u24_e32 v7, 3, v7
	v_cmp_eq_u32_e32 vcc_lo, 1, v10
	v_mul_u32_u24_e32 v11, 3, v11
	v_and_b32_e32 v82, 31, v0
	v_mul_u32_u24_e32 v69, 3, v80
	v_min_u32_e32 v8, 0x2fd, v7
	v_min_u32_e32 v9, 0x2fa, v7
	;; [unrolled: 1-line block ×3, first 2 shown]
	v_and_b32_e32 v44, 0xc0, v0
	v_mul_u32_u24_e32 v70, 3, v82
	s_wait_kmcnt 0x0
	s_add_nc_u64 s[0:1], s[12:13], s[18:19]
	v_add_nc_u32_e32 v13, 3, v8
	s_clause 0x2
	global_load_b64 v[3:4], v1, s[0:1]
	global_load_b64 v[5:6], v1, s[0:1] offset:2048
	global_load_b64 v[1:2], v1, s[0:1] offset:4096
	v_add_nc_u32_e32 v14, 6, v9
	v_cndmask_b32_e64 v9, 0, 3, vcc_lo
	v_and_b32_e32 v49, 0x80, v0
	v_sub_nc_u32_e32 v12, v13, v15
	v_and_b32_e32 v76, 3, v0
	v_sub_nc_u32_e32 v10, v14, v13
	v_and_b32_e32 v84, 63, v0
	v_mul_u32_u24_e32 v54, 3, v49
	v_min_i32_e32 v18, v9, v12
	v_and_b32_e32 v12, 0xf8, v0
	v_sub_nc_u32_e32 v7, v9, v10
	v_cmp_ge_i32_e32 vcc_lo, v9, v10
	v_min_u32_e32 v10, 0x2f4, v11
	v_mul_u32_u24_e32 v71, 3, v84
	v_min_u32_e32 v85, 0x240, v54
	v_min_u32_e32 v52, 0x180, v54
	s_wait_alu 0xfffd
	v_dual_cndmask_b32 v17, 0, v7 :: v_dual_add_nc_u32 v20, 12, v10
	v_mul_u32_u24_e32 v10, 3, v12
	v_min_u32_e32 v7, 0x2fa, v11
	v_mul_u32_u24_e32 v12, 3, v76
	v_min_u32_e32 v23, 0x300, v11
	v_and_b32_e32 v78, 7, v0
	v_min_u32_e32 v77, 0x2f4, v10
	v_min_u32_e32 v25, 0x2e8, v10
	;; [unrolled: 1-line block ×3, first 2 shown]
	v_and_b32_e32 v10, 0xf0, v0
	v_add_nc_u32_e32 v19, 6, v7
	v_add_nc_u32_e32 v24, 12, v77
	;; [unrolled: 1-line block ×3, first 2 shown]
	v_and_b32_e32 v86, 0x7f, v0
	v_mul_u32_u24_e32 v10, 3, v10
	v_sub_nc_u32_e32 v26, v20, v19
	v_add_nc_u32_e32 v51, 0xc0, v85
	v_add_nc_u32_e32 v52, 0x180, v52
	v_sub_nc_u32_e32 v28, v19, v23
	v_min_u32_e32 v79, 0x2e8, v10
	v_min_u32_e32 v35, 0x2d0, v10
	;; [unrolled: 1-line block ×3, first 2 shown]
	v_mul_u32_u24_e32 v10, 3, v37
	v_sub_nc_u32_e32 v11, v12, v26
	v_add_nc_u32_e32 v34, 24, v79
	v_add_nc_u32_e32 v35, 48, v35
	v_cmp_ge_i32_e64 s0, v12, v26
	v_min_u32_e32 v81, 0x2d0, v10
	v_min_u32_e32 v40, 0x2a0, v10
	v_sub_nc_u32_e32 v30, v25, v24
	v_sub_nc_u32_e32 v41, v35, v34
	v_cndmask_b32_e64 v26, 0, v11, s0
	v_add_nc_u32_e32 v39, 48, v81
	v_add_nc_u32_e32 v40, 0x60, v40
	v_mul_u32_u24_e32 v11, 3, v78
	v_sub_nc_u32_e32 v43, v69, v41
	v_cmp_ge_i32_e64 s2, v69, v41
	v_sub_nc_u32_e32 v59, v52, v51
	v_sub_nc_u32_e32 v45, v40, v39
	v_min_u32_e32 v54, 0x300, v54
	v_min_i32_e32 v28, v12, v28
	v_cndmask_b32_e64 v41, 0, v43, s2
	v_min_u32_e32 v43, 0x300, v10
	v_mul_u32_u24_e32 v10, 3, v44
	v_sub_nc_u32_e32 v46, v70, v45
	v_cmp_ge_i32_e64 s3, v70, v45
	v_sub_nc_u32_e32 v31, v11, v30
	v_sub_nc_u32_e32 v32, v24, v27
	v_min_u32_e32 v83, 0x2a0, v10
	v_min_u32_e32 v47, 0x240, v10
	s_wait_alu 0xf1ff
	v_cndmask_b32_e64 v45, 0, v46, s3
	v_min_u32_e32 v50, 0x300, v10
	v_cmp_ge_i32_e64 s1, v11, v30
	v_add_nc_u32_e32 v46, 0x60, v83
	v_add_nc_u32_e32 v47, 0xc0, v47
	v_sub_nc_u32_e32 v42, v34, v36
	v_sub_nc_u32_e32 v48, v39, v43
	;; [unrolled: 1-line block ×5, first 2 shown]
	v_mul_u32_u24_e32 v58, 3, v0
	v_lshlrev_b32_e32 v12, 3, v12
	s_wait_alu 0xf1ff
	v_cndmask_b32_e64 v30, 0, v31, s1
	v_min_i32_e32 v31, v11, v32
	v_sub_nc_u32_e32 v10, v71, v53
	v_cmp_ge_i32_e64 s4, v71, v53
	v_min_i32_e32 v42, v69, v42
	v_min_i32_e32 v48, v70, v48
	;; [unrolled: 1-line block ×3, first 2 shown]
	v_subrev_nc_u32_e64 v63, 0x180, v58 clamp
	v_cndmask_b32_e64 v53, 0, v10, s4
	v_mul_u32_u24_e32 v10, 3, v86
	v_min_i32_e32 v64, 0x180, v58
	v_lshlrev_b32_e32 v67, 3, v9
	v_lshl_add_u32 v68, v7, 3, v12
	v_lshlrev_b32_e32 v11, 3, v11
	v_sub_nc_u32_e32 v60, v10, v59
	v_cmp_ge_i32_e64 s5, v10, v59
	v_lshlrev_b32_e32 v12, 3, v69
	v_lshlrev_b32_e32 v72, 3, v70
	;; [unrolled: 1-line block ×3, first 2 shown]
	v_mul_u32_u24_e32 v16, 24, v0
	s_wait_alu 0xf1ff
	v_cndmask_b32_e64 v59, 0, v60, s5
	v_min_i32_e32 v60, v10, v61
	v_lshlrev_b32_e32 v10, 3, v10
	v_lshlrev_b32_e32 v21, 3, v15
	v_add_nc_u32_e32 v22, v13, v9
	v_lshlrev_b32_e32 v29, 3, v23
	v_cmp_lt_i32_e64 s0, v26, v28
	v_mad_u32_u24 v32, v76, 3, v19
	v_lshlrev_b32_e32 v33, 3, v27
	v_cmp_lt_i32_e64 s1, v30, v31
	v_mad_u32_u24 v37, v78, 3, v24
	;; [unrolled: 3-line block ×6, first 2 shown]
	v_cmp_lt_i32_e64 s6, v63, v64
	v_mad_u32_u24 v66, v0, 3, 0x180
	v_lshl_add_u32 v67, v8, 3, v67
	v_lshl_add_u32 v69, v77, 3, v11
	;; [unrolled: 1-line block ×6, first 2 shown]
	v_lshlrev_b32_e32 v74, 3, v58
	v_add_nc_u32_e32 v75, v8, v9
	v_mad_u32_u24 v76, v76, 3, v7
	v_mad_u32_u24 v77, v78, 3, v77
	;; [unrolled: 1-line block ×6, first 2 shown]
	v_cmp_lt_i32_e32 vcc_lo, v17, v18
	s_branch .LBB144_2
.LBB144_1:                              ;   in Loop: Header=BB144_2 Depth=1
	s_or_b32 exec_lo, exec_lo, s9
	s_wait_dscnt 0x0
	s_delay_alu instid0(VALU_DEP_1)
	v_cmp_lt_i64_e64 s9, v[11:12], v[9:10]
	v_cmp_le_i32_e64 s10, 0x180, v83
	v_cmp_gt_i32_e64 s11, 0x300, v82
	v_cndmask_b32_e64 v4, v2, v4, s7
	v_cndmask_b32_e64 v3, v1, v3, s7
	;; [unrolled: 1-line block ×3, first 2 shown]
	s_or_b32 s7, s10, s9
	v_cndmask_b32_e64 v5, v5, v7, s8
	s_wait_alu 0xfffe
	s_and_b32 s7, s11, s7
	s_add_co_i32 s17, s17, 1
	s_wait_alu 0xfffe
	v_cndmask_b32_e64 v2, v10, v12, s7
	v_cndmask_b32_e64 v1, v9, v11, s7
	s_cmp_eq_u32 s17, 10
	s_cbranch_scc1 .LBB144_98
.LBB144_2:                              ; =>This Loop Header: Depth=1
                                        ;     Child Loop BB144_4 Depth 2
                                        ;     Child Loop BB144_16 Depth 2
	;; [unrolled: 1-line block ×8, first 2 shown]
	s_wait_loadcnt 0x1
	v_cmp_gt_i64_e64 s7, v[5:6], v[3:4]
	s_wait_loadcnt 0x0
	s_barrier_signal -1
	s_barrier_wait -1
	global_inv scope:SCOPE_SE
	s_wait_alu 0xf1ff
	v_cndmask_b32_e64 v8, v4, v6, s7
	v_cndmask_b32_e64 v7, v3, v5, s7
	v_cmp_lt_i64_e64 s7, v[5:6], v[3:4]
	s_delay_alu instid0(VALU_DEP_2) | instskip(SKIP_1) | instid1(VALU_DEP_2)
	v_cmp_lt_i64_e64 s8, v[1:2], v[7:8]
	s_wait_alu 0xf1ff
	v_cndmask_b32_e64 v10, v4, v6, s7
	v_cndmask_b32_e64 v9, v3, v5, s7
	;; [unrolled: 1-line block ×6, first 2 shown]
	v_cmp_lt_i64_e64 s7, v[1:2], v[9:10]
	v_cndmask_b32_e64 v4, v4, v2, s8
	v_cndmask_b32_e64 v5, v5, v1, s8
	;; [unrolled: 1-line block ×3, first 2 shown]
	s_wait_alu 0xf1ff
	s_delay_alu instid0(VALU_DEP_3) | instskip(NEXT) | instid1(VALU_DEP_3)
	v_cndmask_b32_e64 v12, v4, v10, s7
	v_cndmask_b32_e64 v11, v5, v9, s7
	s_delay_alu instid0(VALU_DEP_3)
	v_cndmask_b32_e64 v10, v10, v2, s7
	v_cndmask_b32_e64 v9, v9, v6, s7
	v_mov_b32_e32 v5, v17
	v_cndmask_b32_e64 v2, v1, v7, s8
	ds_store_2addr_b64 v16, v[9:10], v[11:12] offset1:1
	ds_store_b64 v16, v[2:3] offset:16
	s_wait_loadcnt_dscnt 0x0
	s_barrier_signal -1
	s_barrier_wait -1
	global_inv scope:SCOPE_SE
	s_and_saveexec_b32 s8, vcc_lo
	s_cbranch_execz .LBB144_6
; %bb.3:                                ;   in Loop: Header=BB144_2 Depth=1
	v_mov_b32_e32 v5, v17
	v_mov_b32_e32 v1, v18
	s_mov_b32 s9, 0
.LBB144_4:                              ;   Parent Loop BB144_2 Depth=1
                                        ; =>  This Inner Loop Header: Depth=2
	s_delay_alu instid0(VALU_DEP_1) | instskip(NEXT) | instid1(VALU_DEP_1)
	v_sub_nc_u32_e32 v2, v1, v5
	v_lshrrev_b32_e32 v2, 1, v2
	s_delay_alu instid0(VALU_DEP_1) | instskip(NEXT) | instid1(VALU_DEP_1)
	v_add_nc_u32_e32 v4, v2, v5
	v_not_b32_e32 v2, v4
	v_lshl_add_u32 v3, v4, 3, v21
	s_delay_alu instid0(VALU_DEP_2)
	v_lshl_add_u32 v6, v2, 3, v67
	ds_load_b64 v[2:3], v3
	ds_load_b64 v[6:7], v6 offset:24
	s_wait_dscnt 0x0
	v_cmp_lt_i64_e64 s7, v[6:7], v[2:3]
	v_add_nc_u32_e32 v2, 1, v4
	s_wait_alu 0xf1ff
	s_delay_alu instid0(VALU_DEP_2) | instskip(NEXT) | instid1(VALU_DEP_2)
	v_cndmask_b32_e64 v1, v1, v4, s7
	v_cndmask_b32_e64 v5, v2, v5, s7
	s_delay_alu instid0(VALU_DEP_1)
	v_cmp_ge_i32_e64 s7, v5, v1
	s_wait_alu 0xfffe
	s_or_b32 s9, s7, s9
	s_wait_alu 0xfffe
	s_and_not1_b32 exec_lo, exec_lo, s9
	s_cbranch_execnz .LBB144_4
; %bb.5:                                ;   in Loop: Header=BB144_2 Depth=1
	s_or_b32 exec_lo, exec_lo, s9
.LBB144_6:                              ;   in Loop: Header=BB144_2 Depth=1
	s_wait_alu 0xfffe
	s_or_b32 exec_lo, exec_lo, s8
	v_sub_nc_u32_e32 v1, v75, v5
	v_lshl_add_u32 v7, v5, 3, v21
	v_add_nc_u32_e32 v9, v5, v15
	v_sub_nc_u32_e32 v10, v22, v5
                                        ; implicit-def: $vgpr5_vgpr6
	s_delay_alu instid0(VALU_DEP_4)
	v_lshlrev_b32_e32 v11, 3, v1
	ds_load_b64 v[1:2], v7
	ds_load_b64 v[3:4], v11 offset:24
	v_cmp_le_i32_e64 s8, v13, v9
	v_cmp_gt_i32_e64 s9, v14, v10
	s_wait_dscnt 0x0
	v_cmp_lt_i64_e64 s7, v[3:4], v[1:2]
	s_or_b32 s7, s8, s7
	s_wait_alu 0xfffe
	s_and_b32 s7, s9, s7
	s_wait_alu 0xfffe
	s_xor_b32 s8, s7, -1
	s_wait_alu 0xfffe
	s_and_saveexec_b32 s9, s8
	s_wait_alu 0xfffe
	s_xor_b32 s8, exec_lo, s9
; %bb.7:                                ;   in Loop: Header=BB144_2 Depth=1
	ds_load_b64 v[5:6], v7 offset:8
                                        ; implicit-def: $vgpr11
; %bb.8:                                ;   in Loop: Header=BB144_2 Depth=1
	s_wait_alu 0xfffe
	s_or_saveexec_b32 s8, s8
	v_dual_mov_b32 v8, v4 :: v_dual_mov_b32 v7, v3
	s_wait_alu 0xfffe
	s_xor_b32 exec_lo, exec_lo, s8
	s_cbranch_execz .LBB144_10
; %bb.9:                                ;   in Loop: Header=BB144_2 Depth=1
	ds_load_b64 v[7:8], v11 offset:32
	s_wait_dscnt 0x1
	v_dual_mov_b32 v6, v2 :: v_dual_mov_b32 v5, v1
.LBB144_10:                             ;   in Loop: Header=BB144_2 Depth=1
	s_or_b32 exec_lo, exec_lo, s8
	v_add_nc_u32_e32 v11, 1, v9
	v_add_nc_u32_e32 v12, 1, v10
	s_wait_dscnt 0x0
	v_cmp_lt_i64_e64 s8, v[7:8], v[5:6]
	s_delay_alu instid0(VALU_DEP_3) | instskip(NEXT) | instid1(VALU_DEP_3)
	v_cndmask_b32_e64 v83, v11, v9, s7
	v_cndmask_b32_e64 v82, v10, v12, s7
                                        ; implicit-def: $vgpr9_vgpr10
	s_delay_alu instid0(VALU_DEP_2) | instskip(NEXT) | instid1(VALU_DEP_2)
	v_cmp_ge_i32_e64 s9, v83, v13
	v_cmp_lt_i32_e64 s10, v82, v14
	s_or_b32 s8, s9, s8
	s_wait_alu 0xfffe
	s_and_b32 s8, s10, s8
	s_wait_alu 0xfffe
	s_xor_b32 s9, s8, -1
	s_wait_alu 0xfffe
	s_and_saveexec_b32 s10, s9
	s_delay_alu instid0(SALU_CYCLE_1)
	s_xor_b32 s9, exec_lo, s10
; %bb.11:                               ;   in Loop: Header=BB144_2 Depth=1
	v_lshlrev_b32_e32 v9, 3, v83
	ds_load_b64 v[9:10], v9 offset:8
; %bb.12:                               ;   in Loop: Header=BB144_2 Depth=1
	s_wait_alu 0xfffe
	s_or_saveexec_b32 s9, s9
	v_dual_mov_b32 v12, v8 :: v_dual_mov_b32 v11, v7
	s_wait_alu 0xfffe
	s_xor_b32 exec_lo, exec_lo, s9
	s_cbranch_execz .LBB144_14
; %bb.13:                               ;   in Loop: Header=BB144_2 Depth=1
	s_wait_dscnt 0x0
	v_lshlrev_b32_e32 v9, 3, v82
	ds_load_b64 v[11:12], v9 offset:8
	v_dual_mov_b32 v10, v6 :: v_dual_mov_b32 v9, v5
.LBB144_14:                             ;   in Loop: Header=BB144_2 Depth=1
	s_or_b32 exec_lo, exec_lo, s9
	v_add_nc_u32_e32 v84, 1, v83
	v_add_nc_u32_e32 v85, 1, v82
	v_cndmask_b32_e64 v7, v5, v7, s8
	v_mov_b32_e32 v5, v26
	v_cndmask_b32_e64 v8, v6, v8, s8
	v_cndmask_b32_e64 v83, v84, v83, s8
	;; [unrolled: 1-line block ×3, first 2 shown]
	s_wait_dscnt 0x0
	v_cmp_lt_i64_e64 s8, v[11:12], v[9:10]
	v_cndmask_b32_e64 v2, v2, v4, s7
	v_cndmask_b32_e64 v1, v1, v3, s7
	v_cmp_ge_i32_e64 s9, v83, v13
	v_cmp_lt_i32_e64 s10, v6, v14
	s_wait_loadcnt 0x0
	s_barrier_signal -1
	s_barrier_wait -1
	s_or_b32 s7, s9, s8
	global_inv scope:SCOPE_SE
	s_wait_alu 0xfffe
	s_and_b32 s7, s10, s7
	s_wait_alu 0xfffe
	v_cndmask_b32_e64 v4, v10, v12, s7
	v_cndmask_b32_e64 v3, v9, v11, s7
	ds_store_2addr_b64 v16, v[1:2], v[7:8] offset1:1
	ds_store_b64 v16, v[3:4] offset:16
	s_wait_loadcnt_dscnt 0x0
	s_barrier_signal -1
	s_barrier_wait -1
	global_inv scope:SCOPE_SE
	s_and_saveexec_b32 s8, s0
	s_cbranch_execz .LBB144_18
; %bb.15:                               ;   in Loop: Header=BB144_2 Depth=1
	v_mov_b32_e32 v5, v26
	v_mov_b32_e32 v1, v28
	s_mov_b32 s9, 0
.LBB144_16:                             ;   Parent Loop BB144_2 Depth=1
                                        ; =>  This Inner Loop Header: Depth=2
	s_delay_alu instid0(VALU_DEP_1) | instskip(NEXT) | instid1(VALU_DEP_1)
	v_sub_nc_u32_e32 v2, v1, v5
	v_lshrrev_b32_e32 v2, 1, v2
	s_delay_alu instid0(VALU_DEP_1) | instskip(NEXT) | instid1(VALU_DEP_1)
	v_add_nc_u32_e32 v4, v2, v5
	v_not_b32_e32 v2, v4
	v_lshl_add_u32 v3, v4, 3, v29
	s_delay_alu instid0(VALU_DEP_2)
	v_lshl_add_u32 v6, v2, 3, v68
	ds_load_b64 v[2:3], v3
	ds_load_b64 v[6:7], v6 offset:48
	s_wait_dscnt 0x0
	v_cmp_lt_i64_e64 s7, v[6:7], v[2:3]
	v_add_nc_u32_e32 v2, 1, v4
	s_wait_alu 0xf1ff
	s_delay_alu instid0(VALU_DEP_2) | instskip(NEXT) | instid1(VALU_DEP_2)
	v_cndmask_b32_e64 v1, v1, v4, s7
	v_cndmask_b32_e64 v5, v2, v5, s7
	s_delay_alu instid0(VALU_DEP_1)
	v_cmp_ge_i32_e64 s7, v5, v1
	s_wait_alu 0xfffe
	s_or_b32 s9, s7, s9
	s_wait_alu 0xfffe
	s_and_not1_b32 exec_lo, exec_lo, s9
	s_cbranch_execnz .LBB144_16
; %bb.17:                               ;   in Loop: Header=BB144_2 Depth=1
	s_or_b32 exec_lo, exec_lo, s9
.LBB144_18:                             ;   in Loop: Header=BB144_2 Depth=1
	s_wait_alu 0xfffe
	s_or_b32 exec_lo, exec_lo, s8
	v_sub_nc_u32_e32 v1, v76, v5
	v_lshl_add_u32 v7, v5, 3, v29
	v_add_nc_u32_e32 v9, v5, v23
	v_sub_nc_u32_e32 v10, v32, v5
                                        ; implicit-def: $vgpr5_vgpr6
	s_delay_alu instid0(VALU_DEP_4)
	v_lshlrev_b32_e32 v11, 3, v1
	ds_load_b64 v[1:2], v7
	ds_load_b64 v[3:4], v11 offset:48
	v_cmp_le_i32_e64 s8, v19, v9
	v_cmp_gt_i32_e64 s9, v20, v10
	s_wait_dscnt 0x0
	v_cmp_lt_i64_e64 s7, v[3:4], v[1:2]
	s_or_b32 s7, s8, s7
	s_wait_alu 0xfffe
	s_and_b32 s7, s9, s7
	s_wait_alu 0xfffe
	s_xor_b32 s8, s7, -1
	s_wait_alu 0xfffe
	s_and_saveexec_b32 s9, s8
	s_wait_alu 0xfffe
	s_xor_b32 s8, exec_lo, s9
; %bb.19:                               ;   in Loop: Header=BB144_2 Depth=1
	ds_load_b64 v[5:6], v7 offset:8
                                        ; implicit-def: $vgpr11
; %bb.20:                               ;   in Loop: Header=BB144_2 Depth=1
	s_wait_alu 0xfffe
	s_or_saveexec_b32 s8, s8
	v_dual_mov_b32 v8, v4 :: v_dual_mov_b32 v7, v3
	s_wait_alu 0xfffe
	s_xor_b32 exec_lo, exec_lo, s8
	s_cbranch_execz .LBB144_22
; %bb.21:                               ;   in Loop: Header=BB144_2 Depth=1
	ds_load_b64 v[7:8], v11 offset:56
	s_wait_dscnt 0x1
	v_dual_mov_b32 v6, v2 :: v_dual_mov_b32 v5, v1
.LBB144_22:                             ;   in Loop: Header=BB144_2 Depth=1
	s_or_b32 exec_lo, exec_lo, s8
	v_add_nc_u32_e32 v11, 1, v9
	v_add_nc_u32_e32 v12, 1, v10
	s_wait_dscnt 0x0
	v_cmp_lt_i64_e64 s8, v[7:8], v[5:6]
	s_delay_alu instid0(VALU_DEP_3) | instskip(NEXT) | instid1(VALU_DEP_3)
	v_cndmask_b32_e64 v83, v11, v9, s7
	v_cndmask_b32_e64 v82, v10, v12, s7
                                        ; implicit-def: $vgpr9_vgpr10
	s_delay_alu instid0(VALU_DEP_2) | instskip(NEXT) | instid1(VALU_DEP_2)
	v_cmp_ge_i32_e64 s9, v83, v19
	v_cmp_lt_i32_e64 s10, v82, v20
	s_or_b32 s8, s9, s8
	s_wait_alu 0xfffe
	s_and_b32 s8, s10, s8
	s_wait_alu 0xfffe
	s_xor_b32 s9, s8, -1
	s_wait_alu 0xfffe
	s_and_saveexec_b32 s10, s9
	s_delay_alu instid0(SALU_CYCLE_1)
	s_xor_b32 s9, exec_lo, s10
; %bb.23:                               ;   in Loop: Header=BB144_2 Depth=1
	v_lshlrev_b32_e32 v9, 3, v83
	ds_load_b64 v[9:10], v9 offset:8
; %bb.24:                               ;   in Loop: Header=BB144_2 Depth=1
	s_wait_alu 0xfffe
	s_or_saveexec_b32 s9, s9
	v_dual_mov_b32 v12, v8 :: v_dual_mov_b32 v11, v7
	s_wait_alu 0xfffe
	s_xor_b32 exec_lo, exec_lo, s9
	s_cbranch_execz .LBB144_26
; %bb.25:                               ;   in Loop: Header=BB144_2 Depth=1
	s_wait_dscnt 0x0
	v_lshlrev_b32_e32 v9, 3, v82
	ds_load_b64 v[11:12], v9 offset:8
	v_dual_mov_b32 v10, v6 :: v_dual_mov_b32 v9, v5
.LBB144_26:                             ;   in Loop: Header=BB144_2 Depth=1
	s_or_b32 exec_lo, exec_lo, s9
	v_add_nc_u32_e32 v84, 1, v83
	v_add_nc_u32_e32 v85, 1, v82
	v_cndmask_b32_e64 v7, v5, v7, s8
	v_mov_b32_e32 v5, v30
	v_cndmask_b32_e64 v8, v6, v8, s8
	v_cndmask_b32_e64 v83, v84, v83, s8
	v_cndmask_b32_e64 v6, v82, v85, s8
	s_wait_dscnt 0x0
	v_cmp_lt_i64_e64 s8, v[11:12], v[9:10]
	v_cndmask_b32_e64 v2, v2, v4, s7
	v_cndmask_b32_e64 v1, v1, v3, s7
	v_cmp_ge_i32_e64 s9, v83, v19
	v_cmp_lt_i32_e64 s10, v6, v20
	s_wait_loadcnt 0x0
	s_barrier_signal -1
	s_barrier_wait -1
	s_or_b32 s7, s9, s8
	global_inv scope:SCOPE_SE
	s_wait_alu 0xfffe
	s_and_b32 s7, s10, s7
	s_wait_alu 0xfffe
	v_cndmask_b32_e64 v4, v10, v12, s7
	v_cndmask_b32_e64 v3, v9, v11, s7
	ds_store_2addr_b64 v16, v[1:2], v[7:8] offset1:1
	ds_store_b64 v16, v[3:4] offset:16
	s_wait_loadcnt_dscnt 0x0
	s_barrier_signal -1
	s_barrier_wait -1
	global_inv scope:SCOPE_SE
	s_and_saveexec_b32 s8, s1
	s_cbranch_execz .LBB144_30
; %bb.27:                               ;   in Loop: Header=BB144_2 Depth=1
	v_mov_b32_e32 v5, v30
	v_mov_b32_e32 v1, v31
	s_mov_b32 s9, 0
.LBB144_28:                             ;   Parent Loop BB144_2 Depth=1
                                        ; =>  This Inner Loop Header: Depth=2
	s_delay_alu instid0(VALU_DEP_1) | instskip(NEXT) | instid1(VALU_DEP_1)
	v_sub_nc_u32_e32 v2, v1, v5
	v_lshrrev_b32_e32 v2, 1, v2
	s_delay_alu instid0(VALU_DEP_1) | instskip(NEXT) | instid1(VALU_DEP_1)
	v_add_nc_u32_e32 v4, v2, v5
	v_not_b32_e32 v2, v4
	v_lshl_add_u32 v3, v4, 3, v33
	s_delay_alu instid0(VALU_DEP_2)
	v_lshl_add_u32 v6, v2, 3, v69
	ds_load_b64 v[2:3], v3
	ds_load_b64 v[6:7], v6 offset:96
	s_wait_dscnt 0x0
	v_cmp_lt_i64_e64 s7, v[6:7], v[2:3]
	v_add_nc_u32_e32 v2, 1, v4
	s_wait_alu 0xf1ff
	s_delay_alu instid0(VALU_DEP_2) | instskip(NEXT) | instid1(VALU_DEP_2)
	v_cndmask_b32_e64 v1, v1, v4, s7
	v_cndmask_b32_e64 v5, v2, v5, s7
	s_delay_alu instid0(VALU_DEP_1)
	v_cmp_ge_i32_e64 s7, v5, v1
	s_wait_alu 0xfffe
	s_or_b32 s9, s7, s9
	s_wait_alu 0xfffe
	s_and_not1_b32 exec_lo, exec_lo, s9
	s_cbranch_execnz .LBB144_28
; %bb.29:                               ;   in Loop: Header=BB144_2 Depth=1
	s_or_b32 exec_lo, exec_lo, s9
.LBB144_30:                             ;   in Loop: Header=BB144_2 Depth=1
	s_wait_alu 0xfffe
	s_or_b32 exec_lo, exec_lo, s8
	v_sub_nc_u32_e32 v1, v77, v5
	v_lshl_add_u32 v7, v5, 3, v33
	v_add_nc_u32_e32 v9, v5, v27
	v_sub_nc_u32_e32 v10, v37, v5
                                        ; implicit-def: $vgpr5_vgpr6
	s_delay_alu instid0(VALU_DEP_4)
	v_lshlrev_b32_e32 v11, 3, v1
	ds_load_b64 v[1:2], v7
	ds_load_b64 v[3:4], v11 offset:96
	v_cmp_le_i32_e64 s8, v24, v9
	v_cmp_gt_i32_e64 s9, v25, v10
	s_wait_dscnt 0x0
	v_cmp_lt_i64_e64 s7, v[3:4], v[1:2]
	s_or_b32 s7, s8, s7
	s_wait_alu 0xfffe
	s_and_b32 s7, s9, s7
	s_wait_alu 0xfffe
	s_xor_b32 s8, s7, -1
	s_wait_alu 0xfffe
	s_and_saveexec_b32 s9, s8
	s_wait_alu 0xfffe
	s_xor_b32 s8, exec_lo, s9
; %bb.31:                               ;   in Loop: Header=BB144_2 Depth=1
	ds_load_b64 v[5:6], v7 offset:8
                                        ; implicit-def: $vgpr11
; %bb.32:                               ;   in Loop: Header=BB144_2 Depth=1
	s_wait_alu 0xfffe
	s_or_saveexec_b32 s8, s8
	v_dual_mov_b32 v8, v4 :: v_dual_mov_b32 v7, v3
	s_wait_alu 0xfffe
	s_xor_b32 exec_lo, exec_lo, s8
	s_cbranch_execz .LBB144_34
; %bb.33:                               ;   in Loop: Header=BB144_2 Depth=1
	ds_load_b64 v[7:8], v11 offset:104
	s_wait_dscnt 0x1
	v_dual_mov_b32 v6, v2 :: v_dual_mov_b32 v5, v1
.LBB144_34:                             ;   in Loop: Header=BB144_2 Depth=1
	s_or_b32 exec_lo, exec_lo, s8
	v_add_nc_u32_e32 v11, 1, v9
	v_add_nc_u32_e32 v12, 1, v10
	s_wait_dscnt 0x0
	v_cmp_lt_i64_e64 s8, v[7:8], v[5:6]
	s_delay_alu instid0(VALU_DEP_3) | instskip(NEXT) | instid1(VALU_DEP_3)
	v_cndmask_b32_e64 v83, v11, v9, s7
	v_cndmask_b32_e64 v82, v10, v12, s7
                                        ; implicit-def: $vgpr9_vgpr10
	s_delay_alu instid0(VALU_DEP_2) | instskip(NEXT) | instid1(VALU_DEP_2)
	v_cmp_ge_i32_e64 s9, v83, v24
	v_cmp_lt_i32_e64 s10, v82, v25
	s_or_b32 s8, s9, s8
	s_wait_alu 0xfffe
	s_and_b32 s8, s10, s8
	s_wait_alu 0xfffe
	s_xor_b32 s9, s8, -1
	s_wait_alu 0xfffe
	s_and_saveexec_b32 s10, s9
	s_delay_alu instid0(SALU_CYCLE_1)
	s_xor_b32 s9, exec_lo, s10
; %bb.35:                               ;   in Loop: Header=BB144_2 Depth=1
	v_lshlrev_b32_e32 v9, 3, v83
	ds_load_b64 v[9:10], v9 offset:8
; %bb.36:                               ;   in Loop: Header=BB144_2 Depth=1
	s_wait_alu 0xfffe
	s_or_saveexec_b32 s9, s9
	v_dual_mov_b32 v12, v8 :: v_dual_mov_b32 v11, v7
	s_wait_alu 0xfffe
	s_xor_b32 exec_lo, exec_lo, s9
	s_cbranch_execz .LBB144_38
; %bb.37:                               ;   in Loop: Header=BB144_2 Depth=1
	s_wait_dscnt 0x0
	v_lshlrev_b32_e32 v9, 3, v82
	ds_load_b64 v[11:12], v9 offset:8
	v_dual_mov_b32 v10, v6 :: v_dual_mov_b32 v9, v5
.LBB144_38:                             ;   in Loop: Header=BB144_2 Depth=1
	s_or_b32 exec_lo, exec_lo, s9
	v_add_nc_u32_e32 v84, 1, v83
	v_add_nc_u32_e32 v85, 1, v82
	v_cndmask_b32_e64 v7, v5, v7, s8
	v_mov_b32_e32 v5, v41
	v_cndmask_b32_e64 v8, v6, v8, s8
	v_cndmask_b32_e64 v83, v84, v83, s8
	;; [unrolled: 1-line block ×3, first 2 shown]
	s_wait_dscnt 0x0
	v_cmp_lt_i64_e64 s8, v[11:12], v[9:10]
	v_cndmask_b32_e64 v2, v2, v4, s7
	v_cndmask_b32_e64 v1, v1, v3, s7
	v_cmp_ge_i32_e64 s9, v83, v24
	v_cmp_lt_i32_e64 s10, v6, v25
	s_wait_loadcnt 0x0
	s_barrier_signal -1
	s_barrier_wait -1
	s_or_b32 s7, s9, s8
	global_inv scope:SCOPE_SE
	s_wait_alu 0xfffe
	s_and_b32 s7, s10, s7
	s_wait_alu 0xfffe
	v_cndmask_b32_e64 v4, v10, v12, s7
	v_cndmask_b32_e64 v3, v9, v11, s7
	ds_store_2addr_b64 v16, v[1:2], v[7:8] offset1:1
	ds_store_b64 v16, v[3:4] offset:16
	s_wait_loadcnt_dscnt 0x0
	s_barrier_signal -1
	s_barrier_wait -1
	global_inv scope:SCOPE_SE
	s_and_saveexec_b32 s8, s2
	s_cbranch_execz .LBB144_42
; %bb.39:                               ;   in Loop: Header=BB144_2 Depth=1
	v_mov_b32_e32 v5, v41
	v_mov_b32_e32 v1, v42
	s_mov_b32 s9, 0
.LBB144_40:                             ;   Parent Loop BB144_2 Depth=1
                                        ; =>  This Inner Loop Header: Depth=2
	s_delay_alu instid0(VALU_DEP_1) | instskip(NEXT) | instid1(VALU_DEP_1)
	v_sub_nc_u32_e32 v2, v1, v5
	v_lshrrev_b32_e32 v2, 1, v2
	s_delay_alu instid0(VALU_DEP_1) | instskip(NEXT) | instid1(VALU_DEP_1)
	v_add_nc_u32_e32 v4, v2, v5
	v_not_b32_e32 v2, v4
	v_lshl_add_u32 v3, v4, 3, v38
	s_delay_alu instid0(VALU_DEP_2)
	v_lshl_add_u32 v6, v2, 3, v70
	ds_load_b64 v[2:3], v3
	ds_load_b64 v[6:7], v6 offset:192
	s_wait_dscnt 0x0
	v_cmp_lt_i64_e64 s7, v[6:7], v[2:3]
	v_add_nc_u32_e32 v2, 1, v4
	s_wait_alu 0xf1ff
	s_delay_alu instid0(VALU_DEP_2) | instskip(NEXT) | instid1(VALU_DEP_2)
	v_cndmask_b32_e64 v1, v1, v4, s7
	v_cndmask_b32_e64 v5, v2, v5, s7
	s_delay_alu instid0(VALU_DEP_1)
	v_cmp_ge_i32_e64 s7, v5, v1
	s_wait_alu 0xfffe
	s_or_b32 s9, s7, s9
	s_wait_alu 0xfffe
	s_and_not1_b32 exec_lo, exec_lo, s9
	s_cbranch_execnz .LBB144_40
; %bb.41:                               ;   in Loop: Header=BB144_2 Depth=1
	s_or_b32 exec_lo, exec_lo, s9
.LBB144_42:                             ;   in Loop: Header=BB144_2 Depth=1
	s_wait_alu 0xfffe
	s_or_b32 exec_lo, exec_lo, s8
	v_sub_nc_u32_e32 v1, v78, v5
	v_lshl_add_u32 v7, v5, 3, v38
	v_add_nc_u32_e32 v9, v5, v36
	v_sub_nc_u32_e32 v10, v44, v5
                                        ; implicit-def: $vgpr5_vgpr6
	s_delay_alu instid0(VALU_DEP_4)
	v_lshlrev_b32_e32 v11, 3, v1
	ds_load_b64 v[1:2], v7
	ds_load_b64 v[3:4], v11 offset:192
	v_cmp_le_i32_e64 s8, v34, v9
	v_cmp_gt_i32_e64 s9, v35, v10
	s_wait_dscnt 0x0
	v_cmp_lt_i64_e64 s7, v[3:4], v[1:2]
	s_or_b32 s7, s8, s7
	s_wait_alu 0xfffe
	s_and_b32 s7, s9, s7
	s_wait_alu 0xfffe
	s_xor_b32 s8, s7, -1
	s_wait_alu 0xfffe
	s_and_saveexec_b32 s9, s8
	s_wait_alu 0xfffe
	s_xor_b32 s8, exec_lo, s9
; %bb.43:                               ;   in Loop: Header=BB144_2 Depth=1
	ds_load_b64 v[5:6], v7 offset:8
                                        ; implicit-def: $vgpr11
; %bb.44:                               ;   in Loop: Header=BB144_2 Depth=1
	s_wait_alu 0xfffe
	s_or_saveexec_b32 s8, s8
	v_dual_mov_b32 v8, v4 :: v_dual_mov_b32 v7, v3
	s_wait_alu 0xfffe
	s_xor_b32 exec_lo, exec_lo, s8
	s_cbranch_execz .LBB144_46
; %bb.45:                               ;   in Loop: Header=BB144_2 Depth=1
	ds_load_b64 v[7:8], v11 offset:200
	s_wait_dscnt 0x1
	v_dual_mov_b32 v6, v2 :: v_dual_mov_b32 v5, v1
.LBB144_46:                             ;   in Loop: Header=BB144_2 Depth=1
	s_or_b32 exec_lo, exec_lo, s8
	v_add_nc_u32_e32 v11, 1, v9
	v_add_nc_u32_e32 v12, 1, v10
	s_wait_dscnt 0x0
	v_cmp_lt_i64_e64 s8, v[7:8], v[5:6]
	s_delay_alu instid0(VALU_DEP_3) | instskip(NEXT) | instid1(VALU_DEP_3)
	v_cndmask_b32_e64 v83, v11, v9, s7
	v_cndmask_b32_e64 v82, v10, v12, s7
                                        ; implicit-def: $vgpr9_vgpr10
	s_delay_alu instid0(VALU_DEP_2) | instskip(NEXT) | instid1(VALU_DEP_2)
	v_cmp_ge_i32_e64 s9, v83, v34
	v_cmp_lt_i32_e64 s10, v82, v35
	s_or_b32 s8, s9, s8
	s_wait_alu 0xfffe
	s_and_b32 s8, s10, s8
	s_wait_alu 0xfffe
	s_xor_b32 s9, s8, -1
	s_wait_alu 0xfffe
	s_and_saveexec_b32 s10, s9
	s_delay_alu instid0(SALU_CYCLE_1)
	s_xor_b32 s9, exec_lo, s10
; %bb.47:                               ;   in Loop: Header=BB144_2 Depth=1
	v_lshlrev_b32_e32 v9, 3, v83
	ds_load_b64 v[9:10], v9 offset:8
; %bb.48:                               ;   in Loop: Header=BB144_2 Depth=1
	s_wait_alu 0xfffe
	s_or_saveexec_b32 s9, s9
	v_dual_mov_b32 v12, v8 :: v_dual_mov_b32 v11, v7
	s_wait_alu 0xfffe
	s_xor_b32 exec_lo, exec_lo, s9
	s_cbranch_execz .LBB144_50
; %bb.49:                               ;   in Loop: Header=BB144_2 Depth=1
	s_wait_dscnt 0x0
	v_lshlrev_b32_e32 v9, 3, v82
	ds_load_b64 v[11:12], v9 offset:8
	v_dual_mov_b32 v10, v6 :: v_dual_mov_b32 v9, v5
.LBB144_50:                             ;   in Loop: Header=BB144_2 Depth=1
	s_or_b32 exec_lo, exec_lo, s9
	v_add_nc_u32_e32 v84, 1, v83
	v_add_nc_u32_e32 v85, 1, v82
	v_cndmask_b32_e64 v7, v5, v7, s8
	v_mov_b32_e32 v5, v45
	v_cndmask_b32_e64 v8, v6, v8, s8
	v_cndmask_b32_e64 v83, v84, v83, s8
	;; [unrolled: 1-line block ×3, first 2 shown]
	s_wait_dscnt 0x0
	v_cmp_lt_i64_e64 s8, v[11:12], v[9:10]
	v_cndmask_b32_e64 v2, v2, v4, s7
	v_cndmask_b32_e64 v1, v1, v3, s7
	v_cmp_ge_i32_e64 s9, v83, v34
	v_cmp_lt_i32_e64 s10, v6, v35
	s_wait_loadcnt 0x0
	s_barrier_signal -1
	s_barrier_wait -1
	s_or_b32 s7, s9, s8
	global_inv scope:SCOPE_SE
	s_wait_alu 0xfffe
	s_and_b32 s7, s10, s7
	s_wait_alu 0xfffe
	v_cndmask_b32_e64 v4, v10, v12, s7
	v_cndmask_b32_e64 v3, v9, v11, s7
	ds_store_2addr_b64 v16, v[1:2], v[7:8] offset1:1
	ds_store_b64 v16, v[3:4] offset:16
	s_wait_loadcnt_dscnt 0x0
	s_barrier_signal -1
	s_barrier_wait -1
	global_inv scope:SCOPE_SE
	s_and_saveexec_b32 s8, s3
	s_cbranch_execz .LBB144_54
; %bb.51:                               ;   in Loop: Header=BB144_2 Depth=1
	v_mov_b32_e32 v5, v45
	v_mov_b32_e32 v1, v48
	s_mov_b32 s9, 0
.LBB144_52:                             ;   Parent Loop BB144_2 Depth=1
                                        ; =>  This Inner Loop Header: Depth=2
	s_delay_alu instid0(VALU_DEP_1) | instskip(NEXT) | instid1(VALU_DEP_1)
	v_sub_nc_u32_e32 v2, v1, v5
	v_lshrrev_b32_e32 v2, 1, v2
	s_delay_alu instid0(VALU_DEP_1) | instskip(NEXT) | instid1(VALU_DEP_1)
	v_add_nc_u32_e32 v4, v2, v5
	v_not_b32_e32 v2, v4
	v_lshl_add_u32 v3, v4, 3, v49
	s_delay_alu instid0(VALU_DEP_2)
	v_lshl_add_u32 v6, v2, 3, v71
	ds_load_b64 v[2:3], v3
	ds_load_b64 v[6:7], v6 offset:384
	s_wait_dscnt 0x0
	v_cmp_lt_i64_e64 s7, v[6:7], v[2:3]
	v_add_nc_u32_e32 v2, 1, v4
	s_wait_alu 0xf1ff
	s_delay_alu instid0(VALU_DEP_2) | instskip(NEXT) | instid1(VALU_DEP_2)
	v_cndmask_b32_e64 v1, v1, v4, s7
	v_cndmask_b32_e64 v5, v2, v5, s7
	s_delay_alu instid0(VALU_DEP_1)
	v_cmp_ge_i32_e64 s7, v5, v1
	s_wait_alu 0xfffe
	s_or_b32 s9, s7, s9
	s_wait_alu 0xfffe
	s_and_not1_b32 exec_lo, exec_lo, s9
	s_cbranch_execnz .LBB144_52
; %bb.53:                               ;   in Loop: Header=BB144_2 Depth=1
	s_or_b32 exec_lo, exec_lo, s9
.LBB144_54:                             ;   in Loop: Header=BB144_2 Depth=1
	s_wait_alu 0xfffe
	s_or_b32 exec_lo, exec_lo, s8
	v_sub_nc_u32_e32 v1, v79, v5
	v_lshl_add_u32 v7, v5, 3, v49
	v_add_nc_u32_e32 v9, v5, v43
	v_sub_nc_u32_e32 v10, v56, v5
                                        ; implicit-def: $vgpr5_vgpr6
	s_delay_alu instid0(VALU_DEP_4)
	v_lshlrev_b32_e32 v11, 3, v1
	ds_load_b64 v[1:2], v7
	ds_load_b64 v[3:4], v11 offset:384
	v_cmp_le_i32_e64 s8, v39, v9
	v_cmp_gt_i32_e64 s9, v40, v10
	s_wait_dscnt 0x0
	v_cmp_lt_i64_e64 s7, v[3:4], v[1:2]
	s_or_b32 s7, s8, s7
	s_wait_alu 0xfffe
	s_and_b32 s7, s9, s7
	s_wait_alu 0xfffe
	s_xor_b32 s8, s7, -1
	s_wait_alu 0xfffe
	s_and_saveexec_b32 s9, s8
	s_wait_alu 0xfffe
	s_xor_b32 s8, exec_lo, s9
; %bb.55:                               ;   in Loop: Header=BB144_2 Depth=1
	ds_load_b64 v[5:6], v7 offset:8
                                        ; implicit-def: $vgpr11
; %bb.56:                               ;   in Loop: Header=BB144_2 Depth=1
	s_wait_alu 0xfffe
	s_or_saveexec_b32 s8, s8
	v_dual_mov_b32 v8, v4 :: v_dual_mov_b32 v7, v3
	s_wait_alu 0xfffe
	s_xor_b32 exec_lo, exec_lo, s8
	s_cbranch_execz .LBB144_58
; %bb.57:                               ;   in Loop: Header=BB144_2 Depth=1
	ds_load_b64 v[7:8], v11 offset:392
	s_wait_dscnt 0x1
	v_dual_mov_b32 v6, v2 :: v_dual_mov_b32 v5, v1
.LBB144_58:                             ;   in Loop: Header=BB144_2 Depth=1
	s_or_b32 exec_lo, exec_lo, s8
	v_add_nc_u32_e32 v11, 1, v9
	v_add_nc_u32_e32 v12, 1, v10
	s_wait_dscnt 0x0
	v_cmp_lt_i64_e64 s8, v[7:8], v[5:6]
	s_delay_alu instid0(VALU_DEP_3) | instskip(NEXT) | instid1(VALU_DEP_3)
	v_cndmask_b32_e64 v83, v11, v9, s7
	v_cndmask_b32_e64 v82, v10, v12, s7
                                        ; implicit-def: $vgpr9_vgpr10
	s_delay_alu instid0(VALU_DEP_2) | instskip(NEXT) | instid1(VALU_DEP_2)
	v_cmp_ge_i32_e64 s9, v83, v39
	v_cmp_lt_i32_e64 s10, v82, v40
	s_or_b32 s8, s9, s8
	s_wait_alu 0xfffe
	s_and_b32 s8, s10, s8
	s_wait_alu 0xfffe
	s_xor_b32 s9, s8, -1
	s_wait_alu 0xfffe
	s_and_saveexec_b32 s10, s9
	s_delay_alu instid0(SALU_CYCLE_1)
	s_xor_b32 s9, exec_lo, s10
; %bb.59:                               ;   in Loop: Header=BB144_2 Depth=1
	v_lshlrev_b32_e32 v9, 3, v83
	ds_load_b64 v[9:10], v9 offset:8
; %bb.60:                               ;   in Loop: Header=BB144_2 Depth=1
	s_wait_alu 0xfffe
	s_or_saveexec_b32 s9, s9
	v_dual_mov_b32 v12, v8 :: v_dual_mov_b32 v11, v7
	s_wait_alu 0xfffe
	s_xor_b32 exec_lo, exec_lo, s9
	s_cbranch_execz .LBB144_62
; %bb.61:                               ;   in Loop: Header=BB144_2 Depth=1
	s_wait_dscnt 0x0
	v_lshlrev_b32_e32 v9, 3, v82
	ds_load_b64 v[11:12], v9 offset:8
	v_dual_mov_b32 v10, v6 :: v_dual_mov_b32 v9, v5
.LBB144_62:                             ;   in Loop: Header=BB144_2 Depth=1
	s_or_b32 exec_lo, exec_lo, s9
	v_add_nc_u32_e32 v84, 1, v83
	v_add_nc_u32_e32 v85, 1, v82
	v_cndmask_b32_e64 v7, v5, v7, s8
	v_mov_b32_e32 v5, v53
	v_cndmask_b32_e64 v8, v6, v8, s8
	v_cndmask_b32_e64 v83, v84, v83, s8
	;; [unrolled: 1-line block ×3, first 2 shown]
	s_wait_dscnt 0x0
	v_cmp_lt_i64_e64 s8, v[11:12], v[9:10]
	v_cndmask_b32_e64 v2, v2, v4, s7
	v_cndmask_b32_e64 v1, v1, v3, s7
	v_cmp_ge_i32_e64 s9, v83, v39
	v_cmp_lt_i32_e64 s10, v6, v40
	s_wait_loadcnt 0x0
	s_barrier_signal -1
	s_barrier_wait -1
	s_or_b32 s7, s9, s8
	global_inv scope:SCOPE_SE
	s_wait_alu 0xfffe
	s_and_b32 s7, s10, s7
	s_wait_alu 0xfffe
	v_cndmask_b32_e64 v4, v10, v12, s7
	v_cndmask_b32_e64 v3, v9, v11, s7
	ds_store_2addr_b64 v16, v[1:2], v[7:8] offset1:1
	ds_store_b64 v16, v[3:4] offset:16
	s_wait_loadcnt_dscnt 0x0
	s_barrier_signal -1
	s_barrier_wait -1
	global_inv scope:SCOPE_SE
	s_and_saveexec_b32 s8, s4
	s_cbranch_execz .LBB144_66
; %bb.63:                               ;   in Loop: Header=BB144_2 Depth=1
	v_mov_b32_e32 v5, v53
	v_mov_b32_e32 v1, v55
	s_mov_b32 s9, 0
.LBB144_64:                             ;   Parent Loop BB144_2 Depth=1
                                        ; =>  This Inner Loop Header: Depth=2
	s_delay_alu instid0(VALU_DEP_1) | instskip(NEXT) | instid1(VALU_DEP_1)
	v_sub_nc_u32_e32 v2, v1, v5
	v_lshrrev_b32_e32 v2, 1, v2
	s_delay_alu instid0(VALU_DEP_1) | instskip(NEXT) | instid1(VALU_DEP_1)
	v_add_nc_u32_e32 v4, v2, v5
	v_not_b32_e32 v2, v4
	v_lshl_add_u32 v3, v4, 3, v57
	s_delay_alu instid0(VALU_DEP_2)
	v_lshl_add_u32 v6, v2, 3, v72
	ds_load_b64 v[2:3], v3
	ds_load_b64 v[6:7], v6 offset:768
	s_wait_dscnt 0x0
	v_cmp_lt_i64_e64 s7, v[6:7], v[2:3]
	v_add_nc_u32_e32 v2, 1, v4
	s_wait_alu 0xf1ff
	s_delay_alu instid0(VALU_DEP_2) | instskip(NEXT) | instid1(VALU_DEP_2)
	v_cndmask_b32_e64 v1, v1, v4, s7
	v_cndmask_b32_e64 v5, v2, v5, s7
	s_delay_alu instid0(VALU_DEP_1)
	v_cmp_ge_i32_e64 s7, v5, v1
	s_wait_alu 0xfffe
	s_or_b32 s9, s7, s9
	s_wait_alu 0xfffe
	s_and_not1_b32 exec_lo, exec_lo, s9
	s_cbranch_execnz .LBB144_64
; %bb.65:                               ;   in Loop: Header=BB144_2 Depth=1
	s_or_b32 exec_lo, exec_lo, s9
.LBB144_66:                             ;   in Loop: Header=BB144_2 Depth=1
	s_wait_alu 0xfffe
	s_or_b32 exec_lo, exec_lo, s8
	v_sub_nc_u32_e32 v1, v80, v5
	v_lshl_add_u32 v7, v5, 3, v57
	v_add_nc_u32_e32 v9, v5, v50
	v_sub_nc_u32_e32 v10, v61, v5
                                        ; implicit-def: $vgpr5_vgpr6
	s_delay_alu instid0(VALU_DEP_4)
	v_lshlrev_b32_e32 v11, 3, v1
	ds_load_b64 v[1:2], v7
	ds_load_b64 v[3:4], v11 offset:768
	v_cmp_le_i32_e64 s8, v46, v9
	v_cmp_gt_i32_e64 s9, v47, v10
	s_wait_dscnt 0x0
	v_cmp_lt_i64_e64 s7, v[3:4], v[1:2]
	s_or_b32 s7, s8, s7
	s_wait_alu 0xfffe
	s_and_b32 s7, s9, s7
	s_wait_alu 0xfffe
	s_xor_b32 s8, s7, -1
	s_wait_alu 0xfffe
	s_and_saveexec_b32 s9, s8
	s_wait_alu 0xfffe
	s_xor_b32 s8, exec_lo, s9
; %bb.67:                               ;   in Loop: Header=BB144_2 Depth=1
	ds_load_b64 v[5:6], v7 offset:8
                                        ; implicit-def: $vgpr11
; %bb.68:                               ;   in Loop: Header=BB144_2 Depth=1
	s_wait_alu 0xfffe
	s_or_saveexec_b32 s8, s8
	v_dual_mov_b32 v8, v4 :: v_dual_mov_b32 v7, v3
	s_wait_alu 0xfffe
	s_xor_b32 exec_lo, exec_lo, s8
	s_cbranch_execz .LBB144_70
; %bb.69:                               ;   in Loop: Header=BB144_2 Depth=1
	ds_load_b64 v[7:8], v11 offset:776
	s_wait_dscnt 0x1
	v_dual_mov_b32 v6, v2 :: v_dual_mov_b32 v5, v1
.LBB144_70:                             ;   in Loop: Header=BB144_2 Depth=1
	s_or_b32 exec_lo, exec_lo, s8
	v_add_nc_u32_e32 v11, 1, v9
	v_add_nc_u32_e32 v12, 1, v10
	s_wait_dscnt 0x0
	v_cmp_lt_i64_e64 s8, v[7:8], v[5:6]
	s_delay_alu instid0(VALU_DEP_3) | instskip(NEXT) | instid1(VALU_DEP_3)
	v_cndmask_b32_e64 v83, v11, v9, s7
	v_cndmask_b32_e64 v82, v10, v12, s7
                                        ; implicit-def: $vgpr9_vgpr10
	s_delay_alu instid0(VALU_DEP_2) | instskip(NEXT) | instid1(VALU_DEP_2)
	v_cmp_ge_i32_e64 s9, v83, v46
	v_cmp_lt_i32_e64 s10, v82, v47
	s_or_b32 s8, s9, s8
	s_wait_alu 0xfffe
	s_and_b32 s8, s10, s8
	s_wait_alu 0xfffe
	s_xor_b32 s9, s8, -1
	s_wait_alu 0xfffe
	s_and_saveexec_b32 s10, s9
	s_delay_alu instid0(SALU_CYCLE_1)
	s_xor_b32 s9, exec_lo, s10
; %bb.71:                               ;   in Loop: Header=BB144_2 Depth=1
	v_lshlrev_b32_e32 v9, 3, v83
	ds_load_b64 v[9:10], v9 offset:8
; %bb.72:                               ;   in Loop: Header=BB144_2 Depth=1
	s_wait_alu 0xfffe
	s_or_saveexec_b32 s9, s9
	v_dual_mov_b32 v12, v8 :: v_dual_mov_b32 v11, v7
	s_wait_alu 0xfffe
	s_xor_b32 exec_lo, exec_lo, s9
	s_cbranch_execz .LBB144_74
; %bb.73:                               ;   in Loop: Header=BB144_2 Depth=1
	s_wait_dscnt 0x0
	v_lshlrev_b32_e32 v9, 3, v82
	ds_load_b64 v[11:12], v9 offset:8
	v_dual_mov_b32 v10, v6 :: v_dual_mov_b32 v9, v5
.LBB144_74:                             ;   in Loop: Header=BB144_2 Depth=1
	s_or_b32 exec_lo, exec_lo, s9
	v_add_nc_u32_e32 v84, 1, v83
	v_add_nc_u32_e32 v85, 1, v82
	v_cndmask_b32_e64 v7, v5, v7, s8
	v_mov_b32_e32 v5, v59
	v_cndmask_b32_e64 v8, v6, v8, s8
	v_cndmask_b32_e64 v83, v84, v83, s8
	;; [unrolled: 1-line block ×3, first 2 shown]
	s_wait_dscnt 0x0
	v_cmp_lt_i64_e64 s8, v[11:12], v[9:10]
	v_cndmask_b32_e64 v2, v2, v4, s7
	v_cndmask_b32_e64 v1, v1, v3, s7
	v_cmp_ge_i32_e64 s9, v83, v46
	v_cmp_lt_i32_e64 s10, v6, v47
	s_wait_loadcnt 0x0
	s_barrier_signal -1
	s_barrier_wait -1
	s_or_b32 s7, s9, s8
	global_inv scope:SCOPE_SE
	s_wait_alu 0xfffe
	s_and_b32 s7, s10, s7
	s_wait_alu 0xfffe
	v_cndmask_b32_e64 v4, v10, v12, s7
	v_cndmask_b32_e64 v3, v9, v11, s7
	ds_store_2addr_b64 v16, v[1:2], v[7:8] offset1:1
	ds_store_b64 v16, v[3:4] offset:16
	s_wait_loadcnt_dscnt 0x0
	s_barrier_signal -1
	s_barrier_wait -1
	global_inv scope:SCOPE_SE
	s_and_saveexec_b32 s8, s5
	s_cbranch_execz .LBB144_78
; %bb.75:                               ;   in Loop: Header=BB144_2 Depth=1
	v_mov_b32_e32 v5, v59
	v_mov_b32_e32 v1, v60
	s_mov_b32 s9, 0
.LBB144_76:                             ;   Parent Loop BB144_2 Depth=1
                                        ; =>  This Inner Loop Header: Depth=2
	s_delay_alu instid0(VALU_DEP_1) | instskip(NEXT) | instid1(VALU_DEP_1)
	v_sub_nc_u32_e32 v2, v1, v5
	v_lshrrev_b32_e32 v2, 1, v2
	s_delay_alu instid0(VALU_DEP_1) | instskip(NEXT) | instid1(VALU_DEP_1)
	v_add_nc_u32_e32 v4, v2, v5
	v_not_b32_e32 v2, v4
	v_lshl_add_u32 v3, v4, 3, v62
	s_delay_alu instid0(VALU_DEP_2)
	v_lshl_add_u32 v6, v2, 3, v73
	ds_load_b64 v[2:3], v3
	ds_load_b64 v[6:7], v6 offset:1536
	s_wait_dscnt 0x0
	v_cmp_lt_i64_e64 s7, v[6:7], v[2:3]
	v_add_nc_u32_e32 v2, 1, v4
	s_wait_alu 0xf1ff
	s_delay_alu instid0(VALU_DEP_2) | instskip(NEXT) | instid1(VALU_DEP_2)
	v_cndmask_b32_e64 v1, v1, v4, s7
	v_cndmask_b32_e64 v5, v2, v5, s7
	s_delay_alu instid0(VALU_DEP_1)
	v_cmp_ge_i32_e64 s7, v5, v1
	s_wait_alu 0xfffe
	s_or_b32 s9, s7, s9
	s_wait_alu 0xfffe
	s_and_not1_b32 exec_lo, exec_lo, s9
	s_cbranch_execnz .LBB144_76
; %bb.77:                               ;   in Loop: Header=BB144_2 Depth=1
	s_or_b32 exec_lo, exec_lo, s9
.LBB144_78:                             ;   in Loop: Header=BB144_2 Depth=1
	s_wait_alu 0xfffe
	s_or_b32 exec_lo, exec_lo, s8
	v_sub_nc_u32_e32 v1, v81, v5
	v_lshl_add_u32 v7, v5, 3, v62
	v_add_nc_u32_e32 v9, v5, v54
	v_sub_nc_u32_e32 v10, v65, v5
                                        ; implicit-def: $vgpr5_vgpr6
	s_delay_alu instid0(VALU_DEP_4)
	v_lshlrev_b32_e32 v11, 3, v1
	ds_load_b64 v[1:2], v7
	ds_load_b64 v[3:4], v11 offset:1536
	v_cmp_le_i32_e64 s8, v51, v9
	v_cmp_gt_i32_e64 s9, v52, v10
	s_wait_dscnt 0x0
	v_cmp_lt_i64_e64 s7, v[3:4], v[1:2]
	s_or_b32 s7, s8, s7
	s_wait_alu 0xfffe
	s_and_b32 s7, s9, s7
	s_wait_alu 0xfffe
	s_xor_b32 s8, s7, -1
	s_wait_alu 0xfffe
	s_and_saveexec_b32 s9, s8
	s_wait_alu 0xfffe
	s_xor_b32 s8, exec_lo, s9
; %bb.79:                               ;   in Loop: Header=BB144_2 Depth=1
	ds_load_b64 v[5:6], v7 offset:8
                                        ; implicit-def: $vgpr11
; %bb.80:                               ;   in Loop: Header=BB144_2 Depth=1
	s_wait_alu 0xfffe
	s_or_saveexec_b32 s8, s8
	v_dual_mov_b32 v8, v4 :: v_dual_mov_b32 v7, v3
	s_wait_alu 0xfffe
	s_xor_b32 exec_lo, exec_lo, s8
	s_cbranch_execz .LBB144_82
; %bb.81:                               ;   in Loop: Header=BB144_2 Depth=1
	ds_load_b64 v[7:8], v11 offset:1544
	s_wait_dscnt 0x1
	v_dual_mov_b32 v6, v2 :: v_dual_mov_b32 v5, v1
.LBB144_82:                             ;   in Loop: Header=BB144_2 Depth=1
	s_or_b32 exec_lo, exec_lo, s8
	v_add_nc_u32_e32 v11, 1, v9
	v_add_nc_u32_e32 v12, 1, v10
	s_wait_dscnt 0x0
	v_cmp_lt_i64_e64 s8, v[7:8], v[5:6]
	s_delay_alu instid0(VALU_DEP_3) | instskip(NEXT) | instid1(VALU_DEP_3)
	v_cndmask_b32_e64 v83, v11, v9, s7
	v_cndmask_b32_e64 v82, v10, v12, s7
                                        ; implicit-def: $vgpr9_vgpr10
	s_delay_alu instid0(VALU_DEP_2) | instskip(NEXT) | instid1(VALU_DEP_2)
	v_cmp_ge_i32_e64 s9, v83, v51
	v_cmp_lt_i32_e64 s10, v82, v52
	s_or_b32 s8, s9, s8
	s_wait_alu 0xfffe
	s_and_b32 s8, s10, s8
	s_wait_alu 0xfffe
	s_xor_b32 s9, s8, -1
	s_wait_alu 0xfffe
	s_and_saveexec_b32 s10, s9
	s_delay_alu instid0(SALU_CYCLE_1)
	s_xor_b32 s9, exec_lo, s10
; %bb.83:                               ;   in Loop: Header=BB144_2 Depth=1
	v_lshlrev_b32_e32 v9, 3, v83
	ds_load_b64 v[9:10], v9 offset:8
; %bb.84:                               ;   in Loop: Header=BB144_2 Depth=1
	s_wait_alu 0xfffe
	s_or_saveexec_b32 s9, s9
	v_dual_mov_b32 v12, v8 :: v_dual_mov_b32 v11, v7
	s_wait_alu 0xfffe
	s_xor_b32 exec_lo, exec_lo, s9
	s_cbranch_execz .LBB144_86
; %bb.85:                               ;   in Loop: Header=BB144_2 Depth=1
	s_wait_dscnt 0x0
	v_lshlrev_b32_e32 v9, 3, v82
	ds_load_b64 v[11:12], v9 offset:8
	v_dual_mov_b32 v10, v6 :: v_dual_mov_b32 v9, v5
.LBB144_86:                             ;   in Loop: Header=BB144_2 Depth=1
	s_or_b32 exec_lo, exec_lo, s9
	v_add_nc_u32_e32 v84, 1, v83
	v_add_nc_u32_e32 v85, 1, v82
	v_cndmask_b32_e64 v6, v6, v8, s8
	v_cndmask_b32_e64 v5, v5, v7, s8
	;; [unrolled: 1-line block ×5, first 2 shown]
	s_wait_dscnt 0x0
	v_cmp_lt_i64_e64 s8, v[11:12], v[9:10]
	v_cndmask_b32_e64 v1, v1, v3, s7
	s_wait_loadcnt 0x0
	v_cmp_ge_i32_e64 s9, v83, v51
	v_cmp_lt_i32_e64 s10, v8, v52
	s_barrier_signal -1
	s_barrier_wait -1
	global_inv scope:SCOPE_SE
	s_or_b32 s7, s9, s8
	s_wait_alu 0xfffe
	s_and_b32 s7, s10, s7
	s_wait_alu 0xfffe
	v_cndmask_b32_e64 v3, v9, v11, s7
	v_mov_b32_e32 v9, v63
	v_cndmask_b32_e64 v4, v10, v12, s7
	ds_store_2addr_b64 v16, v[1:2], v[5:6] offset1:1
	ds_store_b64 v16, v[3:4] offset:16
	s_wait_loadcnt_dscnt 0x0
	s_barrier_signal -1
	s_barrier_wait -1
	global_inv scope:SCOPE_SE
	s_and_saveexec_b32 s8, s6
	s_cbranch_execz .LBB144_90
; %bb.87:                               ;   in Loop: Header=BB144_2 Depth=1
	v_mov_b32_e32 v9, v63
	v_mov_b32_e32 v1, v64
	s_mov_b32 s9, 0
.LBB144_88:                             ;   Parent Loop BB144_2 Depth=1
                                        ; =>  This Inner Loop Header: Depth=2
	s_delay_alu instid0(VALU_DEP_1) | instskip(NEXT) | instid1(VALU_DEP_1)
	v_sub_nc_u32_e32 v2, v1, v9
	v_lshrrev_b32_e32 v2, 1, v2
	s_delay_alu instid0(VALU_DEP_1) | instskip(NEXT) | instid1(VALU_DEP_1)
	v_add_nc_u32_e32 v6, v2, v9
	v_not_b32_e32 v2, v6
	v_lshlrev_b32_e32 v3, 3, v6
	s_delay_alu instid0(VALU_DEP_2)
	v_lshl_add_u32 v4, v2, 3, v74
	ds_load_b64 v[2:3], v3
	ds_load_b64 v[4:5], v4 offset:3072
	s_wait_dscnt 0x0
	v_cmp_lt_i64_e64 s7, v[4:5], v[2:3]
	v_add_nc_u32_e32 v2, 1, v6
	s_wait_alu 0xf1ff
	s_delay_alu instid0(VALU_DEP_2) | instskip(NEXT) | instid1(VALU_DEP_2)
	v_cndmask_b32_e64 v1, v1, v6, s7
	v_cndmask_b32_e64 v9, v2, v9, s7
	s_delay_alu instid0(VALU_DEP_1)
	v_cmp_ge_i32_e64 s7, v9, v1
	s_wait_alu 0xfffe
	s_or_b32 s9, s7, s9
	s_wait_alu 0xfffe
	s_and_not1_b32 exec_lo, exec_lo, s9
	s_cbranch_execnz .LBB144_88
; %bb.89:                               ;   in Loop: Header=BB144_2 Depth=1
	s_or_b32 exec_lo, exec_lo, s9
.LBB144_90:                             ;   in Loop: Header=BB144_2 Depth=1
	s_wait_alu 0xfffe
	s_or_b32 exec_lo, exec_lo, s8
	v_sub_nc_u32_e32 v1, v58, v9
	v_lshlrev_b32_e32 v7, 3, v9
	v_sub_nc_u32_e32 v10, v66, v9
	v_cmp_le_i32_e64 s8, 0x180, v9
                                        ; implicit-def: $vgpr5_vgpr6
	s_delay_alu instid0(VALU_DEP_4)
	v_lshlrev_b32_e32 v11, 3, v1
	ds_load_b64 v[1:2], v7
	ds_load_b64 v[3:4], v11 offset:3072
	v_cmp_gt_i32_e64 s9, 0x300, v10
	s_wait_dscnt 0x0
	v_cmp_lt_i64_e64 s7, v[3:4], v[1:2]
	s_or_b32 s7, s8, s7
	s_wait_alu 0xfffe
	s_and_b32 s7, s9, s7
	s_wait_alu 0xfffe
	s_xor_b32 s8, s7, -1
	s_wait_alu 0xfffe
	s_and_saveexec_b32 s9, s8
	s_wait_alu 0xfffe
	s_xor_b32 s8, exec_lo, s9
; %bb.91:                               ;   in Loop: Header=BB144_2 Depth=1
	ds_load_b64 v[5:6], v7 offset:8
                                        ; implicit-def: $vgpr11
; %bb.92:                               ;   in Loop: Header=BB144_2 Depth=1
	s_wait_alu 0xfffe
	s_or_saveexec_b32 s8, s8
	v_dual_mov_b32 v8, v4 :: v_dual_mov_b32 v7, v3
	s_wait_alu 0xfffe
	s_xor_b32 exec_lo, exec_lo, s8
	s_cbranch_execz .LBB144_94
; %bb.93:                               ;   in Loop: Header=BB144_2 Depth=1
	ds_load_b64 v[7:8], v11 offset:3080
	s_wait_dscnt 0x1
	v_dual_mov_b32 v6, v2 :: v_dual_mov_b32 v5, v1
.LBB144_94:                             ;   in Loop: Header=BB144_2 Depth=1
	s_or_b32 exec_lo, exec_lo, s8
	v_add_nc_u32_e32 v11, 1, v9
	v_add_nc_u32_e32 v12, 1, v10
	s_wait_dscnt 0x0
	v_cmp_lt_i64_e64 s8, v[7:8], v[5:6]
                                        ; implicit-def: $vgpr83
	s_delay_alu instid0(VALU_DEP_3) | instskip(NEXT) | instid1(VALU_DEP_3)
	v_cndmask_b32_e64 v84, v11, v9, s7
	v_cndmask_b32_e64 v82, v10, v12, s7
                                        ; implicit-def: $vgpr9_vgpr10
	s_delay_alu instid0(VALU_DEP_2) | instskip(NEXT) | instid1(VALU_DEP_2)
	v_cmp_le_i32_e64 s9, 0x180, v84
	v_cmp_gt_i32_e64 s10, 0x300, v82
	s_or_b32 s8, s9, s8
	s_wait_alu 0xfffe
	s_and_b32 s8, s10, s8
	s_wait_alu 0xfffe
	s_xor_b32 s9, s8, -1
	s_wait_alu 0xfffe
	s_and_saveexec_b32 s10, s9
	s_delay_alu instid0(SALU_CYCLE_1)
	s_xor_b32 s9, exec_lo, s10
; %bb.95:                               ;   in Loop: Header=BB144_2 Depth=1
	v_lshlrev_b32_e32 v9, 3, v84
	v_add_nc_u32_e32 v83, 1, v84
                                        ; implicit-def: $vgpr84
	ds_load_b64 v[9:10], v9 offset:8
; %bb.96:                               ;   in Loop: Header=BB144_2 Depth=1
	s_wait_alu 0xfffe
	s_or_saveexec_b32 s9, s9
	v_dual_mov_b32 v12, v8 :: v_dual_mov_b32 v11, v7
	s_wait_alu 0xfffe
	s_xor_b32 exec_lo, exec_lo, s9
	s_cbranch_execz .LBB144_1
; %bb.97:                               ;   in Loop: Header=BB144_2 Depth=1
	s_wait_dscnt 0x0
	v_lshlrev_b32_e32 v9, 3, v82
	v_dual_mov_b32 v83, v84 :: v_dual_add_nc_u32 v82, 1, v82
	ds_load_b64 v[11:12], v9 offset:8
	v_dual_mov_b32 v10, v6 :: v_dual_mov_b32 v9, v5
	s_branch .LBB144_1
.LBB144_98:
	v_lshlrev_b32_e32 v0, 3, v0
	s_add_nc_u64 s[0:1], s[14:15], s[18:19]
	s_clause 0x2
	global_store_b64 v0, v[3:4], s[0:1]
	global_store_b64 v0, v[5:6], s[0:1] offset:2048
	global_store_b64 v0, v[1:2], s[0:1] offset:4096
	s_endpgm
	.section	.rodata,"a",@progbits
	.p2align	6, 0x0
	.amdhsa_kernel _Z16sort_keys_kernelIxLj256ELj3EN10test_utils4lessELj10EEvPKT_PS2_T2_
		.amdhsa_group_segment_fixed_size 6152
		.amdhsa_private_segment_fixed_size 0
		.amdhsa_kernarg_size 20
		.amdhsa_user_sgpr_count 2
		.amdhsa_user_sgpr_dispatch_ptr 0
		.amdhsa_user_sgpr_queue_ptr 0
		.amdhsa_user_sgpr_kernarg_segment_ptr 1
		.amdhsa_user_sgpr_dispatch_id 0
		.amdhsa_user_sgpr_private_segment_size 0
		.amdhsa_wavefront_size32 1
		.amdhsa_uses_dynamic_stack 0
		.amdhsa_enable_private_segment 0
		.amdhsa_system_sgpr_workgroup_id_x 1
		.amdhsa_system_sgpr_workgroup_id_y 0
		.amdhsa_system_sgpr_workgroup_id_z 0
		.amdhsa_system_sgpr_workgroup_info 0
		.amdhsa_system_vgpr_workitem_id 0
		.amdhsa_next_free_vgpr 87
		.amdhsa_next_free_sgpr 20
		.amdhsa_reserve_vcc 1
		.amdhsa_float_round_mode_32 0
		.amdhsa_float_round_mode_16_64 0
		.amdhsa_float_denorm_mode_32 3
		.amdhsa_float_denorm_mode_16_64 3
		.amdhsa_fp16_overflow 0
		.amdhsa_workgroup_processor_mode 1
		.amdhsa_memory_ordered 1
		.amdhsa_forward_progress 1
		.amdhsa_inst_pref_size 53
		.amdhsa_round_robin_scheduling 0
		.amdhsa_exception_fp_ieee_invalid_op 0
		.amdhsa_exception_fp_denorm_src 0
		.amdhsa_exception_fp_ieee_div_zero 0
		.amdhsa_exception_fp_ieee_overflow 0
		.amdhsa_exception_fp_ieee_underflow 0
		.amdhsa_exception_fp_ieee_inexact 0
		.amdhsa_exception_int_div_zero 0
	.end_amdhsa_kernel
	.section	.text._Z16sort_keys_kernelIxLj256ELj3EN10test_utils4lessELj10EEvPKT_PS2_T2_,"axG",@progbits,_Z16sort_keys_kernelIxLj256ELj3EN10test_utils4lessELj10EEvPKT_PS2_T2_,comdat
.Lfunc_end144:
	.size	_Z16sort_keys_kernelIxLj256ELj3EN10test_utils4lessELj10EEvPKT_PS2_T2_, .Lfunc_end144-_Z16sort_keys_kernelIxLj256ELj3EN10test_utils4lessELj10EEvPKT_PS2_T2_
                                        ; -- End function
	.set _Z16sort_keys_kernelIxLj256ELj3EN10test_utils4lessELj10EEvPKT_PS2_T2_.num_vgpr, 87
	.set _Z16sort_keys_kernelIxLj256ELj3EN10test_utils4lessELj10EEvPKT_PS2_T2_.num_agpr, 0
	.set _Z16sort_keys_kernelIxLj256ELj3EN10test_utils4lessELj10EEvPKT_PS2_T2_.numbered_sgpr, 20
	.set _Z16sort_keys_kernelIxLj256ELj3EN10test_utils4lessELj10EEvPKT_PS2_T2_.num_named_barrier, 0
	.set _Z16sort_keys_kernelIxLj256ELj3EN10test_utils4lessELj10EEvPKT_PS2_T2_.private_seg_size, 0
	.set _Z16sort_keys_kernelIxLj256ELj3EN10test_utils4lessELj10EEvPKT_PS2_T2_.uses_vcc, 1
	.set _Z16sort_keys_kernelIxLj256ELj3EN10test_utils4lessELj10EEvPKT_PS2_T2_.uses_flat_scratch, 0
	.set _Z16sort_keys_kernelIxLj256ELj3EN10test_utils4lessELj10EEvPKT_PS2_T2_.has_dyn_sized_stack, 0
	.set _Z16sort_keys_kernelIxLj256ELj3EN10test_utils4lessELj10EEvPKT_PS2_T2_.has_recursion, 0
	.set _Z16sort_keys_kernelIxLj256ELj3EN10test_utils4lessELj10EEvPKT_PS2_T2_.has_indirect_call, 0
	.section	.AMDGPU.csdata,"",@progbits
; Kernel info:
; codeLenInByte = 6728
; TotalNumSgprs: 22
; NumVgprs: 87
; ScratchSize: 0
; MemoryBound: 0
; FloatMode: 240
; IeeeMode: 1
; LDSByteSize: 6152 bytes/workgroup (compile time only)
; SGPRBlocks: 0
; VGPRBlocks: 10
; NumSGPRsForWavesPerEU: 22
; NumVGPRsForWavesPerEU: 87
; Occupancy: 16
; WaveLimiterHint : 1
; COMPUTE_PGM_RSRC2:SCRATCH_EN: 0
; COMPUTE_PGM_RSRC2:USER_SGPR: 2
; COMPUTE_PGM_RSRC2:TRAP_HANDLER: 0
; COMPUTE_PGM_RSRC2:TGID_X_EN: 1
; COMPUTE_PGM_RSRC2:TGID_Y_EN: 0
; COMPUTE_PGM_RSRC2:TGID_Z_EN: 0
; COMPUTE_PGM_RSRC2:TIDIG_COMP_CNT: 0
	.section	.text._Z17sort_pairs_kernelIxLj256ELj3EN10test_utils4lessELj10EEvPKT_PS2_T2_,"axG",@progbits,_Z17sort_pairs_kernelIxLj256ELj3EN10test_utils4lessELj10EEvPKT_PS2_T2_,comdat
	.protected	_Z17sort_pairs_kernelIxLj256ELj3EN10test_utils4lessELj10EEvPKT_PS2_T2_ ; -- Begin function _Z17sort_pairs_kernelIxLj256ELj3EN10test_utils4lessELj10EEvPKT_PS2_T2_
	.globl	_Z17sort_pairs_kernelIxLj256ELj3EN10test_utils4lessELj10EEvPKT_PS2_T2_
	.p2align	8
	.type	_Z17sort_pairs_kernelIxLj256ELj3EN10test_utils4lessELj10EEvPKT_PS2_T2_,@function
_Z17sort_pairs_kernelIxLj256ELj3EN10test_utils4lessELj10EEvPKT_PS2_T2_: ; @_Z17sort_pairs_kernelIxLj256ELj3EN10test_utils4lessELj10EEvPKT_PS2_T2_
; %bb.0:
	s_load_b128 s[12:15], s[0:1], 0x0
	s_mul_i32 s18, ttmp9, 0x300
	s_mov_b32 s19, 0
	v_lshlrev_b32_e32 v1, 3, v0
	s_lshl_b64 s[16:17], s[18:19], 3
	v_and_b32_e32 v7, 0xfe, v0
	v_and_b32_e32 v9, 0xfc, v0
	v_and_b32_e32 v8, 1, v0
	v_and_b32_e32 v11, 0xf8, v0
	v_and_b32_e32 v13, 0xf0, v0
	v_mul_u32_u24_e32 v7, 3, v7
	v_mul_u32_u24_e32 v9, 3, v9
	v_and_b32_e32 v15, 0xe0, v0
	v_cmp_eq_u32_e32 vcc_lo, 1, v8
	v_mul_u32_u24_e32 v11, 3, v11
	v_min_u32_e32 v30, 0x300, v7
	v_min_u32_e32 v65, 0x2fd, v7
	;; [unrolled: 1-line block ×3, first 2 shown]
	v_mul_u32_u24_e32 v13, 3, v13
	v_min_u32_e32 v31, 0x300, v9
	s_wait_kmcnt 0x0
	s_add_nc_u64 s[0:1], s[12:13], s[16:17]
	v_min_u32_e32 v66, 0x2fa, v9
	s_clause 0x2
	global_load_b64 v[5:6], v1, s[0:1]
	global_load_b64 v[3:4], v1, s[0:1] offset:2048
	global_load_b64 v[1:2], v1, s[0:1] offset:4096
	v_min_u32_e32 v9, 0x2f4, v9
	v_add_nc_u32_e32 v37, 3, v65
	v_add_nc_u32_e32 v38, 6, v7
	v_and_b32_e32 v10, 3, v0
	v_and_b32_e32 v17, 0xc0, v0
	v_cndmask_b32_e64 v8, 0, 3, vcc_lo
	v_mul_u32_u24_e32 v15, 3, v15
	v_min_u32_e32 v32, 0x300, v11
	v_min_u32_e32 v67, 0x2f4, v11
	v_min_u32_e32 v11, 0x2e8, v11
	v_min_u32_e32 v33, 0x300, v13
	v_min_u32_e32 v68, 0x2e8, v13
	v_min_u32_e32 v13, 0x2d0, v13
	v_add_nc_u32_e32 v40, 6, v66
	v_add_nc_u32_e32 v41, 12, v9
	v_sub_nc_u32_e32 v9, v38, v37
	v_and_b32_e32 v12, 7, v0
	v_and_b32_e32 v19, 0x80, v0
	v_mul_u32_u24_e32 v21, 3, v10
	v_mul_u32_u24_e32 v17, 3, v17
	v_min_u32_e32 v34, 0x300, v15
	v_min_u32_e32 v69, 0x2d0, v15
	;; [unrolled: 1-line block ×3, first 2 shown]
	v_add_nc_u32_e32 v43, 12, v67
	v_add_nc_u32_e32 v44, 24, v11
	;; [unrolled: 1-line block ×3, first 2 shown]
	v_sub_nc_u32_e32 v7, v37, v30
	v_sub_nc_u32_e32 v13, v41, v40
	;; [unrolled: 1-line block ×3, first 2 shown]
	v_cmp_ge_i32_e64 s0, v8, v9
	v_and_b32_e32 v14, 15, v0
	v_mul_u32_u24_e32 v22, 3, v12
	v_mul_u32_u24_e32 v19, 3, v19
	v_min_u32_e32 v35, 0x300, v17
	v_min_u32_e32 v70, 0x2a0, v17
	v_min_u32_e32 v17, 0x240, v17
	v_lshlrev_b32_e32 v59, 3, v21
	v_add_nc_u32_e32 v46, 24, v68
	v_add_nc_u32_e32 v50, 0x60, v15
	v_sub_nc_u32_e32 v11, v40, v31
	v_sub_nc_u32_e32 v15, v44, v43
	v_min_i32_e32 v78, v8, v7
	v_sub_nc_u32_e32 v7, v21, v13
	v_cndmask_b32_e64 v85, 0, v85, s0
	v_cmp_ge_i32_e64 s0, v21, v13
	v_and_b32_e32 v16, 31, v0
	v_mul_u32_u24_e32 v23, 3, v14
	v_min_u32_e32 v36, 0x300, v19
	v_min_u32_e32 v92, 0x240, v19
	;; [unrolled: 1-line block ×3, first 2 shown]
	v_lshlrev_b32_e32 v60, 3, v22
	v_add_nc_u32_e32 v49, 48, v69
	v_add_nc_u32_e32 v53, 0xc0, v17
	v_lshl_add_u32 v59, v66, 3, v59
	v_mad_u32_u24 v66, v10, 3, v66
	v_mad_u32_u24 v72, v10, 3, v40
	v_sub_nc_u32_e32 v10, v43, v32
	v_sub_nc_u32_e32 v17, v47, v46
	v_min_i32_e32 v79, v21, v11
	v_sub_nc_u32_e32 v11, v22, v15
	s_wait_alu 0xf1ff
	v_cndmask_b32_e64 v86, 0, v7, s0
	v_cmp_ge_i32_e64 s0, v22, v15
	v_and_b32_e32 v18, 63, v0
	v_mul_u32_u24_e32 v24, 3, v16
	v_lshlrev_b32_e32 v61, 3, v23
	v_add_nc_u32_e32 v52, 0x60, v70
	v_add_nc_u32_e32 v56, 0x180, v19
	v_lshl_add_u32 v60, v67, 3, v60
	v_mad_u32_u24 v67, v12, 3, v67
	v_mad_u32_u24 v73, v12, 3, v43
	v_sub_nc_u32_e32 v12, v46, v33
	v_sub_nc_u32_e32 v19, v50, v49
	v_min_i32_e32 v80, v22, v10
	v_sub_nc_u32_e32 v10, v23, v17
	s_wait_alu 0xf1ff
	v_cndmask_b32_e64 v87, 0, v11, s0
	v_cmp_ge_i32_e64 s0, v23, v17
	v_and_b32_e32 v20, 0x7f, v0
	v_mul_u32_u24_e32 v90, 3, v18
	v_lshlrev_b32_e32 v62, 3, v24
	v_add_nc_u32_e32 v55, 0xc0, v92
	v_lshl_add_u32 v61, v68, 3, v61
	v_mad_u32_u24 v68, v14, 3, v68
	v_mad_u32_u24 v74, v14, 3, v46
	v_sub_nc_u32_e32 v14, v49, v34
	v_sub_nc_u32_e32 v93, v53, v52
	v_min_i32_e32 v81, v23, v12
	v_sub_nc_u32_e32 v12, v24, v19
	s_wait_alu 0xf1ff
	v_cndmask_b32_e64 v88, 0, v10, s0
	v_cmp_ge_i32_e64 s0, v24, v19
	v_mul_u32_u24_e32 v91, 3, v20
	v_lshlrev_b32_e32 v63, 3, v90
	v_lshl_add_u32 v62, v69, 3, v62
	v_mad_u32_u24 v69, v16, 3, v69
	v_mad_u32_u24 v75, v16, 3, v49
	v_sub_nc_u32_e32 v16, v52, v35
	v_sub_nc_u32_e32 v94, v56, v55
	v_min_i32_e32 v82, v24, v14
	v_sub_nc_u32_e32 v14, v90, v93
	s_wait_alu 0xf1ff
	v_cndmask_b32_e64 v89, 0, v12, s0
	v_cmp_ge_i32_e64 s0, v90, v93
	v_lshl_add_u32 v63, v70, 3, v63
	v_mad_u32_u24 v70, v18, 3, v70
	v_mad_u32_u24 v76, v18, 3, v52
	v_sub_nc_u32_e32 v18, v55, v36
	v_min_i32_e32 v83, v90, v16
	v_sub_nc_u32_e32 v16, v91, v94
	s_wait_alu 0xf1ff
	v_cndmask_b32_e64 v90, 0, v14, s0
	v_cmp_ge_i32_e64 s0, v91, v94
	v_mul_u32_u24_e32 v26, 3, v0
	v_lshlrev_b32_e32 v58, 3, v8
	v_lshlrev_b32_e32 v64, 3, v91
	v_min_i32_e32 v84, v91, v18
	s_wait_alu 0xf1ff
	v_cndmask_b32_e64 v91, 0, v16, s0
	v_mul_u32_u24_e32 v25, 24, v0
	v_subrev_nc_u32_e64 v27, 0x180, v26 clamp
	v_min_i32_e32 v28, 0x180, v26
	v_lshlrev_b32_e32 v29, 3, v26
	v_lshlrev_b32_e32 v39, 3, v30
	;; [unrolled: 1-line block ×8, first 2 shown]
	v_lshl_add_u32 v58, v65, 3, v58
	v_lshl_add_u32 v64, v92, 3, v64
	v_add_nc_u32_e32 v65, v65, v8
	v_add_nc_u32_e32 v71, v37, v8
	v_mad_u32_u24 v77, v20, 3, v55
	v_cmp_lt_i32_e64 s0, v85, v78
	v_cmp_lt_i32_e64 s1, v86, v79
	;; [unrolled: 1-line block ×7, first 2 shown]
	v_mad_u32_u24 v92, v20, 3, v92
	v_cmp_lt_i32_e32 vcc_lo, v27, v28
	s_wait_loadcnt 0x2
	v_add_co_u32 v11, s7, v5, 1
	s_delay_alu instid0(VALU_DEP_1)
	v_add_co_ci_u32_e64 v12, null, 0, v6, s7
	s_wait_loadcnt 0x1
	v_add_co_u32 v9, s7, v3, 1
	s_wait_alu 0xf1ff
	v_add_co_ci_u32_e64 v10, null, 0, v4, s7
	s_wait_loadcnt 0x0
	v_add_co_u32 v7, s7, v1, 1
	s_wait_alu 0xf1ff
	v_add_co_ci_u32_e64 v8, null, 0, v2, s7
	s_branch .LBB145_2
.LBB145_1:                              ;   in Loop: Header=BB145_2 Depth=1
	s_or_b32 exec_lo, exec_lo, s9
	s_wait_dscnt 0x0
	s_delay_alu instid0(VALU_DEP_1)
	v_cmp_lt_i64_e64 s9, v[21:22], v[1:2]
	v_cmp_le_i32_e64 s10, 0x180, v23
	v_cmp_gt_i32_e64 s11, 0x300, v11
	v_cndmask_b32_e64 v9, v9, v10, s7
	s_wait_loadcnt 0x0
	s_barrier_signal -1
	s_or_b32 s9, s10, s9
	s_barrier_wait -1
	s_wait_alu 0xfffe
	s_and_b32 s9, s11, s9
	global_inv scope:SCOPE_SE
	s_wait_alu 0xfffe
	v_cndmask_b32_e64 v10, v23, v11, s9
	ds_store_2addr_b64 v25, v[3:4], v[7:8] offset1:1
	ds_store_b64 v25, v[5:6] offset:16
	v_lshlrev_b32_e32 v3, 3, v9
	v_lshlrev_b32_e32 v4, 3, v12
	s_wait_loadcnt_dscnt 0x0
	v_lshlrev_b32_e32 v5, 3, v10
	s_barrier_signal -1
	s_barrier_wait -1
	global_inv scope:SCOPE_SE
	ds_load_b64 v[11:12], v3
	ds_load_b64 v[9:10], v4
	;; [unrolled: 1-line block ×3, first 2 shown]
	v_cndmask_b32_e64 v2, v2, v22, s9
	v_cndmask_b32_e64 v6, v14, v16, s7
	;; [unrolled: 1-line block ×6, first 2 shown]
	s_add_co_i32 s19, s19, 1
	s_delay_alu instid0(SALU_CYCLE_1)
	s_cmp_eq_u32 s19, 10
	s_cbranch_scc1 .LBB145_98
.LBB145_2:                              ; =>This Loop Header: Depth=1
                                        ;     Child Loop BB145_4 Depth 2
                                        ;     Child Loop BB145_16 Depth 2
	;; [unrolled: 1-line block ×8, first 2 shown]
	v_cmp_gt_i64_e64 s7, v[3:4], v[5:6]
	v_cmp_lt_i64_e64 s9, v[3:4], v[5:6]
	s_barrier_signal -1
	s_barrier_wait -1
	global_inv scope:SCOPE_SE
	s_wait_alu 0xf1ff
	v_cndmask_b32_e64 v14, v6, v4, s7
	v_cndmask_b32_e64 v13, v5, v3, s7
	;; [unrolled: 1-line block ×6, first 2 shown]
	v_cmp_lt_i64_e64 s7, v[1:2], v[13:14]
	s_wait_alu 0xf1ff
	s_delay_alu instid0(VALU_DEP_1) | instskip(SKIP_4) | instid1(VALU_DEP_4)
	v_cndmask_b32_e64 v18, v14, v2, s7
	v_cndmask_b32_e64 v17, v13, v1, s7
	;; [unrolled: 1-line block ×5, first 2 shown]
	v_cmp_lt_i64_e64 s8, v[17:18], v[15:16]
	s_wait_alu 0xf1ff
	s_delay_alu instid0(VALU_DEP_1) | instskip(NEXT) | instid1(VALU_DEP_3)
	v_cndmask_b32_e64 v6, v2, v16, s8
	v_cndmask_b32_e64 v5, v3, v15, s8
	;; [unrolled: 1-line block ×4, first 2 shown]
	v_mov_b32_e32 v2, v85
	v_cndmask_b32_e64 v3, v1, v13, s7
	ds_store_2addr_b64 v25, v[15:16], v[5:6] offset1:1
	ds_store_b64 v25, v[3:4] offset:16
	s_wait_loadcnt_dscnt 0x0
	s_barrier_signal -1
	s_barrier_wait -1
	global_inv scope:SCOPE_SE
	s_and_saveexec_b32 s11, s0
	s_cbranch_execz .LBB145_6
; %bb.3:                                ;   in Loop: Header=BB145_2 Depth=1
	v_dual_mov_b32 v2, v85 :: v_dual_mov_b32 v1, v78
	s_mov_b32 s12, 0
.LBB145_4:                              ;   Parent Loop BB145_2 Depth=1
                                        ; =>  This Inner Loop Header: Depth=2
	s_delay_alu instid0(VALU_DEP_1) | instskip(NEXT) | instid1(VALU_DEP_1)
	v_sub_nc_u32_e32 v3, v1, v2
	v_lshrrev_b32_e32 v3, 1, v3
	s_delay_alu instid0(VALU_DEP_1) | instskip(NEXT) | instid1(VALU_DEP_1)
	v_add_nc_u32_e32 v13, v3, v2
	v_not_b32_e32 v3, v13
	v_lshl_add_u32 v4, v13, 3, v39
	s_delay_alu instid0(VALU_DEP_2)
	v_lshl_add_u32 v5, v3, 3, v58
	ds_load_b64 v[3:4], v4
	ds_load_b64 v[5:6], v5 offset:24
	s_wait_dscnt 0x0
	v_cmp_lt_i64_e64 s10, v[5:6], v[3:4]
	v_add_nc_u32_e32 v3, 1, v13
	s_wait_alu 0xf1ff
	s_delay_alu instid0(VALU_DEP_2) | instskip(NEXT) | instid1(VALU_DEP_2)
	v_cndmask_b32_e64 v1, v1, v13, s10
	v_cndmask_b32_e64 v2, v3, v2, s10
	s_delay_alu instid0(VALU_DEP_1) | instskip(SKIP_1) | instid1(SALU_CYCLE_1)
	v_cmp_ge_i32_e64 s10, v2, v1
	s_or_b32 s12, s10, s12
	s_and_not1_b32 exec_lo, exec_lo, s12
	s_cbranch_execnz .LBB145_4
; %bb.5:                                ;   in Loop: Header=BB145_2 Depth=1
	s_or_b32 exec_lo, exec_lo, s12
.LBB145_6:                              ;   in Loop: Header=BB145_2 Depth=1
	s_wait_alu 0xfffe
	s_or_b32 exec_lo, exec_lo, s11
	v_sub_nc_u32_e32 v1, v65, v2
	v_lshl_add_u32 v4, v2, 3, v39
                                        ; implicit-def: $vgpr17_vgpr18
	s_delay_alu instid0(VALU_DEP_2)
	v_lshlrev_b32_e32 v3, 3, v1
	v_add_nc_u32_e32 v1, v2, v30
	v_sub_nc_u32_e32 v2, v71, v2
	ds_load_b64 v[13:14], v4
	ds_load_b64 v[15:16], v3 offset:24
	v_cmp_le_i32_e64 s11, v37, v1
	v_cmp_gt_i32_e64 s12, v38, v2
	s_wait_dscnt 0x0
	v_cmp_lt_i64_e64 s10, v[15:16], v[13:14]
	s_or_b32 s10, s11, s10
	s_wait_alu 0xfffe
	s_and_b32 s10, s12, s10
	s_wait_alu 0xfffe
	s_xor_b32 s11, s10, -1
	s_wait_alu 0xfffe
	s_and_saveexec_b32 s12, s11
	s_delay_alu instid0(SALU_CYCLE_1)
	s_xor_b32 s11, exec_lo, s12
; %bb.7:                                ;   in Loop: Header=BB145_2 Depth=1
	ds_load_b64 v[17:18], v4 offset:8
                                        ; implicit-def: $vgpr3
; %bb.8:                                ;   in Loop: Header=BB145_2 Depth=1
	s_wait_alu 0xfffe
	s_or_saveexec_b32 s11, s11
	v_dual_mov_b32 v20, v16 :: v_dual_mov_b32 v19, v15
	s_wait_alu 0xfffe
	s_xor_b32 exec_lo, exec_lo, s11
	s_cbranch_execz .LBB145_10
; %bb.9:                                ;   in Loop: Header=BB145_2 Depth=1
	ds_load_b64 v[19:20], v3 offset:32
	s_wait_dscnt 0x1
	v_dual_mov_b32 v18, v14 :: v_dual_mov_b32 v17, v13
.LBB145_10:                             ;   in Loop: Header=BB145_2 Depth=1
	s_or_b32 exec_lo, exec_lo, s11
	v_add_nc_u32_e32 v3, 1, v1
	v_add_nc_u32_e32 v4, 1, v2
	s_wait_dscnt 0x0
	v_cmp_lt_i64_e64 s11, v[19:20], v[17:18]
                                        ; implicit-def: $vgpr21_vgpr22
	s_delay_alu instid0(VALU_DEP_3) | instskip(NEXT) | instid1(VALU_DEP_3)
	v_cndmask_b32_e64 v3, v3, v1, s10
	v_cndmask_b32_e64 v4, v2, v4, s10
	s_delay_alu instid0(VALU_DEP_2) | instskip(NEXT) | instid1(VALU_DEP_2)
	v_cmp_ge_i32_e64 s12, v3, v37
	v_cmp_lt_i32_e64 s13, v4, v38
	s_or_b32 s11, s12, s11
	s_wait_alu 0xfffe
	s_and_b32 s11, s13, s11
	s_wait_alu 0xfffe
	s_xor_b32 s12, s11, -1
	s_delay_alu instid0(SALU_CYCLE_1) | instskip(NEXT) | instid1(SALU_CYCLE_1)
	s_and_saveexec_b32 s13, s12
	s_xor_b32 s12, exec_lo, s13
; %bb.11:                               ;   in Loop: Header=BB145_2 Depth=1
	v_lshlrev_b32_e32 v5, 3, v3
	ds_load_b64 v[21:22], v5 offset:8
; %bb.12:                               ;   in Loop: Header=BB145_2 Depth=1
	s_or_saveexec_b32 s12, s12
	v_dual_mov_b32 v24, v20 :: v_dual_mov_b32 v23, v19
	s_xor_b32 exec_lo, exec_lo, s12
	s_cbranch_execz .LBB145_14
; %bb.13:                               ;   in Loop: Header=BB145_2 Depth=1
	s_wait_dscnt 0x0
	v_dual_mov_b32 v22, v18 :: v_dual_lshlrev_b32 v5, 3, v4
	v_mov_b32_e32 v21, v17
	ds_load_b64 v[23:24], v5 offset:8
.LBB145_14:                             ;   in Loop: Header=BB145_2 Depth=1
	s_or_b32 exec_lo, exec_lo, s12
	v_add_nc_u32_e32 v6, 1, v3
	v_add_nc_u32_e32 v5, 1, v4
	v_cndmask_b32_e64 v93, v3, v4, s11
	v_cndmask_b32_e64 v94, v10, v12, s9
	;; [unrolled: 1-line block ×11, first 2 shown]
	s_wait_dscnt 0x0
	v_cmp_lt_i64_e64 s7, v[23:24], v[21:22]
	v_cndmask_b32_e64 v6, v12, v10, s9
	v_cmp_ge_i32_e64 s9, v96, v37
	v_cmp_lt_i32_e64 s12, v95, v38
	v_cndmask_b32_e64 v3, v7, v5, s8
	v_cndmask_b32_e64 v5, v5, v7, s8
	;; [unrolled: 1-line block ×3, first 2 shown]
	s_or_b32 s7, s9, s7
	v_cndmask_b32_e64 v6, v6, v8, s8
	s_wait_alu 0xfffe
	s_and_b32 s7, s12, s7
	s_wait_loadcnt 0x0
	s_wait_alu 0xfffe
	v_cndmask_b32_e64 v7, v96, v95, s7
	s_barrier_signal -1
	s_barrier_wait -1
	global_inv scope:SCOPE_SE
	ds_store_2addr_b64 v25, v[5:6], v[3:4] offset1:1
	ds_store_b64 v25, v[1:2] offset:16
	v_lshlrev_b32_e32 v1, 3, v97
	v_lshlrev_b32_e32 v3, 3, v93
	;; [unrolled: 1-line block ×3, first 2 shown]
	s_wait_loadcnt_dscnt 0x0
	s_barrier_signal -1
	s_barrier_wait -1
	global_inv scope:SCOPE_SE
	ds_load_b64 v[1:2], v1
	ds_load_b64 v[5:6], v3
	;; [unrolled: 1-line block ×3, first 2 shown]
	v_cndmask_b32_e64 v10, v18, v20, s11
	v_cndmask_b32_e64 v9, v17, v19, s11
	;; [unrolled: 1-line block ×6, first 2 shown]
	s_wait_loadcnt_dscnt 0x0
	s_barrier_signal -1
	s_barrier_wait -1
	global_inv scope:SCOPE_SE
	ds_store_2addr_b64 v25, v[11:12], v[9:10] offset1:1
	ds_store_b64 v25, v[7:8] offset:16
	v_mov_b32_e32 v11, v86
	s_wait_loadcnt_dscnt 0x0
	s_barrier_signal -1
	s_barrier_wait -1
	global_inv scope:SCOPE_SE
	s_and_saveexec_b32 s8, s1
	s_cbranch_execz .LBB145_18
; %bb.15:                               ;   in Loop: Header=BB145_2 Depth=1
	v_mov_b32_e32 v11, v86
	v_mov_b32_e32 v7, v79
	s_mov_b32 s9, 0
.LBB145_16:                             ;   Parent Loop BB145_2 Depth=1
                                        ; =>  This Inner Loop Header: Depth=2
	s_delay_alu instid0(VALU_DEP_1) | instskip(NEXT) | instid1(VALU_DEP_1)
	v_sub_nc_u32_e32 v8, v7, v11
	v_lshrrev_b32_e32 v8, 1, v8
	s_delay_alu instid0(VALU_DEP_1) | instskip(NEXT) | instid1(VALU_DEP_1)
	v_add_nc_u32_e32 v10, v8, v11
	v_not_b32_e32 v8, v10
	v_lshl_add_u32 v9, v10, 3, v42
	s_delay_alu instid0(VALU_DEP_2)
	v_lshl_add_u32 v12, v8, 3, v59
	ds_load_b64 v[8:9], v9
	ds_load_b64 v[12:13], v12 offset:48
	s_wait_dscnt 0x0
	v_cmp_lt_i64_e64 s7, v[12:13], v[8:9]
	v_add_nc_u32_e32 v8, 1, v10
	s_wait_alu 0xf1ff
	s_delay_alu instid0(VALU_DEP_2) | instskip(NEXT) | instid1(VALU_DEP_2)
	v_cndmask_b32_e64 v7, v7, v10, s7
	v_cndmask_b32_e64 v11, v8, v11, s7
	s_delay_alu instid0(VALU_DEP_1)
	v_cmp_ge_i32_e64 s7, v11, v7
	s_wait_alu 0xfffe
	s_or_b32 s9, s7, s9
	s_wait_alu 0xfffe
	s_and_not1_b32 exec_lo, exec_lo, s9
	s_cbranch_execnz .LBB145_16
; %bb.17:                               ;   in Loop: Header=BB145_2 Depth=1
	s_or_b32 exec_lo, exec_lo, s9
.LBB145_18:                             ;   in Loop: Header=BB145_2 Depth=1
	s_wait_alu 0xfffe
	s_or_b32 exec_lo, exec_lo, s8
	v_sub_nc_u32_e32 v7, v66, v11
	v_lshl_add_u32 v13, v11, 3, v42
	v_add_nc_u32_e32 v19, v11, v31
	v_sub_nc_u32_e32 v20, v72, v11
                                        ; implicit-def: $vgpr11_vgpr12
	s_delay_alu instid0(VALU_DEP_4)
	v_lshlrev_b32_e32 v15, 3, v7
	ds_load_b64 v[7:8], v13
	ds_load_b64 v[9:10], v15 offset:48
	v_cmp_le_i32_e64 s8, v40, v19
	v_cmp_gt_i32_e64 s9, v41, v20
	s_wait_dscnt 0x0
	v_cmp_lt_i64_e64 s7, v[9:10], v[7:8]
	s_or_b32 s7, s8, s7
	s_wait_alu 0xfffe
	s_and_b32 s7, s9, s7
	s_wait_alu 0xfffe
	s_xor_b32 s8, s7, -1
	s_wait_alu 0xfffe
	s_and_saveexec_b32 s9, s8
	s_wait_alu 0xfffe
	s_xor_b32 s8, exec_lo, s9
; %bb.19:                               ;   in Loop: Header=BB145_2 Depth=1
	ds_load_b64 v[11:12], v13 offset:8
                                        ; implicit-def: $vgpr15
; %bb.20:                               ;   in Loop: Header=BB145_2 Depth=1
	s_wait_alu 0xfffe
	s_or_saveexec_b32 s8, s8
	v_dual_mov_b32 v14, v10 :: v_dual_mov_b32 v13, v9
	s_wait_alu 0xfffe
	s_xor_b32 exec_lo, exec_lo, s8
	s_cbranch_execz .LBB145_22
; %bb.21:                               ;   in Loop: Header=BB145_2 Depth=1
	ds_load_b64 v[13:14], v15 offset:56
	s_wait_dscnt 0x1
	v_dual_mov_b32 v12, v8 :: v_dual_mov_b32 v11, v7
.LBB145_22:                             ;   in Loop: Header=BB145_2 Depth=1
	s_or_b32 exec_lo, exec_lo, s8
	v_add_nc_u32_e32 v15, 1, v19
	v_add_nc_u32_e32 v16, 1, v20
	s_wait_dscnt 0x0
	v_cmp_lt_i64_e64 s8, v[13:14], v[11:12]
	s_delay_alu instid0(VALU_DEP_3) | instskip(NEXT) | instid1(VALU_DEP_3)
	v_cndmask_b32_e64 v22, v15, v19, s7
	v_cndmask_b32_e64 v21, v20, v16, s7
                                        ; implicit-def: $vgpr15_vgpr16
	s_delay_alu instid0(VALU_DEP_2) | instskip(NEXT) | instid1(VALU_DEP_2)
	v_cmp_ge_i32_e64 s9, v22, v40
	v_cmp_lt_i32_e64 s10, v21, v41
	s_or_b32 s8, s9, s8
	s_wait_alu 0xfffe
	s_and_b32 s8, s10, s8
	s_wait_alu 0xfffe
	s_xor_b32 s9, s8, -1
	s_wait_alu 0xfffe
	s_and_saveexec_b32 s10, s9
	s_wait_alu 0xfffe
	s_xor_b32 s9, exec_lo, s10
; %bb.23:                               ;   in Loop: Header=BB145_2 Depth=1
	v_lshlrev_b32_e32 v15, 3, v22
	ds_load_b64 v[15:16], v15 offset:8
; %bb.24:                               ;   in Loop: Header=BB145_2 Depth=1
	s_wait_alu 0xfffe
	s_or_saveexec_b32 s9, s9
	v_dual_mov_b32 v18, v14 :: v_dual_mov_b32 v17, v13
	s_wait_alu 0xfffe
	s_xor_b32 exec_lo, exec_lo, s9
	s_cbranch_execz .LBB145_26
; %bb.25:                               ;   in Loop: Header=BB145_2 Depth=1
	s_wait_dscnt 0x0
	v_lshlrev_b32_e32 v15, 3, v21
	ds_load_b64 v[17:18], v15 offset:8
	v_dual_mov_b32 v16, v12 :: v_dual_mov_b32 v15, v11
.LBB145_26:                             ;   in Loop: Header=BB145_2 Depth=1
	s_or_b32 exec_lo, exec_lo, s9
	v_add_nc_u32_e32 v23, 1, v22
	v_add_nc_u32_e32 v24, 1, v21
	s_wait_dscnt 0x0
	v_cmp_lt_i64_e64 s9, v[17:18], v[15:16]
	v_cndmask_b32_e64 v19, v19, v20, s7
	s_wait_loadcnt 0x0
	v_cndmask_b32_e64 v23, v23, v22, s8
	v_cndmask_b32_e64 v22, v22, v21, s8
	;; [unrolled: 1-line block ×3, first 2 shown]
	s_barrier_signal -1
	s_barrier_wait -1
	v_cmp_ge_i32_e64 s10, v23, v40
	global_inv scope:SCOPE_SE
	v_cmp_lt_i32_e64 s11, v21, v41
	ds_store_2addr_b64 v25, v[1:2], v[5:6] offset1:1
	ds_store_b64 v25, v[3:4] offset:16
	v_lshlrev_b32_e32 v1, 3, v19
	s_or_b32 s9, s10, s9
	v_lshlrev_b32_e32 v3, 3, v22
	s_wait_alu 0xfffe
	s_and_b32 s9, s11, s9
	s_wait_loadcnt_dscnt 0x0
	s_wait_alu 0xfffe
	v_cndmask_b32_e64 v16, v16, v18, s9
	v_cndmask_b32_e64 v18, v23, v21, s9
	s_barrier_signal -1
	s_barrier_wait -1
	global_inv scope:SCOPE_SE
	v_cndmask_b32_e64 v12, v12, v14, s8
	v_lshlrev_b32_e32 v4, 3, v18
	v_cndmask_b32_e64 v11, v11, v13, s8
	ds_load_b64 v[1:2], v1
	ds_load_b64 v[5:6], v3
	;; [unrolled: 1-line block ×3, first 2 shown]
	v_cndmask_b32_e64 v8, v8, v10, s7
	v_cndmask_b32_e64 v7, v7, v9, s7
	v_cndmask_b32_e64 v15, v15, v17, s9
	s_wait_loadcnt_dscnt 0x0
	s_barrier_signal -1
	s_barrier_wait -1
	global_inv scope:SCOPE_SE
	ds_store_2addr_b64 v25, v[7:8], v[11:12] offset1:1
	ds_store_b64 v25, v[15:16] offset:16
	v_mov_b32_e32 v11, v87
	s_wait_loadcnt_dscnt 0x0
	s_barrier_signal -1
	s_barrier_wait -1
	global_inv scope:SCOPE_SE
	s_and_saveexec_b32 s8, s2
	s_cbranch_execz .LBB145_30
; %bb.27:                               ;   in Loop: Header=BB145_2 Depth=1
	v_mov_b32_e32 v11, v87
	v_mov_b32_e32 v7, v80
	s_mov_b32 s9, 0
.LBB145_28:                             ;   Parent Loop BB145_2 Depth=1
                                        ; =>  This Inner Loop Header: Depth=2
	s_delay_alu instid0(VALU_DEP_1) | instskip(NEXT) | instid1(VALU_DEP_1)
	v_sub_nc_u32_e32 v8, v7, v11
	v_lshrrev_b32_e32 v8, 1, v8
	s_delay_alu instid0(VALU_DEP_1) | instskip(NEXT) | instid1(VALU_DEP_1)
	v_add_nc_u32_e32 v10, v8, v11
	v_not_b32_e32 v8, v10
	v_lshl_add_u32 v9, v10, 3, v45
	s_delay_alu instid0(VALU_DEP_2)
	v_lshl_add_u32 v12, v8, 3, v60
	ds_load_b64 v[8:9], v9
	ds_load_b64 v[12:13], v12 offset:96
	s_wait_dscnt 0x0
	v_cmp_lt_i64_e64 s7, v[12:13], v[8:9]
	v_add_nc_u32_e32 v8, 1, v10
	s_wait_alu 0xf1ff
	s_delay_alu instid0(VALU_DEP_2) | instskip(NEXT) | instid1(VALU_DEP_2)
	v_cndmask_b32_e64 v7, v7, v10, s7
	v_cndmask_b32_e64 v11, v8, v11, s7
	s_delay_alu instid0(VALU_DEP_1)
	v_cmp_ge_i32_e64 s7, v11, v7
	s_wait_alu 0xfffe
	s_or_b32 s9, s7, s9
	s_wait_alu 0xfffe
	s_and_not1_b32 exec_lo, exec_lo, s9
	s_cbranch_execnz .LBB145_28
; %bb.29:                               ;   in Loop: Header=BB145_2 Depth=1
	s_or_b32 exec_lo, exec_lo, s9
.LBB145_30:                             ;   in Loop: Header=BB145_2 Depth=1
	s_wait_alu 0xfffe
	s_or_b32 exec_lo, exec_lo, s8
	v_sub_nc_u32_e32 v7, v67, v11
	v_lshl_add_u32 v13, v11, 3, v45
	v_add_nc_u32_e32 v19, v11, v32
	v_sub_nc_u32_e32 v20, v73, v11
                                        ; implicit-def: $vgpr11_vgpr12
	s_delay_alu instid0(VALU_DEP_4)
	v_lshlrev_b32_e32 v15, 3, v7
	ds_load_b64 v[7:8], v13
	ds_load_b64 v[9:10], v15 offset:96
	v_cmp_le_i32_e64 s8, v43, v19
	v_cmp_gt_i32_e64 s9, v44, v20
	s_wait_dscnt 0x0
	v_cmp_lt_i64_e64 s7, v[9:10], v[7:8]
	s_or_b32 s7, s8, s7
	s_wait_alu 0xfffe
	s_and_b32 s7, s9, s7
	s_wait_alu 0xfffe
	s_xor_b32 s8, s7, -1
	s_wait_alu 0xfffe
	s_and_saveexec_b32 s9, s8
	s_wait_alu 0xfffe
	s_xor_b32 s8, exec_lo, s9
; %bb.31:                               ;   in Loop: Header=BB145_2 Depth=1
	ds_load_b64 v[11:12], v13 offset:8
                                        ; implicit-def: $vgpr15
; %bb.32:                               ;   in Loop: Header=BB145_2 Depth=1
	s_wait_alu 0xfffe
	s_or_saveexec_b32 s8, s8
	v_dual_mov_b32 v14, v10 :: v_dual_mov_b32 v13, v9
	s_wait_alu 0xfffe
	s_xor_b32 exec_lo, exec_lo, s8
	s_cbranch_execz .LBB145_34
; %bb.33:                               ;   in Loop: Header=BB145_2 Depth=1
	ds_load_b64 v[13:14], v15 offset:104
	s_wait_dscnt 0x1
	v_dual_mov_b32 v12, v8 :: v_dual_mov_b32 v11, v7
.LBB145_34:                             ;   in Loop: Header=BB145_2 Depth=1
	s_or_b32 exec_lo, exec_lo, s8
	v_add_nc_u32_e32 v15, 1, v19
	v_add_nc_u32_e32 v16, 1, v20
	s_wait_dscnt 0x0
	v_cmp_lt_i64_e64 s8, v[13:14], v[11:12]
	s_delay_alu instid0(VALU_DEP_3) | instskip(NEXT) | instid1(VALU_DEP_3)
	v_cndmask_b32_e64 v22, v15, v19, s7
	v_cndmask_b32_e64 v21, v20, v16, s7
                                        ; implicit-def: $vgpr15_vgpr16
	s_delay_alu instid0(VALU_DEP_2) | instskip(NEXT) | instid1(VALU_DEP_2)
	v_cmp_ge_i32_e64 s9, v22, v43
	v_cmp_lt_i32_e64 s10, v21, v44
	s_or_b32 s8, s9, s8
	s_wait_alu 0xfffe
	s_and_b32 s8, s10, s8
	s_wait_alu 0xfffe
	s_xor_b32 s9, s8, -1
	s_wait_alu 0xfffe
	s_and_saveexec_b32 s10, s9
	s_wait_alu 0xfffe
	s_xor_b32 s9, exec_lo, s10
; %bb.35:                               ;   in Loop: Header=BB145_2 Depth=1
	v_lshlrev_b32_e32 v15, 3, v22
	ds_load_b64 v[15:16], v15 offset:8
; %bb.36:                               ;   in Loop: Header=BB145_2 Depth=1
	s_wait_alu 0xfffe
	s_or_saveexec_b32 s9, s9
	v_dual_mov_b32 v18, v14 :: v_dual_mov_b32 v17, v13
	s_wait_alu 0xfffe
	s_xor_b32 exec_lo, exec_lo, s9
	s_cbranch_execz .LBB145_38
; %bb.37:                               ;   in Loop: Header=BB145_2 Depth=1
	s_wait_dscnt 0x0
	v_lshlrev_b32_e32 v15, 3, v21
	ds_load_b64 v[17:18], v15 offset:8
	v_dual_mov_b32 v16, v12 :: v_dual_mov_b32 v15, v11
.LBB145_38:                             ;   in Loop: Header=BB145_2 Depth=1
	s_or_b32 exec_lo, exec_lo, s9
	v_add_nc_u32_e32 v23, 1, v22
	v_add_nc_u32_e32 v24, 1, v21
	s_wait_dscnt 0x0
	v_cmp_lt_i64_e64 s9, v[17:18], v[15:16]
	v_cndmask_b32_e64 v19, v19, v20, s7
	s_wait_loadcnt 0x0
	v_cndmask_b32_e64 v23, v23, v22, s8
	v_cndmask_b32_e64 v22, v22, v21, s8
	;; [unrolled: 1-line block ×3, first 2 shown]
	s_barrier_signal -1
	s_barrier_wait -1
	v_cmp_ge_i32_e64 s10, v23, v43
	global_inv scope:SCOPE_SE
	v_cmp_lt_i32_e64 s11, v21, v44
	ds_store_2addr_b64 v25, v[1:2], v[5:6] offset1:1
	ds_store_b64 v25, v[3:4] offset:16
	v_lshlrev_b32_e32 v1, 3, v19
	s_or_b32 s9, s10, s9
	v_lshlrev_b32_e32 v3, 3, v22
	s_wait_alu 0xfffe
	s_and_b32 s9, s11, s9
	s_wait_loadcnt_dscnt 0x0
	s_wait_alu 0xfffe
	v_cndmask_b32_e64 v16, v16, v18, s9
	v_cndmask_b32_e64 v18, v23, v21, s9
	s_barrier_signal -1
	s_barrier_wait -1
	global_inv scope:SCOPE_SE
	v_cndmask_b32_e64 v12, v12, v14, s8
	v_lshlrev_b32_e32 v4, 3, v18
	v_cndmask_b32_e64 v11, v11, v13, s8
	ds_load_b64 v[1:2], v1
	ds_load_b64 v[5:6], v3
	;; [unrolled: 1-line block ×3, first 2 shown]
	v_cndmask_b32_e64 v8, v8, v10, s7
	v_cndmask_b32_e64 v7, v7, v9, s7
	;; [unrolled: 1-line block ×3, first 2 shown]
	s_wait_loadcnt_dscnt 0x0
	s_barrier_signal -1
	s_barrier_wait -1
	global_inv scope:SCOPE_SE
	ds_store_2addr_b64 v25, v[7:8], v[11:12] offset1:1
	ds_store_b64 v25, v[15:16] offset:16
	v_mov_b32_e32 v11, v88
	s_wait_loadcnt_dscnt 0x0
	s_barrier_signal -1
	s_barrier_wait -1
	global_inv scope:SCOPE_SE
	s_and_saveexec_b32 s8, s3
	s_cbranch_execz .LBB145_42
; %bb.39:                               ;   in Loop: Header=BB145_2 Depth=1
	v_mov_b32_e32 v11, v88
	v_mov_b32_e32 v7, v81
	s_mov_b32 s9, 0
.LBB145_40:                             ;   Parent Loop BB145_2 Depth=1
                                        ; =>  This Inner Loop Header: Depth=2
	s_delay_alu instid0(VALU_DEP_1) | instskip(NEXT) | instid1(VALU_DEP_1)
	v_sub_nc_u32_e32 v8, v7, v11
	v_lshrrev_b32_e32 v8, 1, v8
	s_delay_alu instid0(VALU_DEP_1) | instskip(NEXT) | instid1(VALU_DEP_1)
	v_add_nc_u32_e32 v10, v8, v11
	v_not_b32_e32 v8, v10
	v_lshl_add_u32 v9, v10, 3, v48
	s_delay_alu instid0(VALU_DEP_2)
	v_lshl_add_u32 v12, v8, 3, v61
	ds_load_b64 v[8:9], v9
	ds_load_b64 v[12:13], v12 offset:192
	s_wait_dscnt 0x0
	v_cmp_lt_i64_e64 s7, v[12:13], v[8:9]
	v_add_nc_u32_e32 v8, 1, v10
	s_wait_alu 0xf1ff
	s_delay_alu instid0(VALU_DEP_2) | instskip(NEXT) | instid1(VALU_DEP_2)
	v_cndmask_b32_e64 v7, v7, v10, s7
	v_cndmask_b32_e64 v11, v8, v11, s7
	s_delay_alu instid0(VALU_DEP_1)
	v_cmp_ge_i32_e64 s7, v11, v7
	s_wait_alu 0xfffe
	s_or_b32 s9, s7, s9
	s_wait_alu 0xfffe
	s_and_not1_b32 exec_lo, exec_lo, s9
	s_cbranch_execnz .LBB145_40
; %bb.41:                               ;   in Loop: Header=BB145_2 Depth=1
	s_or_b32 exec_lo, exec_lo, s9
.LBB145_42:                             ;   in Loop: Header=BB145_2 Depth=1
	s_wait_alu 0xfffe
	s_or_b32 exec_lo, exec_lo, s8
	v_sub_nc_u32_e32 v7, v68, v11
	v_lshl_add_u32 v13, v11, 3, v48
	v_add_nc_u32_e32 v19, v11, v33
	v_sub_nc_u32_e32 v20, v74, v11
                                        ; implicit-def: $vgpr11_vgpr12
	s_delay_alu instid0(VALU_DEP_4)
	v_lshlrev_b32_e32 v15, 3, v7
	ds_load_b64 v[7:8], v13
	ds_load_b64 v[9:10], v15 offset:192
	v_cmp_le_i32_e64 s8, v46, v19
	v_cmp_gt_i32_e64 s9, v47, v20
	s_wait_dscnt 0x0
	v_cmp_lt_i64_e64 s7, v[9:10], v[7:8]
	s_or_b32 s7, s8, s7
	s_wait_alu 0xfffe
	s_and_b32 s7, s9, s7
	s_wait_alu 0xfffe
	s_xor_b32 s8, s7, -1
	s_wait_alu 0xfffe
	s_and_saveexec_b32 s9, s8
	s_wait_alu 0xfffe
	s_xor_b32 s8, exec_lo, s9
; %bb.43:                               ;   in Loop: Header=BB145_2 Depth=1
	ds_load_b64 v[11:12], v13 offset:8
                                        ; implicit-def: $vgpr15
; %bb.44:                               ;   in Loop: Header=BB145_2 Depth=1
	s_wait_alu 0xfffe
	s_or_saveexec_b32 s8, s8
	v_dual_mov_b32 v14, v10 :: v_dual_mov_b32 v13, v9
	s_wait_alu 0xfffe
	s_xor_b32 exec_lo, exec_lo, s8
	s_cbranch_execz .LBB145_46
; %bb.45:                               ;   in Loop: Header=BB145_2 Depth=1
	ds_load_b64 v[13:14], v15 offset:200
	s_wait_dscnt 0x1
	v_dual_mov_b32 v12, v8 :: v_dual_mov_b32 v11, v7
.LBB145_46:                             ;   in Loop: Header=BB145_2 Depth=1
	s_or_b32 exec_lo, exec_lo, s8
	v_add_nc_u32_e32 v15, 1, v19
	v_add_nc_u32_e32 v16, 1, v20
	s_wait_dscnt 0x0
	v_cmp_lt_i64_e64 s8, v[13:14], v[11:12]
	s_delay_alu instid0(VALU_DEP_3) | instskip(NEXT) | instid1(VALU_DEP_3)
	v_cndmask_b32_e64 v22, v15, v19, s7
	v_cndmask_b32_e64 v21, v20, v16, s7
                                        ; implicit-def: $vgpr15_vgpr16
	s_delay_alu instid0(VALU_DEP_2) | instskip(NEXT) | instid1(VALU_DEP_2)
	v_cmp_ge_i32_e64 s9, v22, v46
	v_cmp_lt_i32_e64 s10, v21, v47
	s_or_b32 s8, s9, s8
	s_wait_alu 0xfffe
	s_and_b32 s8, s10, s8
	s_wait_alu 0xfffe
	s_xor_b32 s9, s8, -1
	s_wait_alu 0xfffe
	s_and_saveexec_b32 s10, s9
	s_wait_alu 0xfffe
	s_xor_b32 s9, exec_lo, s10
; %bb.47:                               ;   in Loop: Header=BB145_2 Depth=1
	v_lshlrev_b32_e32 v15, 3, v22
	ds_load_b64 v[15:16], v15 offset:8
; %bb.48:                               ;   in Loop: Header=BB145_2 Depth=1
	s_wait_alu 0xfffe
	s_or_saveexec_b32 s9, s9
	v_dual_mov_b32 v18, v14 :: v_dual_mov_b32 v17, v13
	s_wait_alu 0xfffe
	s_xor_b32 exec_lo, exec_lo, s9
	s_cbranch_execz .LBB145_50
; %bb.49:                               ;   in Loop: Header=BB145_2 Depth=1
	s_wait_dscnt 0x0
	v_lshlrev_b32_e32 v15, 3, v21
	ds_load_b64 v[17:18], v15 offset:8
	v_dual_mov_b32 v16, v12 :: v_dual_mov_b32 v15, v11
.LBB145_50:                             ;   in Loop: Header=BB145_2 Depth=1
	s_or_b32 exec_lo, exec_lo, s9
	v_add_nc_u32_e32 v23, 1, v22
	v_add_nc_u32_e32 v24, 1, v21
	s_wait_dscnt 0x0
	v_cmp_lt_i64_e64 s9, v[17:18], v[15:16]
	v_cndmask_b32_e64 v19, v19, v20, s7
	s_wait_loadcnt 0x0
	v_cndmask_b32_e64 v23, v23, v22, s8
	v_cndmask_b32_e64 v22, v22, v21, s8
	;; [unrolled: 1-line block ×3, first 2 shown]
	s_barrier_signal -1
	s_barrier_wait -1
	v_cmp_ge_i32_e64 s10, v23, v46
	global_inv scope:SCOPE_SE
	v_cmp_lt_i32_e64 s11, v21, v47
	ds_store_2addr_b64 v25, v[1:2], v[5:6] offset1:1
	ds_store_b64 v25, v[3:4] offset:16
	v_lshlrev_b32_e32 v1, 3, v19
	s_or_b32 s9, s10, s9
	v_lshlrev_b32_e32 v3, 3, v22
	s_wait_alu 0xfffe
	s_and_b32 s9, s11, s9
	s_wait_loadcnt_dscnt 0x0
	s_wait_alu 0xfffe
	v_cndmask_b32_e64 v16, v16, v18, s9
	v_cndmask_b32_e64 v18, v23, v21, s9
	s_barrier_signal -1
	s_barrier_wait -1
	global_inv scope:SCOPE_SE
	v_cndmask_b32_e64 v12, v12, v14, s8
	v_lshlrev_b32_e32 v4, 3, v18
	v_cndmask_b32_e64 v11, v11, v13, s8
	ds_load_b64 v[1:2], v1
	ds_load_b64 v[5:6], v3
	ds_load_b64 v[3:4], v4
	v_cndmask_b32_e64 v8, v8, v10, s7
	v_cndmask_b32_e64 v7, v7, v9, s7
	v_cndmask_b32_e64 v15, v15, v17, s9
	s_wait_loadcnt_dscnt 0x0
	s_barrier_signal -1
	s_barrier_wait -1
	global_inv scope:SCOPE_SE
	ds_store_2addr_b64 v25, v[7:8], v[11:12] offset1:1
	ds_store_b64 v25, v[15:16] offset:16
	v_mov_b32_e32 v11, v89
	s_wait_loadcnt_dscnt 0x0
	s_barrier_signal -1
	s_barrier_wait -1
	global_inv scope:SCOPE_SE
	s_and_saveexec_b32 s8, s4
	s_cbranch_execz .LBB145_54
; %bb.51:                               ;   in Loop: Header=BB145_2 Depth=1
	v_mov_b32_e32 v11, v89
	v_mov_b32_e32 v7, v82
	s_mov_b32 s9, 0
.LBB145_52:                             ;   Parent Loop BB145_2 Depth=1
                                        ; =>  This Inner Loop Header: Depth=2
	s_delay_alu instid0(VALU_DEP_1) | instskip(NEXT) | instid1(VALU_DEP_1)
	v_sub_nc_u32_e32 v8, v7, v11
	v_lshrrev_b32_e32 v8, 1, v8
	s_delay_alu instid0(VALU_DEP_1) | instskip(NEXT) | instid1(VALU_DEP_1)
	v_add_nc_u32_e32 v10, v8, v11
	v_not_b32_e32 v8, v10
	v_lshl_add_u32 v9, v10, 3, v51
	s_delay_alu instid0(VALU_DEP_2)
	v_lshl_add_u32 v12, v8, 3, v62
	ds_load_b64 v[8:9], v9
	ds_load_b64 v[12:13], v12 offset:384
	s_wait_dscnt 0x0
	v_cmp_lt_i64_e64 s7, v[12:13], v[8:9]
	v_add_nc_u32_e32 v8, 1, v10
	s_wait_alu 0xf1ff
	s_delay_alu instid0(VALU_DEP_2) | instskip(NEXT) | instid1(VALU_DEP_2)
	v_cndmask_b32_e64 v7, v7, v10, s7
	v_cndmask_b32_e64 v11, v8, v11, s7
	s_delay_alu instid0(VALU_DEP_1)
	v_cmp_ge_i32_e64 s7, v11, v7
	s_wait_alu 0xfffe
	s_or_b32 s9, s7, s9
	s_wait_alu 0xfffe
	s_and_not1_b32 exec_lo, exec_lo, s9
	s_cbranch_execnz .LBB145_52
; %bb.53:                               ;   in Loop: Header=BB145_2 Depth=1
	s_or_b32 exec_lo, exec_lo, s9
.LBB145_54:                             ;   in Loop: Header=BB145_2 Depth=1
	s_wait_alu 0xfffe
	s_or_b32 exec_lo, exec_lo, s8
	v_sub_nc_u32_e32 v7, v69, v11
	v_lshl_add_u32 v13, v11, 3, v51
	v_add_nc_u32_e32 v19, v11, v34
	v_sub_nc_u32_e32 v20, v75, v11
                                        ; implicit-def: $vgpr11_vgpr12
	s_delay_alu instid0(VALU_DEP_4)
	v_lshlrev_b32_e32 v15, 3, v7
	ds_load_b64 v[7:8], v13
	ds_load_b64 v[9:10], v15 offset:384
	v_cmp_le_i32_e64 s8, v49, v19
	v_cmp_gt_i32_e64 s9, v50, v20
	s_wait_dscnt 0x0
	v_cmp_lt_i64_e64 s7, v[9:10], v[7:8]
	s_or_b32 s7, s8, s7
	s_wait_alu 0xfffe
	s_and_b32 s7, s9, s7
	s_wait_alu 0xfffe
	s_xor_b32 s8, s7, -1
	s_wait_alu 0xfffe
	s_and_saveexec_b32 s9, s8
	s_wait_alu 0xfffe
	s_xor_b32 s8, exec_lo, s9
; %bb.55:                               ;   in Loop: Header=BB145_2 Depth=1
	ds_load_b64 v[11:12], v13 offset:8
                                        ; implicit-def: $vgpr15
; %bb.56:                               ;   in Loop: Header=BB145_2 Depth=1
	s_wait_alu 0xfffe
	s_or_saveexec_b32 s8, s8
	v_dual_mov_b32 v14, v10 :: v_dual_mov_b32 v13, v9
	s_wait_alu 0xfffe
	s_xor_b32 exec_lo, exec_lo, s8
	s_cbranch_execz .LBB145_58
; %bb.57:                               ;   in Loop: Header=BB145_2 Depth=1
	ds_load_b64 v[13:14], v15 offset:392
	s_wait_dscnt 0x1
	v_dual_mov_b32 v12, v8 :: v_dual_mov_b32 v11, v7
.LBB145_58:                             ;   in Loop: Header=BB145_2 Depth=1
	s_or_b32 exec_lo, exec_lo, s8
	v_add_nc_u32_e32 v15, 1, v19
	v_add_nc_u32_e32 v16, 1, v20
	s_wait_dscnt 0x0
	v_cmp_lt_i64_e64 s8, v[13:14], v[11:12]
	s_delay_alu instid0(VALU_DEP_3) | instskip(NEXT) | instid1(VALU_DEP_3)
	v_cndmask_b32_e64 v22, v15, v19, s7
	v_cndmask_b32_e64 v21, v20, v16, s7
                                        ; implicit-def: $vgpr15_vgpr16
	s_delay_alu instid0(VALU_DEP_2) | instskip(NEXT) | instid1(VALU_DEP_2)
	v_cmp_ge_i32_e64 s9, v22, v49
	v_cmp_lt_i32_e64 s10, v21, v50
	s_or_b32 s8, s9, s8
	s_wait_alu 0xfffe
	s_and_b32 s8, s10, s8
	s_wait_alu 0xfffe
	s_xor_b32 s9, s8, -1
	s_wait_alu 0xfffe
	s_and_saveexec_b32 s10, s9
	s_wait_alu 0xfffe
	s_xor_b32 s9, exec_lo, s10
; %bb.59:                               ;   in Loop: Header=BB145_2 Depth=1
	v_lshlrev_b32_e32 v15, 3, v22
	ds_load_b64 v[15:16], v15 offset:8
; %bb.60:                               ;   in Loop: Header=BB145_2 Depth=1
	s_wait_alu 0xfffe
	s_or_saveexec_b32 s9, s9
	v_dual_mov_b32 v18, v14 :: v_dual_mov_b32 v17, v13
	s_wait_alu 0xfffe
	s_xor_b32 exec_lo, exec_lo, s9
	s_cbranch_execz .LBB145_62
; %bb.61:                               ;   in Loop: Header=BB145_2 Depth=1
	s_wait_dscnt 0x0
	v_lshlrev_b32_e32 v15, 3, v21
	ds_load_b64 v[17:18], v15 offset:8
	v_dual_mov_b32 v16, v12 :: v_dual_mov_b32 v15, v11
.LBB145_62:                             ;   in Loop: Header=BB145_2 Depth=1
	s_or_b32 exec_lo, exec_lo, s9
	v_add_nc_u32_e32 v23, 1, v22
	v_add_nc_u32_e32 v24, 1, v21
	s_wait_dscnt 0x0
	v_cmp_lt_i64_e64 s9, v[17:18], v[15:16]
	v_cndmask_b32_e64 v19, v19, v20, s7
	s_wait_loadcnt 0x0
	v_cndmask_b32_e64 v23, v23, v22, s8
	v_cndmask_b32_e64 v22, v22, v21, s8
	;; [unrolled: 1-line block ×3, first 2 shown]
	s_barrier_signal -1
	s_barrier_wait -1
	v_cmp_ge_i32_e64 s10, v23, v49
	global_inv scope:SCOPE_SE
	v_cmp_lt_i32_e64 s11, v21, v50
	ds_store_2addr_b64 v25, v[1:2], v[5:6] offset1:1
	ds_store_b64 v25, v[3:4] offset:16
	v_lshlrev_b32_e32 v1, 3, v19
	s_or_b32 s9, s10, s9
	v_lshlrev_b32_e32 v3, 3, v22
	s_wait_alu 0xfffe
	s_and_b32 s9, s11, s9
	s_wait_loadcnt_dscnt 0x0
	s_wait_alu 0xfffe
	v_cndmask_b32_e64 v16, v16, v18, s9
	v_cndmask_b32_e64 v18, v23, v21, s9
	s_barrier_signal -1
	s_barrier_wait -1
	global_inv scope:SCOPE_SE
	v_cndmask_b32_e64 v12, v12, v14, s8
	v_lshlrev_b32_e32 v4, 3, v18
	v_cndmask_b32_e64 v11, v11, v13, s8
	ds_load_b64 v[1:2], v1
	ds_load_b64 v[5:6], v3
	;; [unrolled: 1-line block ×3, first 2 shown]
	v_cndmask_b32_e64 v8, v8, v10, s7
	v_cndmask_b32_e64 v7, v7, v9, s7
	;; [unrolled: 1-line block ×3, first 2 shown]
	s_wait_loadcnt_dscnt 0x0
	s_barrier_signal -1
	s_barrier_wait -1
	global_inv scope:SCOPE_SE
	ds_store_2addr_b64 v25, v[7:8], v[11:12] offset1:1
	ds_store_b64 v25, v[15:16] offset:16
	v_mov_b32_e32 v11, v90
	s_wait_loadcnt_dscnt 0x0
	s_barrier_signal -1
	s_barrier_wait -1
	global_inv scope:SCOPE_SE
	s_and_saveexec_b32 s8, s5
	s_cbranch_execz .LBB145_66
; %bb.63:                               ;   in Loop: Header=BB145_2 Depth=1
	v_mov_b32_e32 v11, v90
	v_mov_b32_e32 v7, v83
	s_mov_b32 s9, 0
.LBB145_64:                             ;   Parent Loop BB145_2 Depth=1
                                        ; =>  This Inner Loop Header: Depth=2
	s_delay_alu instid0(VALU_DEP_1) | instskip(NEXT) | instid1(VALU_DEP_1)
	v_sub_nc_u32_e32 v8, v7, v11
	v_lshrrev_b32_e32 v8, 1, v8
	s_delay_alu instid0(VALU_DEP_1) | instskip(NEXT) | instid1(VALU_DEP_1)
	v_add_nc_u32_e32 v10, v8, v11
	v_not_b32_e32 v8, v10
	v_lshl_add_u32 v9, v10, 3, v54
	s_delay_alu instid0(VALU_DEP_2)
	v_lshl_add_u32 v12, v8, 3, v63
	ds_load_b64 v[8:9], v9
	ds_load_b64 v[12:13], v12 offset:768
	s_wait_dscnt 0x0
	v_cmp_lt_i64_e64 s7, v[12:13], v[8:9]
	v_add_nc_u32_e32 v8, 1, v10
	s_wait_alu 0xf1ff
	s_delay_alu instid0(VALU_DEP_2) | instskip(NEXT) | instid1(VALU_DEP_2)
	v_cndmask_b32_e64 v7, v7, v10, s7
	v_cndmask_b32_e64 v11, v8, v11, s7
	s_delay_alu instid0(VALU_DEP_1)
	v_cmp_ge_i32_e64 s7, v11, v7
	s_wait_alu 0xfffe
	s_or_b32 s9, s7, s9
	s_wait_alu 0xfffe
	s_and_not1_b32 exec_lo, exec_lo, s9
	s_cbranch_execnz .LBB145_64
; %bb.65:                               ;   in Loop: Header=BB145_2 Depth=1
	s_or_b32 exec_lo, exec_lo, s9
.LBB145_66:                             ;   in Loop: Header=BB145_2 Depth=1
	s_wait_alu 0xfffe
	s_or_b32 exec_lo, exec_lo, s8
	v_sub_nc_u32_e32 v7, v70, v11
	v_lshl_add_u32 v13, v11, 3, v54
	v_add_nc_u32_e32 v19, v11, v35
	v_sub_nc_u32_e32 v20, v76, v11
                                        ; implicit-def: $vgpr11_vgpr12
	s_delay_alu instid0(VALU_DEP_4)
	v_lshlrev_b32_e32 v15, 3, v7
	ds_load_b64 v[7:8], v13
	ds_load_b64 v[9:10], v15 offset:768
	v_cmp_le_i32_e64 s8, v52, v19
	v_cmp_gt_i32_e64 s9, v53, v20
	s_wait_dscnt 0x0
	v_cmp_lt_i64_e64 s7, v[9:10], v[7:8]
	s_or_b32 s7, s8, s7
	s_wait_alu 0xfffe
	s_and_b32 s7, s9, s7
	s_wait_alu 0xfffe
	s_xor_b32 s8, s7, -1
	s_wait_alu 0xfffe
	s_and_saveexec_b32 s9, s8
	s_wait_alu 0xfffe
	s_xor_b32 s8, exec_lo, s9
; %bb.67:                               ;   in Loop: Header=BB145_2 Depth=1
	ds_load_b64 v[11:12], v13 offset:8
                                        ; implicit-def: $vgpr15
; %bb.68:                               ;   in Loop: Header=BB145_2 Depth=1
	s_wait_alu 0xfffe
	s_or_saveexec_b32 s8, s8
	v_dual_mov_b32 v14, v10 :: v_dual_mov_b32 v13, v9
	s_wait_alu 0xfffe
	s_xor_b32 exec_lo, exec_lo, s8
	s_cbranch_execz .LBB145_70
; %bb.69:                               ;   in Loop: Header=BB145_2 Depth=1
	ds_load_b64 v[13:14], v15 offset:776
	s_wait_dscnt 0x1
	v_dual_mov_b32 v12, v8 :: v_dual_mov_b32 v11, v7
.LBB145_70:                             ;   in Loop: Header=BB145_2 Depth=1
	s_or_b32 exec_lo, exec_lo, s8
	v_add_nc_u32_e32 v15, 1, v19
	v_add_nc_u32_e32 v16, 1, v20
	s_wait_dscnt 0x0
	v_cmp_lt_i64_e64 s8, v[13:14], v[11:12]
	s_delay_alu instid0(VALU_DEP_3) | instskip(NEXT) | instid1(VALU_DEP_3)
	v_cndmask_b32_e64 v22, v15, v19, s7
	v_cndmask_b32_e64 v21, v20, v16, s7
                                        ; implicit-def: $vgpr15_vgpr16
	s_delay_alu instid0(VALU_DEP_2) | instskip(NEXT) | instid1(VALU_DEP_2)
	v_cmp_ge_i32_e64 s9, v22, v52
	v_cmp_lt_i32_e64 s10, v21, v53
	s_or_b32 s8, s9, s8
	s_wait_alu 0xfffe
	s_and_b32 s8, s10, s8
	s_wait_alu 0xfffe
	s_xor_b32 s9, s8, -1
	s_wait_alu 0xfffe
	s_and_saveexec_b32 s10, s9
	s_wait_alu 0xfffe
	s_xor_b32 s9, exec_lo, s10
; %bb.71:                               ;   in Loop: Header=BB145_2 Depth=1
	v_lshlrev_b32_e32 v15, 3, v22
	ds_load_b64 v[15:16], v15 offset:8
; %bb.72:                               ;   in Loop: Header=BB145_2 Depth=1
	s_wait_alu 0xfffe
	s_or_saveexec_b32 s9, s9
	v_dual_mov_b32 v18, v14 :: v_dual_mov_b32 v17, v13
	s_wait_alu 0xfffe
	s_xor_b32 exec_lo, exec_lo, s9
	s_cbranch_execz .LBB145_74
; %bb.73:                               ;   in Loop: Header=BB145_2 Depth=1
	s_wait_dscnt 0x0
	v_lshlrev_b32_e32 v15, 3, v21
	ds_load_b64 v[17:18], v15 offset:8
	v_dual_mov_b32 v16, v12 :: v_dual_mov_b32 v15, v11
.LBB145_74:                             ;   in Loop: Header=BB145_2 Depth=1
	s_or_b32 exec_lo, exec_lo, s9
	v_add_nc_u32_e32 v23, 1, v22
	v_add_nc_u32_e32 v24, 1, v21
	s_wait_dscnt 0x0
	v_cmp_lt_i64_e64 s9, v[17:18], v[15:16]
	v_cndmask_b32_e64 v19, v19, v20, s7
	s_wait_loadcnt 0x0
	v_cndmask_b32_e64 v23, v23, v22, s8
	v_cndmask_b32_e64 v22, v22, v21, s8
	;; [unrolled: 1-line block ×3, first 2 shown]
	s_barrier_signal -1
	s_barrier_wait -1
	v_cmp_ge_i32_e64 s10, v23, v52
	global_inv scope:SCOPE_SE
	v_cmp_lt_i32_e64 s11, v21, v53
	ds_store_2addr_b64 v25, v[1:2], v[5:6] offset1:1
	ds_store_b64 v25, v[3:4] offset:16
	v_lshlrev_b32_e32 v1, 3, v19
	s_or_b32 s9, s10, s9
	v_lshlrev_b32_e32 v3, 3, v22
	s_wait_alu 0xfffe
	s_and_b32 s9, s11, s9
	s_wait_loadcnt_dscnt 0x0
	s_wait_alu 0xfffe
	v_cndmask_b32_e64 v16, v16, v18, s9
	v_cndmask_b32_e64 v18, v23, v21, s9
	s_barrier_signal -1
	s_barrier_wait -1
	global_inv scope:SCOPE_SE
	v_cndmask_b32_e64 v12, v12, v14, s8
	v_lshlrev_b32_e32 v4, 3, v18
	v_cndmask_b32_e64 v11, v11, v13, s8
	ds_load_b64 v[1:2], v1
	ds_load_b64 v[5:6], v3
	;; [unrolled: 1-line block ×3, first 2 shown]
	v_cndmask_b32_e64 v8, v8, v10, s7
	v_cndmask_b32_e64 v7, v7, v9, s7
	;; [unrolled: 1-line block ×3, first 2 shown]
	s_wait_loadcnt_dscnt 0x0
	s_barrier_signal -1
	s_barrier_wait -1
	global_inv scope:SCOPE_SE
	ds_store_2addr_b64 v25, v[7:8], v[11:12] offset1:1
	ds_store_b64 v25, v[15:16] offset:16
	v_mov_b32_e32 v8, v91
	s_wait_loadcnt_dscnt 0x0
	s_barrier_signal -1
	s_barrier_wait -1
	global_inv scope:SCOPE_SE
	s_and_saveexec_b32 s8, s6
	s_cbranch_execz .LBB145_78
; %bb.75:                               ;   in Loop: Header=BB145_2 Depth=1
	v_dual_mov_b32 v8, v91 :: v_dual_mov_b32 v7, v84
	s_mov_b32 s9, 0
.LBB145_76:                             ;   Parent Loop BB145_2 Depth=1
                                        ; =>  This Inner Loop Header: Depth=2
	s_delay_alu instid0(VALU_DEP_1) | instskip(NEXT) | instid1(VALU_DEP_1)
	v_sub_nc_u32_e32 v9, v7, v8
	v_lshrrev_b32_e32 v9, 1, v9
	s_delay_alu instid0(VALU_DEP_1) | instskip(NEXT) | instid1(VALU_DEP_1)
	v_add_nc_u32_e32 v13, v9, v8
	v_not_b32_e32 v9, v13
	v_lshl_add_u32 v10, v13, 3, v57
	s_delay_alu instid0(VALU_DEP_2)
	v_lshl_add_u32 v11, v9, 3, v64
	ds_load_b64 v[9:10], v10
	ds_load_b64 v[11:12], v11 offset:1536
	s_wait_dscnt 0x0
	v_cmp_lt_i64_e64 s7, v[11:12], v[9:10]
	v_add_nc_u32_e32 v9, 1, v13
	s_wait_alu 0xf1ff
	s_delay_alu instid0(VALU_DEP_2) | instskip(NEXT) | instid1(VALU_DEP_2)
	v_cndmask_b32_e64 v7, v7, v13, s7
	v_cndmask_b32_e64 v8, v9, v8, s7
	s_delay_alu instid0(VALU_DEP_1)
	v_cmp_ge_i32_e64 s7, v8, v7
	s_wait_alu 0xfffe
	s_or_b32 s9, s7, s9
	s_wait_alu 0xfffe
	s_and_not1_b32 exec_lo, exec_lo, s9
	s_cbranch_execnz .LBB145_76
; %bb.77:                               ;   in Loop: Header=BB145_2 Depth=1
	s_or_b32 exec_lo, exec_lo, s9
.LBB145_78:                             ;   in Loop: Header=BB145_2 Depth=1
	s_wait_alu 0xfffe
	s_or_b32 exec_lo, exec_lo, s8
	v_sub_nc_u32_e32 v7, v92, v8
	v_lshl_add_u32 v15, v8, 3, v57
                                        ; implicit-def: $vgpr13_vgpr14
	s_delay_alu instid0(VALU_DEP_2)
	v_lshlrev_b32_e32 v17, 3, v7
	v_add_nc_u32_e32 v7, v8, v36
	v_sub_nc_u32_e32 v8, v77, v8
	ds_load_b64 v[9:10], v15
	ds_load_b64 v[11:12], v17 offset:1536
	v_cmp_le_i32_e64 s8, v55, v7
	v_cmp_gt_i32_e64 s9, v56, v8
	s_wait_dscnt 0x0
	v_cmp_lt_i64_e64 s7, v[11:12], v[9:10]
	s_or_b32 s7, s8, s7
	s_wait_alu 0xfffe
	s_and_b32 s7, s9, s7
	s_wait_alu 0xfffe
	s_xor_b32 s8, s7, -1
	s_wait_alu 0xfffe
	s_and_saveexec_b32 s9, s8
	s_wait_alu 0xfffe
	s_xor_b32 s8, exec_lo, s9
; %bb.79:                               ;   in Loop: Header=BB145_2 Depth=1
	ds_load_b64 v[13:14], v15 offset:8
                                        ; implicit-def: $vgpr17
; %bb.80:                               ;   in Loop: Header=BB145_2 Depth=1
	s_wait_alu 0xfffe
	s_or_saveexec_b32 s8, s8
	v_dual_mov_b32 v16, v12 :: v_dual_mov_b32 v15, v11
	s_wait_alu 0xfffe
	s_xor_b32 exec_lo, exec_lo, s8
	s_cbranch_execz .LBB145_82
; %bb.81:                               ;   in Loop: Header=BB145_2 Depth=1
	ds_load_b64 v[15:16], v17 offset:1544
	s_wait_dscnt 0x1
	v_dual_mov_b32 v14, v10 :: v_dual_mov_b32 v13, v9
.LBB145_82:                             ;   in Loop: Header=BB145_2 Depth=1
	s_or_b32 exec_lo, exec_lo, s8
	v_add_nc_u32_e32 v17, 1, v7
	v_add_nc_u32_e32 v18, 1, v8
	s_wait_dscnt 0x0
	v_cmp_lt_i64_e64 s8, v[15:16], v[13:14]
	s_delay_alu instid0(VALU_DEP_3) | instskip(NEXT) | instid1(VALU_DEP_3)
	v_cndmask_b32_e64 v22, v17, v7, s7
	v_cndmask_b32_e64 v21, v8, v18, s7
                                        ; implicit-def: $vgpr17_vgpr18
	s_delay_alu instid0(VALU_DEP_2) | instskip(NEXT) | instid1(VALU_DEP_2)
	v_cmp_ge_i32_e64 s9, v22, v55
	v_cmp_lt_i32_e64 s10, v21, v56
	s_or_b32 s8, s9, s8
	s_wait_alu 0xfffe
	s_and_b32 s8, s10, s8
	s_wait_alu 0xfffe
	s_xor_b32 s9, s8, -1
	s_wait_alu 0xfffe
	s_and_saveexec_b32 s10, s9
	s_wait_alu 0xfffe
	s_xor_b32 s9, exec_lo, s10
; %bb.83:                               ;   in Loop: Header=BB145_2 Depth=1
	v_lshlrev_b32_e32 v17, 3, v22
	ds_load_b64 v[17:18], v17 offset:8
; %bb.84:                               ;   in Loop: Header=BB145_2 Depth=1
	s_wait_alu 0xfffe
	s_or_saveexec_b32 s9, s9
	v_dual_mov_b32 v20, v16 :: v_dual_mov_b32 v19, v15
	s_wait_alu 0xfffe
	s_xor_b32 exec_lo, exec_lo, s9
	s_cbranch_execz .LBB145_86
; %bb.85:                               ;   in Loop: Header=BB145_2 Depth=1
	s_wait_dscnt 0x0
	v_lshlrev_b32_e32 v17, 3, v21
	ds_load_b64 v[19:20], v17 offset:8
	v_dual_mov_b32 v18, v14 :: v_dual_mov_b32 v17, v13
.LBB145_86:                             ;   in Loop: Header=BB145_2 Depth=1
	s_or_b32 exec_lo, exec_lo, s9
	v_add_nc_u32_e32 v23, 1, v22
	v_add_nc_u32_e32 v24, 1, v21
	s_wait_dscnt 0x0
	v_cmp_lt_i64_e64 s9, v[19:20], v[17:18]
	v_cndmask_b32_e64 v7, v7, v8, s7
	s_wait_loadcnt 0x0
	v_cndmask_b32_e64 v23, v23, v22, s8
	v_cndmask_b32_e64 v22, v22, v21, s8
	;; [unrolled: 1-line block ×3, first 2 shown]
	s_barrier_signal -1
	s_barrier_wait -1
	v_cmp_ge_i32_e64 s10, v23, v55
	global_inv scope:SCOPE_SE
	v_cmp_lt_i32_e64 s11, v21, v56
	ds_store_2addr_b64 v25, v[1:2], v[5:6] offset1:1
	ds_store_b64 v25, v[3:4] offset:16
	v_lshlrev_b32_e32 v1, 3, v7
	s_or_b32 s9, s10, s9
	v_lshlrev_b32_e32 v2, 3, v22
	s_wait_alu 0xfffe
	s_and_b32 s9, s11, s9
	s_wait_loadcnt_dscnt 0x0
	s_wait_alu 0xfffe
	v_cndmask_b32_e64 v8, v23, v21, s9
	s_barrier_signal -1
	s_barrier_wait -1
	global_inv scope:SCOPE_SE
	v_cndmask_b32_e64 v10, v10, v12, s7
	v_lshlrev_b32_e32 v5, 3, v8
	v_cndmask_b32_e64 v9, v9, v11, s7
	v_cndmask_b32_e64 v18, v18, v20, s9
	ds_load_b64 v[3:4], v1
	ds_load_b64 v[7:8], v2
	;; [unrolled: 1-line block ×3, first 2 shown]
	v_cndmask_b32_e64 v2, v14, v16, s8
	v_cndmask_b32_e64 v1, v13, v15, s8
	;; [unrolled: 1-line block ×3, first 2 shown]
	s_wait_loadcnt_dscnt 0x0
	s_barrier_signal -1
	s_barrier_wait -1
	global_inv scope:SCOPE_SE
	ds_store_2addr_b64 v25, v[9:10], v[1:2] offset1:1
	ds_store_b64 v25, v[17:18] offset:16
	v_mov_b32_e32 v9, v27
	s_wait_loadcnt_dscnt 0x0
	s_barrier_signal -1
	s_barrier_wait -1
	global_inv scope:SCOPE_SE
	s_and_saveexec_b32 s8, vcc_lo
	s_cbranch_execz .LBB145_90
; %bb.87:                               ;   in Loop: Header=BB145_2 Depth=1
	v_mov_b32_e32 v9, v27
	v_mov_b32_e32 v1, v28
	s_mov_b32 s9, 0
.LBB145_88:                             ;   Parent Loop BB145_2 Depth=1
                                        ; =>  This Inner Loop Header: Depth=2
	s_delay_alu instid0(VALU_DEP_1) | instskip(NEXT) | instid1(VALU_DEP_1)
	v_sub_nc_u32_e32 v2, v1, v9
	v_lshrrev_b32_e32 v2, 1, v2
	s_delay_alu instid0(VALU_DEP_1) | instskip(NEXT) | instid1(VALU_DEP_1)
	v_add_nc_u32_e32 v2, v2, v9
	v_not_b32_e32 v10, v2
	v_lshlrev_b32_e32 v11, 3, v2
	s_delay_alu instid0(VALU_DEP_2)
	v_lshl_add_u32 v12, v10, 3, v29
	ds_load_b64 v[10:11], v11
	ds_load_b64 v[12:13], v12 offset:3072
	s_wait_dscnt 0x0
	v_cmp_lt_i64_e64 s7, v[12:13], v[10:11]
	v_add_nc_u32_e32 v10, 1, v2
	s_wait_alu 0xf1ff
	s_delay_alu instid0(VALU_DEP_2) | instskip(NEXT) | instid1(VALU_DEP_2)
	v_cndmask_b32_e64 v1, v1, v2, s7
	v_cndmask_b32_e64 v9, v10, v9, s7
	s_delay_alu instid0(VALU_DEP_1)
	v_cmp_ge_i32_e64 s7, v9, v1
	s_wait_alu 0xfffe
	s_or_b32 s9, s7, s9
	s_wait_alu 0xfffe
	s_and_not1_b32 exec_lo, exec_lo, s9
	s_cbranch_execnz .LBB145_88
; %bb.89:                               ;   in Loop: Header=BB145_2 Depth=1
	s_or_b32 exec_lo, exec_lo, s9
.LBB145_90:                             ;   in Loop: Header=BB145_2 Depth=1
	s_wait_alu 0xfffe
	s_or_b32 exec_lo, exec_lo, s8
	v_sub_nc_u32_e32 v1, v26, v9
	v_lshlrev_b32_e32 v2, 3, v9
	v_mad_u32_u24 v10, v0, 3, 0x180
	v_cmp_le_i32_e64 s8, 0x180, v9
                                        ; implicit-def: $vgpr17_vgpr18
	s_delay_alu instid0(VALU_DEP_4) | instskip(SKIP_3) | instid1(VALU_DEP_1)
	v_lshlrev_b32_e32 v1, 3, v1
	ds_load_b64 v[13:14], v2
	ds_load_b64 v[15:16], v1 offset:3072
	v_sub_nc_u32_e32 v10, v10, v9
	v_cmp_gt_i32_e64 s9, 0x300, v10
	s_wait_dscnt 0x0
	v_cmp_lt_i64_e64 s7, v[15:16], v[13:14]
	s_or_b32 s7, s8, s7
	s_wait_alu 0xfffe
	s_and_b32 s7, s9, s7
	s_wait_alu 0xfffe
	s_xor_b32 s8, s7, -1
	s_wait_alu 0xfffe
	s_and_saveexec_b32 s9, s8
	s_wait_alu 0xfffe
	s_xor_b32 s8, exec_lo, s9
; %bb.91:                               ;   in Loop: Header=BB145_2 Depth=1
	ds_load_b64 v[17:18], v2 offset:8
                                        ; implicit-def: $vgpr1
; %bb.92:                               ;   in Loop: Header=BB145_2 Depth=1
	s_wait_alu 0xfffe
	s_or_saveexec_b32 s8, s8
	v_dual_mov_b32 v20, v16 :: v_dual_mov_b32 v19, v15
	s_wait_alu 0xfffe
	s_xor_b32 exec_lo, exec_lo, s8
	s_cbranch_execz .LBB145_94
; %bb.93:                               ;   in Loop: Header=BB145_2 Depth=1
	ds_load_b64 v[19:20], v1 offset:3080
	s_wait_dscnt 0x1
	v_dual_mov_b32 v18, v14 :: v_dual_mov_b32 v17, v13
.LBB145_94:                             ;   in Loop: Header=BB145_2 Depth=1
	s_or_b32 exec_lo, exec_lo, s8
	v_add_nc_u32_e32 v1, 1, v9
	v_add_nc_u32_e32 v2, 1, v10
	s_wait_dscnt 0x0
	v_cmp_lt_i64_e64 s8, v[19:20], v[17:18]
                                        ; implicit-def: $vgpr23
	s_delay_alu instid0(VALU_DEP_3) | instskip(NEXT) | instid1(VALU_DEP_3)
	v_cndmask_b32_e64 v24, v1, v9, s7
	v_cndmask_b32_e64 v11, v10, v2, s7
                                        ; implicit-def: $vgpr1_vgpr2
	s_delay_alu instid0(VALU_DEP_2) | instskip(NEXT) | instid1(VALU_DEP_2)
	v_cmp_le_i32_e64 s9, 0x180, v24
	v_cmp_gt_i32_e64 s10, 0x300, v11
	s_or_b32 s8, s9, s8
	s_wait_alu 0xfffe
	s_and_b32 s8, s10, s8
	s_wait_alu 0xfffe
	s_xor_b32 s9, s8, -1
	s_wait_alu 0xfffe
	s_and_saveexec_b32 s10, s9
	s_wait_alu 0xfffe
	s_xor_b32 s9, exec_lo, s10
; %bb.95:                               ;   in Loop: Header=BB145_2 Depth=1
	v_lshlrev_b32_e32 v1, 3, v24
	v_add_nc_u32_e32 v23, 1, v24
	ds_load_b64 v[1:2], v1 offset:8
; %bb.96:                               ;   in Loop: Header=BB145_2 Depth=1
	s_wait_alu 0xfffe
	s_or_saveexec_b32 s9, s9
	v_mov_b32_e32 v22, v20
	v_dual_mov_b32 v12, v24 :: v_dual_mov_b32 v21, v19
	s_wait_alu 0xfffe
	s_xor_b32 exec_lo, exec_lo, s9
	s_cbranch_execz .LBB145_1
; %bb.97:                               ;   in Loop: Header=BB145_2 Depth=1
	s_wait_dscnt 0x0
	v_dual_mov_b32 v12, v11 :: v_dual_lshlrev_b32 v1, 3, v11
	v_mov_b32_e32 v23, v24
	ds_load_b64 v[21:22], v1 offset:8
	v_add_nc_u32_e32 v1, 1, v11
	s_delay_alu instid0(VALU_DEP_1)
	v_mov_b32_e32 v11, v1
	v_dual_mov_b32 v1, v17 :: v_dual_mov_b32 v2, v18
	s_branch .LBB145_1
.LBB145_98:
	s_wait_dscnt 0x2
	v_add_co_u32 v5, vcc_lo, v5, v11
	s_wait_alu 0xfffd
	v_add_co_ci_u32_e64 v6, null, v6, v12, vcc_lo
	s_wait_dscnt 0x1
	v_add_co_u32 v3, vcc_lo, v3, v9
	s_wait_alu 0xfffd
	v_add_co_ci_u32_e64 v4, null, v4, v10, vcc_lo
	v_lshlrev_b32_e32 v9, 3, v0
	s_wait_dscnt 0x0
	v_add_co_u32 v0, vcc_lo, v1, v7
	s_wait_alu 0xfffd
	v_add_co_ci_u32_e64 v1, null, v2, v8, vcc_lo
	s_add_nc_u64 s[0:1], s[14:15], s[16:17]
	s_clause 0x2
	global_store_b64 v9, v[5:6], s[0:1]
	global_store_b64 v9, v[3:4], s[0:1] offset:2048
	global_store_b64 v9, v[0:1], s[0:1] offset:4096
	s_nop 0
	s_sendmsg sendmsg(MSG_DEALLOC_VGPRS)
	s_endpgm
	.section	.rodata,"a",@progbits
	.p2align	6, 0x0
	.amdhsa_kernel _Z17sort_pairs_kernelIxLj256ELj3EN10test_utils4lessELj10EEvPKT_PS2_T2_
		.amdhsa_group_segment_fixed_size 6152
		.amdhsa_private_segment_fixed_size 0
		.amdhsa_kernarg_size 20
		.amdhsa_user_sgpr_count 2
		.amdhsa_user_sgpr_dispatch_ptr 0
		.amdhsa_user_sgpr_queue_ptr 0
		.amdhsa_user_sgpr_kernarg_segment_ptr 1
		.amdhsa_user_sgpr_dispatch_id 0
		.amdhsa_user_sgpr_private_segment_size 0
		.amdhsa_wavefront_size32 1
		.amdhsa_uses_dynamic_stack 0
		.amdhsa_enable_private_segment 0
		.amdhsa_system_sgpr_workgroup_id_x 1
		.amdhsa_system_sgpr_workgroup_id_y 0
		.amdhsa_system_sgpr_workgroup_id_z 0
		.amdhsa_system_sgpr_workgroup_info 0
		.amdhsa_system_vgpr_workitem_id 0
		.amdhsa_next_free_vgpr 98
		.amdhsa_next_free_sgpr 20
		.amdhsa_reserve_vcc 1
		.amdhsa_float_round_mode_32 0
		.amdhsa_float_round_mode_16_64 0
		.amdhsa_float_denorm_mode_32 3
		.amdhsa_float_denorm_mode_16_64 3
		.amdhsa_fp16_overflow 0
		.amdhsa_workgroup_processor_mode 1
		.amdhsa_memory_ordered 1
		.amdhsa_forward_progress 1
		.amdhsa_inst_pref_size 63
		.amdhsa_round_robin_scheduling 0
		.amdhsa_exception_fp_ieee_invalid_op 0
		.amdhsa_exception_fp_denorm_src 0
		.amdhsa_exception_fp_ieee_div_zero 0
		.amdhsa_exception_fp_ieee_overflow 0
		.amdhsa_exception_fp_ieee_underflow 0
		.amdhsa_exception_fp_ieee_inexact 0
		.amdhsa_exception_int_div_zero 0
	.end_amdhsa_kernel
	.section	.text._Z17sort_pairs_kernelIxLj256ELj3EN10test_utils4lessELj10EEvPKT_PS2_T2_,"axG",@progbits,_Z17sort_pairs_kernelIxLj256ELj3EN10test_utils4lessELj10EEvPKT_PS2_T2_,comdat
.Lfunc_end145:
	.size	_Z17sort_pairs_kernelIxLj256ELj3EN10test_utils4lessELj10EEvPKT_PS2_T2_, .Lfunc_end145-_Z17sort_pairs_kernelIxLj256ELj3EN10test_utils4lessELj10EEvPKT_PS2_T2_
                                        ; -- End function
	.set _Z17sort_pairs_kernelIxLj256ELj3EN10test_utils4lessELj10EEvPKT_PS2_T2_.num_vgpr, 98
	.set _Z17sort_pairs_kernelIxLj256ELj3EN10test_utils4lessELj10EEvPKT_PS2_T2_.num_agpr, 0
	.set _Z17sort_pairs_kernelIxLj256ELj3EN10test_utils4lessELj10EEvPKT_PS2_T2_.numbered_sgpr, 20
	.set _Z17sort_pairs_kernelIxLj256ELj3EN10test_utils4lessELj10EEvPKT_PS2_T2_.num_named_barrier, 0
	.set _Z17sort_pairs_kernelIxLj256ELj3EN10test_utils4lessELj10EEvPKT_PS2_T2_.private_seg_size, 0
	.set _Z17sort_pairs_kernelIxLj256ELj3EN10test_utils4lessELj10EEvPKT_PS2_T2_.uses_vcc, 1
	.set _Z17sort_pairs_kernelIxLj256ELj3EN10test_utils4lessELj10EEvPKT_PS2_T2_.uses_flat_scratch, 0
	.set _Z17sort_pairs_kernelIxLj256ELj3EN10test_utils4lessELj10EEvPKT_PS2_T2_.has_dyn_sized_stack, 0
	.set _Z17sort_pairs_kernelIxLj256ELj3EN10test_utils4lessELj10EEvPKT_PS2_T2_.has_recursion, 0
	.set _Z17sort_pairs_kernelIxLj256ELj3EN10test_utils4lessELj10EEvPKT_PS2_T2_.has_indirect_call, 0
	.section	.AMDGPU.csdata,"",@progbits
; Kernel info:
; codeLenInByte = 7964
; TotalNumSgprs: 22
; NumVgprs: 98
; ScratchSize: 0
; MemoryBound: 0
; FloatMode: 240
; IeeeMode: 1
; LDSByteSize: 6152 bytes/workgroup (compile time only)
; SGPRBlocks: 0
; VGPRBlocks: 12
; NumSGPRsForWavesPerEU: 22
; NumVGPRsForWavesPerEU: 98
; Occupancy: 12
; WaveLimiterHint : 1
; COMPUTE_PGM_RSRC2:SCRATCH_EN: 0
; COMPUTE_PGM_RSRC2:USER_SGPR: 2
; COMPUTE_PGM_RSRC2:TRAP_HANDLER: 0
; COMPUTE_PGM_RSRC2:TGID_X_EN: 1
; COMPUTE_PGM_RSRC2:TGID_Y_EN: 0
; COMPUTE_PGM_RSRC2:TGID_Z_EN: 0
; COMPUTE_PGM_RSRC2:TIDIG_COMP_CNT: 0
	.section	.text._Z16sort_keys_kernelIxLj256ELj4EN10test_utils4lessELj10EEvPKT_PS2_T2_,"axG",@progbits,_Z16sort_keys_kernelIxLj256ELj4EN10test_utils4lessELj10EEvPKT_PS2_T2_,comdat
	.protected	_Z16sort_keys_kernelIxLj256ELj4EN10test_utils4lessELj10EEvPKT_PS2_T2_ ; -- Begin function _Z16sort_keys_kernelIxLj256ELj4EN10test_utils4lessELj10EEvPKT_PS2_T2_
	.globl	_Z16sort_keys_kernelIxLj256ELj4EN10test_utils4lessELj10EEvPKT_PS2_T2_
	.p2align	8
	.type	_Z16sort_keys_kernelIxLj256ELj4EN10test_utils4lessELj10EEvPKT_PS2_T2_,@function
_Z16sort_keys_kernelIxLj256ELj4EN10test_utils4lessELj10EEvPKT_PS2_T2_: ; @_Z16sort_keys_kernelIxLj256ELj4EN10test_utils4lessELj10EEvPKT_PS2_T2_
; %bb.0:
	s_load_b128 s[12:15], s[0:1], 0x0
	s_lshl_b32 s16, ttmp9, 10
	s_mov_b32 s17, 0
	v_lshlrev_b32_e32 v5, 3, v0
	s_lshl_b64 s[18:19], s[16:17], 3
	v_lshlrev_b32_e32 v9, 2, v0
	v_lshlrev_b32_e32 v21, 5, v0
	s_delay_alu instid0(VALU_DEP_2)
	v_and_b32_e32 v17, 0x3f8, v9
	v_and_b32_e32 v10, 4, v9
	;; [unrolled: 1-line block ×5, first 2 shown]
	v_or_b32_e32 v18, 4, v17
	v_add_nc_u32_e32 v19, 8, v17
	v_or_b32_e32 v22, 8, v20
	v_add_nc_u32_e32 v23, 16, v20
	v_or_b32_e32 v29, 16, v27
	s_wait_kmcnt 0x0
	s_add_nc_u64 s[0:1], s[12:13], s[18:19]
	v_sub_nc_u32_e32 v11, v19, v18
	s_clause 0x3
	global_load_b64 v[1:2], v5, s[0:1]
	global_load_b64 v[7:8], v5, s[0:1] offset:2048
	global_load_b64 v[3:4], v5, s[0:1] offset:4096
	;; [unrolled: 1-line block ×3, first 2 shown]
	v_add_nc_u32_e32 v30, 32, v27
	v_sub_nc_u32_e32 v14, v22, v20
	v_or_b32_e32 v36, 32, v34
	v_sub_nc_u32_e32 v12, v10, v11
	v_cmp_ge_i32_e32 vcc_lo, v10, v11
	v_and_b32_e32 v11, 12, v9
	v_add_nc_u32_e32 v37, 64, v34
	v_sub_nc_u32_e32 v15, v29, v27
	v_dual_cndmask_b32 v24, 0, v12 :: v_dual_and_b32 v41, 0x380, v9
	v_sub_nc_u32_e32 v13, v18, v17
	v_sub_nc_u32_e32 v12, v23, v22
	v_min_i32_e32 v32, v11, v14
	s_delay_alu instid0(VALU_DEP_4)
	v_or_b32_e32 v43, 64, v41
	v_add_nc_u32_e32 v44, 0x80, v41
	v_min_i32_e32 v25, v10, v13
	v_sub_nc_u32_e32 v13, v11, v12
	v_cmp_ge_i32_e64 s0, v11, v12
	v_and_b32_e32 v12, 28, v9
	v_sub_nc_u32_e32 v16, v36, v34
	v_and_b32_e32 v48, 0x300, v9
	v_and_b32_e32 v53, 0x200, v9
	v_cndmask_b32_e64 v31, 0, v13, s0
	v_sub_nc_u32_e32 v13, v30, v29
	v_min_i32_e32 v39, v12, v15
	v_or_b32_e32 v50, 0x80, v48
	v_add_nc_u32_e32 v51, 0x100, v48
	v_or_b32_e32 v56, 0x100, v53
	v_sub_nc_u32_e32 v14, v12, v13
	v_cmp_ge_i32_e64 s1, v12, v13
	v_and_b32_e32 v13, 60, v9
	v_add_nc_u32_e32 v57, 0x200, v53
	v_and_b32_e32 v72, 0x1fc, v9
	v_add_nc_u32_e32 v28, v18, v10
	s_wait_alu 0xf1ff
	v_cndmask_b32_e64 v38, 0, v14, s1
	v_sub_nc_u32_e32 v14, v37, v36
	v_min_i32_e32 v46, v13, v16
	v_sub_nc_u32_e32 v62, v57, v56
	v_add_nc_u32_e32 v35, v22, v11
	v_sub_nc_u32_e32 v54, v43, v41
	v_sub_nc_u32_e32 v15, v13, v14
	v_cmp_ge_i32_e64 s2, v13, v14
	v_and_b32_e32 v14, 0x7c, v9
	v_sub_nc_u32_e32 v59, v50, v48
	v_sub_nc_u32_e32 v63, v56, v53
	v_cmp_ge_i32_e64 s5, v72, v62
	v_cndmask_b32_e64 v45, 0, v15, s2
	v_sub_nc_u32_e32 v15, v44, v43
	v_lshlrev_b32_e32 v10, 3, v10
	v_lshlrev_b32_e32 v11, 3, v11
	v_add_nc_u32_e32 v42, v29, v12
	v_add_nc_u32_e32 v49, v36, v13
	v_sub_nc_u32_e32 v16, v14, v15
	v_cmp_ge_i32_e64 s3, v14, v15
	v_and_b32_e32 v15, 0xfc, v9
	v_min_i32_e32 v54, v14, v54
	v_min_i32_e32 v63, v72, v63
	v_subrev_nc_u32_e64 v66, 0x200, v9 clamp
	s_wait_alu 0xf1ff
	v_cndmask_b32_e64 v52, 0, v16, s3
	v_sub_nc_u32_e32 v16, v51, v50
	v_min_i32_e32 v59, v15, v59
	v_min_i32_e32 v67, 0x200, v9
	v_add_nc_u32_e32 v69, 0x200, v9
	v_lshl_add_u32 v70, v18, 3, v10
	v_sub_nc_u32_e32 v58, v15, v16
	v_cmp_ge_i32_e64 s4, v15, v16
	v_sub_nc_u32_e32 v16, v72, v62
	v_lshl_add_u32 v71, v22, 3, v11
	v_lshlrev_b32_e32 v9, 3, v12
	v_lshlrev_b32_e32 v10, 3, v13
	v_cndmask_b32_e64 v58, 0, v58, s4
	v_cndmask_b32_e64 v62, 0, v16, s5
	v_lshlrev_b32_e32 v11, 3, v14
	v_lshlrev_b32_e32 v12, 3, v15
	;; [unrolled: 1-line block ×5, first 2 shown]
	v_cmp_lt_i32_e64 s0, v31, v32
	v_lshlrev_b32_e32 v40, 3, v27
	v_cmp_lt_i32_e64 s1, v38, v39
	v_lshlrev_b32_e32 v47, 3, v34
	;; [unrolled: 2-line block ×3, first 2 shown]
	v_cmp_lt_i32_e64 s3, v52, v54
	v_add_nc_u32_e32 v60, v43, v14
	v_lshlrev_b32_e32 v61, 3, v48
	v_cmp_lt_i32_e64 s4, v58, v59
	v_add_nc_u32_e32 v64, v50, v15
	v_lshlrev_b32_e32 v65, 3, v53
	v_cmp_lt_i32_e64 s5, v62, v63
	v_add_nc_u32_e32 v68, v56, v72
	v_cmp_lt_i32_e64 s6, v66, v67
	v_lshl_add_u32 v72, v29, 3, v9
	v_lshl_add_u32 v73, v36, 3, v10
	;; [unrolled: 1-line block ×5, first 2 shown]
	v_add_nc_u32_e32 v77, 0x1000, v21
	v_cmp_lt_i32_e32 vcc_lo, v24, v25
	s_branch .LBB146_2
.LBB146_1:                              ;   in Loop: Header=BB146_2 Depth=1
	s_or_b32 exec_lo, exec_lo, s10
	v_cndmask_b32_e64 v2, v2, v6, s7
	v_cndmask_b32_e64 v1, v1, v5, s7
	s_wait_dscnt 0x0
	v_cmp_lt_i64_e64 s7, v[15:16], v[13:14]
	v_cmp_le_i32_e64 s10, 0x200, v79
	v_cmp_gt_i32_e64 s11, 0x400, v78
	v_cndmask_b32_e64 v8, v4, v8, s8
	v_cndmask_b32_e64 v7, v3, v7, s8
	;; [unrolled: 1-line block ×3, first 2 shown]
	s_or_b32 s7, s10, s7
	v_cndmask_b32_e64 v3, v9, v11, s9
	s_wait_alu 0xfffe
	s_and_b32 s7, s11, s7
	s_add_co_i32 s17, s17, 1
	s_wait_alu 0xfffe
	v_cndmask_b32_e64 v6, v14, v16, s7
	v_cndmask_b32_e64 v5, v13, v15, s7
	s_cmp_eq_u32 s17, 10
	s_cbranch_scc1 .LBB146_130
.LBB146_2:                              ; =>This Loop Header: Depth=1
                                        ;     Child Loop BB146_4 Depth 2
                                        ;     Child Loop BB146_20 Depth 2
	;; [unrolled: 1-line block ×8, first 2 shown]
	s_wait_loadcnt 0x2
	v_cmp_lt_i64_e64 s7, v[7:8], v[1:2]
	v_cmp_gt_i64_e64 s8, v[7:8], v[1:2]
	s_wait_loadcnt 0x0
	v_cmp_lt_i64_e64 s9, v[5:6], v[3:4]
	s_barrier_signal -1
	s_barrier_wait -1
	s_wait_alu 0xf1ff
	v_cndmask_b32_e64 v10, v2, v8, s7
	v_cndmask_b32_e64 v12, v2, v8, s8
	;; [unrolled: 1-line block ×8, first 2 shown]
	v_cmp_gt_i64_e64 s7, v[5:6], v[3:4]
	v_cndmask_b32_e64 v16, v5, v3, s9
	v_cndmask_b32_e64 v8, v6, v4, s9
	v_cmp_gt_i64_e64 s9, v[13:14], v[11:12]
	v_cmp_lt_i64_e64 s8, v[13:14], v[11:12]
	global_inv scope:SCOPE_SE
	s_wait_alu 0xf1ff
	v_cndmask_b32_e64 v2, v4, v6, s7
	v_cndmask_b32_e64 v1, v3, v5, s7
	v_cmp_lt_i64_e64 s7, v[13:14], v[9:10]
	v_cndmask_b32_e64 v79, v11, v13, s9
	v_cndmask_b32_e64 v80, v12, v14, s9
	;; [unrolled: 1-line block ×3, first 2 shown]
	v_cmp_gt_i64_e64 s9, v[11:12], v[1:2]
	v_cndmask_b32_e64 v81, v11, v13, s8
	v_cndmask_b32_e64 v78, v14, v12, s8
	;; [unrolled: 1-line block ×3, first 2 shown]
	s_wait_alu 0xf1ff
	v_cndmask_b32_e64 v6, v3, v10, s7
	v_cndmask_b32_e64 v7, v7, v14, s8
	;; [unrolled: 1-line block ×9, first 2 shown]
	v_cmp_lt_i64_e64 s8, v[11:12], v[5:6]
	v_cndmask_b32_e64 v1, v82, v1, s9
	v_cndmask_b32_e64 v10, v7, v10, s7
	;; [unrolled: 1-line block ×5, first 2 shown]
	s_wait_alu 0xf1ff
	v_cndmask_b32_e64 v2, v2, v6, s8
	v_cndmask_b32_e64 v1, v1, v5, s8
	;; [unrolled: 1-line block ×4, first 2 shown]
	ds_store_2addr_b64 v21, v[3:4], v[5:6] offset1:1
	ds_store_2addr_b64 v21, v[1:2], v[7:8] offset0:2 offset1:3
	v_mov_b32_e32 v5, v24
	s_wait_loadcnt_dscnt 0x0
	s_barrier_signal -1
	s_barrier_wait -1
	global_inv scope:SCOPE_SE
	s_and_saveexec_b32 s8, vcc_lo
	s_cbranch_execz .LBB146_6
; %bb.3:                                ;   in Loop: Header=BB146_2 Depth=1
	v_mov_b32_e32 v5, v24
	v_mov_b32_e32 v1, v25
	s_mov_b32 s9, 0
.LBB146_4:                              ;   Parent Loop BB146_2 Depth=1
                                        ; =>  This Inner Loop Header: Depth=2
	s_delay_alu instid0(VALU_DEP_1) | instskip(NEXT) | instid1(VALU_DEP_1)
	v_sub_nc_u32_e32 v2, v1, v5
	v_lshrrev_b32_e32 v2, 1, v2
	s_delay_alu instid0(VALU_DEP_1) | instskip(NEXT) | instid1(VALU_DEP_1)
	v_add_nc_u32_e32 v4, v2, v5
	v_not_b32_e32 v2, v4
	v_lshl_add_u32 v3, v4, 3, v26
	s_delay_alu instid0(VALU_DEP_2)
	v_lshl_add_u32 v6, v2, 3, v70
	ds_load_b64 v[2:3], v3
	ds_load_b64 v[6:7], v6
	s_wait_dscnt 0x0
	v_cmp_lt_i64_e64 s7, v[6:7], v[2:3]
	v_add_nc_u32_e32 v2, 1, v4
	s_wait_alu 0xf1ff
	s_delay_alu instid0(VALU_DEP_2) | instskip(NEXT) | instid1(VALU_DEP_2)
	v_cndmask_b32_e64 v1, v1, v4, s7
	v_cndmask_b32_e64 v5, v2, v5, s7
	s_delay_alu instid0(VALU_DEP_1)
	v_cmp_ge_i32_e64 s7, v5, v1
	s_wait_alu 0xfffe
	s_or_b32 s9, s7, s9
	s_wait_alu 0xfffe
	s_and_not1_b32 exec_lo, exec_lo, s9
	s_cbranch_execnz .LBB146_4
; %bb.5:                                ;   in Loop: Header=BB146_2 Depth=1
	s_or_b32 exec_lo, exec_lo, s9
.LBB146_6:                              ;   in Loop: Header=BB146_2 Depth=1
	s_wait_alu 0xfffe
	s_or_b32 exec_lo, exec_lo, s8
	v_sub_nc_u32_e32 v9, v28, v5
	v_lshl_add_u32 v7, v5, 3, v26
	v_add_nc_u32_e32 v10, v5, v17
                                        ; implicit-def: $vgpr5_vgpr6
	s_delay_alu instid0(VALU_DEP_3) | instskip(SKIP_1) | instid1(VALU_DEP_3)
	v_lshlrev_b32_e32 v11, 3, v9
	v_cmp_gt_i32_e64 s9, v19, v9
	v_cmp_le_i32_e64 s8, v18, v10
	ds_load_b64 v[1:2], v7
	ds_load_b64 v[3:4], v11
	s_wait_dscnt 0x0
	v_cmp_lt_i64_e64 s7, v[3:4], v[1:2]
	s_or_b32 s7, s8, s7
	s_wait_alu 0xfffe
	s_and_b32 s7, s9, s7
	s_wait_alu 0xfffe
	s_xor_b32 s8, s7, -1
	s_wait_alu 0xfffe
	s_and_saveexec_b32 s9, s8
	s_wait_alu 0xfffe
	s_xor_b32 s8, exec_lo, s9
; %bb.7:                                ;   in Loop: Header=BB146_2 Depth=1
	ds_load_b64 v[5:6], v7 offset:8
                                        ; implicit-def: $vgpr11
; %bb.8:                                ;   in Loop: Header=BB146_2 Depth=1
	s_wait_alu 0xfffe
	s_or_saveexec_b32 s8, s8
	v_dual_mov_b32 v8, v4 :: v_dual_mov_b32 v7, v3
	s_wait_alu 0xfffe
	s_xor_b32 exec_lo, exec_lo, s8
	s_cbranch_execz .LBB146_10
; %bb.9:                                ;   in Loop: Header=BB146_2 Depth=1
	ds_load_b64 v[7:8], v11 offset:8
	s_wait_dscnt 0x1
	v_dual_mov_b32 v6, v2 :: v_dual_mov_b32 v5, v1
.LBB146_10:                             ;   in Loop: Header=BB146_2 Depth=1
	s_or_b32 exec_lo, exec_lo, s8
	v_add_nc_u32_e32 v11, 1, v10
	v_add_nc_u32_e32 v12, 1, v9
	s_wait_dscnt 0x0
	v_cmp_lt_i64_e64 s8, v[7:8], v[5:6]
	s_delay_alu instid0(VALU_DEP_3) | instskip(NEXT) | instid1(VALU_DEP_3)
	v_cndmask_b32_e64 v14, v11, v10, s7
	v_cndmask_b32_e64 v13, v9, v12, s7
                                        ; implicit-def: $vgpr9_vgpr10
	s_delay_alu instid0(VALU_DEP_2) | instskip(NEXT) | instid1(VALU_DEP_2)
	v_cmp_ge_i32_e64 s9, v14, v18
	v_cmp_lt_i32_e64 s10, v13, v19
	s_or_b32 s8, s9, s8
	s_wait_alu 0xfffe
	s_and_b32 s8, s10, s8
	s_wait_alu 0xfffe
	s_xor_b32 s9, s8, -1
	s_wait_alu 0xfffe
	s_and_saveexec_b32 s10, s9
	s_delay_alu instid0(SALU_CYCLE_1)
	s_xor_b32 s9, exec_lo, s10
; %bb.11:                               ;   in Loop: Header=BB146_2 Depth=1
	v_lshlrev_b32_e32 v9, 3, v14
	ds_load_b64 v[9:10], v9 offset:8
; %bb.12:                               ;   in Loop: Header=BB146_2 Depth=1
	s_wait_alu 0xfffe
	s_or_saveexec_b32 s9, s9
	v_dual_mov_b32 v12, v8 :: v_dual_mov_b32 v11, v7
	s_wait_alu 0xfffe
	s_xor_b32 exec_lo, exec_lo, s9
	s_cbranch_execz .LBB146_14
; %bb.13:                               ;   in Loop: Header=BB146_2 Depth=1
	s_wait_dscnt 0x0
	v_lshlrev_b32_e32 v9, 3, v13
	ds_load_b64 v[11:12], v9 offset:8
	v_dual_mov_b32 v10, v6 :: v_dual_mov_b32 v9, v5
.LBB146_14:                             ;   in Loop: Header=BB146_2 Depth=1
	s_or_b32 exec_lo, exec_lo, s9
	v_add_nc_u32_e32 v15, 1, v14
	v_add_nc_u32_e32 v16, 1, v13
	s_wait_dscnt 0x0
	v_cmp_lt_i64_e64 s9, v[11:12], v[9:10]
	s_delay_alu instid0(VALU_DEP_3) | instskip(NEXT) | instid1(VALU_DEP_3)
	v_cndmask_b32_e64 v79, v15, v14, s8
	v_cndmask_b32_e64 v78, v13, v16, s8
                                        ; implicit-def: $vgpr13_vgpr14
	s_delay_alu instid0(VALU_DEP_2) | instskip(NEXT) | instid1(VALU_DEP_2)
	v_cmp_ge_i32_e64 s10, v79, v18
	v_cmp_lt_i32_e64 s11, v78, v19
	s_or_b32 s9, s10, s9
	s_wait_alu 0xfffe
	s_and_b32 s9, s11, s9
	s_wait_alu 0xfffe
	s_xor_b32 s10, s9, -1
	s_delay_alu instid0(SALU_CYCLE_1) | instskip(NEXT) | instid1(SALU_CYCLE_1)
	s_and_saveexec_b32 s11, s10
	s_xor_b32 s10, exec_lo, s11
; %bb.15:                               ;   in Loop: Header=BB146_2 Depth=1
	v_lshlrev_b32_e32 v13, 3, v79
	ds_load_b64 v[13:14], v13 offset:8
; %bb.16:                               ;   in Loop: Header=BB146_2 Depth=1
	s_or_saveexec_b32 s10, s10
	v_dual_mov_b32 v16, v12 :: v_dual_mov_b32 v15, v11
	s_xor_b32 exec_lo, exec_lo, s10
	s_cbranch_execz .LBB146_18
; %bb.17:                               ;   in Loop: Header=BB146_2 Depth=1
	s_wait_dscnt 0x0
	v_lshlrev_b32_e32 v13, 3, v78
	ds_load_b64 v[15:16], v13 offset:8
	v_dual_mov_b32 v14, v10 :: v_dual_mov_b32 v13, v9
.LBB146_18:                             ;   in Loop: Header=BB146_2 Depth=1
	s_or_b32 exec_lo, exec_lo, s10
	v_add_nc_u32_e32 v80, 1, v79
	v_add_nc_u32_e32 v81, 1, v78
	v_cndmask_b32_e64 v9, v9, v11, s9
	v_cndmask_b32_e64 v7, v5, v7, s8
	v_mov_b32_e32 v5, v31
	v_cndmask_b32_e64 v11, v80, v79, s9
	v_cndmask_b32_e64 v8, v6, v8, s8
	v_cndmask_b32_e64 v6, v78, v81, s9
	s_wait_dscnt 0x0
	v_cmp_lt_i64_e64 s8, v[15:16], v[13:14]
	v_cndmask_b32_e64 v10, v10, v12, s9
	v_cmp_ge_i32_e64 s9, v11, v18
	v_cndmask_b32_e64 v2, v2, v4, s7
	v_cmp_lt_i32_e64 s10, v6, v19
	v_cndmask_b32_e64 v1, v1, v3, s7
	s_wait_loadcnt 0x0
	s_or_b32 s7, s9, s8
	s_barrier_signal -1
	s_wait_alu 0xfffe
	s_and_b32 s7, s10, s7
	s_barrier_wait -1
	s_wait_alu 0xfffe
	v_cndmask_b32_e64 v4, v14, v16, s7
	v_cndmask_b32_e64 v3, v13, v15, s7
	global_inv scope:SCOPE_SE
	ds_store_2addr_b64 v21, v[1:2], v[7:8] offset1:1
	ds_store_2addr_b64 v21, v[9:10], v[3:4] offset0:2 offset1:3
	s_wait_loadcnt_dscnt 0x0
	s_barrier_signal -1
	s_barrier_wait -1
	global_inv scope:SCOPE_SE
	s_and_saveexec_b32 s8, s0
	s_cbranch_execz .LBB146_22
; %bb.19:                               ;   in Loop: Header=BB146_2 Depth=1
	v_mov_b32_e32 v5, v31
	v_mov_b32_e32 v1, v32
	s_mov_b32 s9, 0
.LBB146_20:                             ;   Parent Loop BB146_2 Depth=1
                                        ; =>  This Inner Loop Header: Depth=2
	s_delay_alu instid0(VALU_DEP_1) | instskip(NEXT) | instid1(VALU_DEP_1)
	v_sub_nc_u32_e32 v2, v1, v5
	v_lshrrev_b32_e32 v2, 1, v2
	s_delay_alu instid0(VALU_DEP_1) | instskip(NEXT) | instid1(VALU_DEP_1)
	v_add_nc_u32_e32 v4, v2, v5
	v_not_b32_e32 v2, v4
	v_lshl_add_u32 v3, v4, 3, v33
	s_delay_alu instid0(VALU_DEP_2)
	v_lshl_add_u32 v6, v2, 3, v71
	ds_load_b64 v[2:3], v3
	ds_load_b64 v[6:7], v6
	s_wait_dscnt 0x0
	v_cmp_lt_i64_e64 s7, v[6:7], v[2:3]
	v_add_nc_u32_e32 v2, 1, v4
	s_wait_alu 0xf1ff
	s_delay_alu instid0(VALU_DEP_2) | instskip(NEXT) | instid1(VALU_DEP_2)
	v_cndmask_b32_e64 v1, v1, v4, s7
	v_cndmask_b32_e64 v5, v2, v5, s7
	s_delay_alu instid0(VALU_DEP_1)
	v_cmp_ge_i32_e64 s7, v5, v1
	s_wait_alu 0xfffe
	s_or_b32 s9, s7, s9
	s_wait_alu 0xfffe
	s_and_not1_b32 exec_lo, exec_lo, s9
	s_cbranch_execnz .LBB146_20
; %bb.21:                               ;   in Loop: Header=BB146_2 Depth=1
	s_or_b32 exec_lo, exec_lo, s9
.LBB146_22:                             ;   in Loop: Header=BB146_2 Depth=1
	s_wait_alu 0xfffe
	s_or_b32 exec_lo, exec_lo, s8
	v_sub_nc_u32_e32 v9, v35, v5
	v_lshl_add_u32 v7, v5, 3, v33
	v_add_nc_u32_e32 v10, v5, v20
                                        ; implicit-def: $vgpr5_vgpr6
	s_delay_alu instid0(VALU_DEP_3) | instskip(SKIP_1) | instid1(VALU_DEP_3)
	v_lshlrev_b32_e32 v11, 3, v9
	v_cmp_gt_i32_e64 s9, v23, v9
	v_cmp_le_i32_e64 s8, v22, v10
	ds_load_b64 v[1:2], v7
	ds_load_b64 v[3:4], v11
	s_wait_dscnt 0x0
	v_cmp_lt_i64_e64 s7, v[3:4], v[1:2]
	s_or_b32 s7, s8, s7
	s_wait_alu 0xfffe
	s_and_b32 s7, s9, s7
	s_wait_alu 0xfffe
	s_xor_b32 s8, s7, -1
	s_wait_alu 0xfffe
	s_and_saveexec_b32 s9, s8
	s_wait_alu 0xfffe
	s_xor_b32 s8, exec_lo, s9
; %bb.23:                               ;   in Loop: Header=BB146_2 Depth=1
	ds_load_b64 v[5:6], v7 offset:8
                                        ; implicit-def: $vgpr11
; %bb.24:                               ;   in Loop: Header=BB146_2 Depth=1
	s_wait_alu 0xfffe
	s_or_saveexec_b32 s8, s8
	v_dual_mov_b32 v8, v4 :: v_dual_mov_b32 v7, v3
	s_wait_alu 0xfffe
	s_xor_b32 exec_lo, exec_lo, s8
	s_cbranch_execz .LBB146_26
; %bb.25:                               ;   in Loop: Header=BB146_2 Depth=1
	ds_load_b64 v[7:8], v11 offset:8
	s_wait_dscnt 0x1
	v_dual_mov_b32 v6, v2 :: v_dual_mov_b32 v5, v1
.LBB146_26:                             ;   in Loop: Header=BB146_2 Depth=1
	s_or_b32 exec_lo, exec_lo, s8
	v_add_nc_u32_e32 v11, 1, v10
	v_add_nc_u32_e32 v12, 1, v9
	s_wait_dscnt 0x0
	v_cmp_lt_i64_e64 s8, v[7:8], v[5:6]
	s_delay_alu instid0(VALU_DEP_3) | instskip(NEXT) | instid1(VALU_DEP_3)
	v_cndmask_b32_e64 v14, v11, v10, s7
	v_cndmask_b32_e64 v13, v9, v12, s7
                                        ; implicit-def: $vgpr9_vgpr10
	s_delay_alu instid0(VALU_DEP_2) | instskip(NEXT) | instid1(VALU_DEP_2)
	v_cmp_ge_i32_e64 s9, v14, v22
	v_cmp_lt_i32_e64 s10, v13, v23
	s_or_b32 s8, s9, s8
	s_wait_alu 0xfffe
	s_and_b32 s8, s10, s8
	s_wait_alu 0xfffe
	s_xor_b32 s9, s8, -1
	s_wait_alu 0xfffe
	s_and_saveexec_b32 s10, s9
	s_delay_alu instid0(SALU_CYCLE_1)
	s_xor_b32 s9, exec_lo, s10
; %bb.27:                               ;   in Loop: Header=BB146_2 Depth=1
	v_lshlrev_b32_e32 v9, 3, v14
	ds_load_b64 v[9:10], v9 offset:8
; %bb.28:                               ;   in Loop: Header=BB146_2 Depth=1
	s_wait_alu 0xfffe
	s_or_saveexec_b32 s9, s9
	v_dual_mov_b32 v12, v8 :: v_dual_mov_b32 v11, v7
	s_wait_alu 0xfffe
	s_xor_b32 exec_lo, exec_lo, s9
	s_cbranch_execz .LBB146_30
; %bb.29:                               ;   in Loop: Header=BB146_2 Depth=1
	s_wait_dscnt 0x0
	v_lshlrev_b32_e32 v9, 3, v13
	ds_load_b64 v[11:12], v9 offset:8
	v_dual_mov_b32 v10, v6 :: v_dual_mov_b32 v9, v5
.LBB146_30:                             ;   in Loop: Header=BB146_2 Depth=1
	s_or_b32 exec_lo, exec_lo, s9
	v_add_nc_u32_e32 v15, 1, v14
	v_add_nc_u32_e32 v16, 1, v13
	s_wait_dscnt 0x0
	v_cmp_lt_i64_e64 s9, v[11:12], v[9:10]
	s_delay_alu instid0(VALU_DEP_3) | instskip(NEXT) | instid1(VALU_DEP_3)
	v_cndmask_b32_e64 v79, v15, v14, s8
	v_cndmask_b32_e64 v78, v13, v16, s8
                                        ; implicit-def: $vgpr13_vgpr14
	s_delay_alu instid0(VALU_DEP_2) | instskip(NEXT) | instid1(VALU_DEP_2)
	v_cmp_ge_i32_e64 s10, v79, v22
	v_cmp_lt_i32_e64 s11, v78, v23
	s_or_b32 s9, s10, s9
	s_wait_alu 0xfffe
	s_and_b32 s9, s11, s9
	s_wait_alu 0xfffe
	s_xor_b32 s10, s9, -1
	s_delay_alu instid0(SALU_CYCLE_1) | instskip(NEXT) | instid1(SALU_CYCLE_1)
	s_and_saveexec_b32 s11, s10
	s_xor_b32 s10, exec_lo, s11
; %bb.31:                               ;   in Loop: Header=BB146_2 Depth=1
	v_lshlrev_b32_e32 v13, 3, v79
	ds_load_b64 v[13:14], v13 offset:8
; %bb.32:                               ;   in Loop: Header=BB146_2 Depth=1
	s_or_saveexec_b32 s10, s10
	v_dual_mov_b32 v16, v12 :: v_dual_mov_b32 v15, v11
	s_xor_b32 exec_lo, exec_lo, s10
	s_cbranch_execz .LBB146_34
; %bb.33:                               ;   in Loop: Header=BB146_2 Depth=1
	s_wait_dscnt 0x0
	v_lshlrev_b32_e32 v13, 3, v78
	ds_load_b64 v[15:16], v13 offset:8
	v_dual_mov_b32 v14, v10 :: v_dual_mov_b32 v13, v9
.LBB146_34:                             ;   in Loop: Header=BB146_2 Depth=1
	s_or_b32 exec_lo, exec_lo, s10
	v_add_nc_u32_e32 v80, 1, v79
	v_add_nc_u32_e32 v81, 1, v78
	v_cndmask_b32_e64 v9, v9, v11, s9
	v_cndmask_b32_e64 v7, v5, v7, s8
	v_mov_b32_e32 v5, v38
	v_cndmask_b32_e64 v11, v80, v79, s9
	v_cndmask_b32_e64 v8, v6, v8, s8
	;; [unrolled: 1-line block ×3, first 2 shown]
	s_wait_dscnt 0x0
	v_cmp_lt_i64_e64 s8, v[15:16], v[13:14]
	v_cndmask_b32_e64 v10, v10, v12, s9
	v_cmp_ge_i32_e64 s9, v11, v22
	v_cndmask_b32_e64 v2, v2, v4, s7
	v_cmp_lt_i32_e64 s10, v6, v23
	v_cndmask_b32_e64 v1, v1, v3, s7
	s_wait_loadcnt 0x0
	s_or_b32 s7, s9, s8
	s_barrier_signal -1
	s_wait_alu 0xfffe
	s_and_b32 s7, s10, s7
	s_barrier_wait -1
	s_wait_alu 0xfffe
	v_cndmask_b32_e64 v4, v14, v16, s7
	v_cndmask_b32_e64 v3, v13, v15, s7
	global_inv scope:SCOPE_SE
	ds_store_2addr_b64 v21, v[1:2], v[7:8] offset1:1
	ds_store_2addr_b64 v21, v[9:10], v[3:4] offset0:2 offset1:3
	s_wait_loadcnt_dscnt 0x0
	s_barrier_signal -1
	s_barrier_wait -1
	global_inv scope:SCOPE_SE
	s_and_saveexec_b32 s8, s1
	s_cbranch_execz .LBB146_38
; %bb.35:                               ;   in Loop: Header=BB146_2 Depth=1
	v_mov_b32_e32 v5, v38
	v_mov_b32_e32 v1, v39
	s_mov_b32 s9, 0
.LBB146_36:                             ;   Parent Loop BB146_2 Depth=1
                                        ; =>  This Inner Loop Header: Depth=2
	s_delay_alu instid0(VALU_DEP_1) | instskip(NEXT) | instid1(VALU_DEP_1)
	v_sub_nc_u32_e32 v2, v1, v5
	v_lshrrev_b32_e32 v2, 1, v2
	s_delay_alu instid0(VALU_DEP_1) | instskip(NEXT) | instid1(VALU_DEP_1)
	v_add_nc_u32_e32 v4, v2, v5
	v_not_b32_e32 v2, v4
	v_lshl_add_u32 v3, v4, 3, v40
	s_delay_alu instid0(VALU_DEP_2)
	v_lshl_add_u32 v6, v2, 3, v72
	ds_load_b64 v[2:3], v3
	ds_load_b64 v[6:7], v6
	s_wait_dscnt 0x0
	v_cmp_lt_i64_e64 s7, v[6:7], v[2:3]
	v_add_nc_u32_e32 v2, 1, v4
	s_wait_alu 0xf1ff
	s_delay_alu instid0(VALU_DEP_2) | instskip(NEXT) | instid1(VALU_DEP_2)
	v_cndmask_b32_e64 v1, v1, v4, s7
	v_cndmask_b32_e64 v5, v2, v5, s7
	s_delay_alu instid0(VALU_DEP_1)
	v_cmp_ge_i32_e64 s7, v5, v1
	s_wait_alu 0xfffe
	s_or_b32 s9, s7, s9
	s_wait_alu 0xfffe
	s_and_not1_b32 exec_lo, exec_lo, s9
	s_cbranch_execnz .LBB146_36
; %bb.37:                               ;   in Loop: Header=BB146_2 Depth=1
	s_or_b32 exec_lo, exec_lo, s9
.LBB146_38:                             ;   in Loop: Header=BB146_2 Depth=1
	s_wait_alu 0xfffe
	s_or_b32 exec_lo, exec_lo, s8
	v_sub_nc_u32_e32 v9, v42, v5
	v_lshl_add_u32 v7, v5, 3, v40
	v_add_nc_u32_e32 v10, v5, v27
                                        ; implicit-def: $vgpr5_vgpr6
	s_delay_alu instid0(VALU_DEP_3) | instskip(SKIP_1) | instid1(VALU_DEP_3)
	v_lshlrev_b32_e32 v11, 3, v9
	v_cmp_gt_i32_e64 s9, v30, v9
	v_cmp_le_i32_e64 s8, v29, v10
	ds_load_b64 v[1:2], v7
	ds_load_b64 v[3:4], v11
	s_wait_dscnt 0x0
	v_cmp_lt_i64_e64 s7, v[3:4], v[1:2]
	s_or_b32 s7, s8, s7
	s_wait_alu 0xfffe
	s_and_b32 s7, s9, s7
	s_wait_alu 0xfffe
	s_xor_b32 s8, s7, -1
	s_wait_alu 0xfffe
	s_and_saveexec_b32 s9, s8
	s_wait_alu 0xfffe
	s_xor_b32 s8, exec_lo, s9
; %bb.39:                               ;   in Loop: Header=BB146_2 Depth=1
	ds_load_b64 v[5:6], v7 offset:8
                                        ; implicit-def: $vgpr11
; %bb.40:                               ;   in Loop: Header=BB146_2 Depth=1
	s_wait_alu 0xfffe
	s_or_saveexec_b32 s8, s8
	v_dual_mov_b32 v8, v4 :: v_dual_mov_b32 v7, v3
	s_wait_alu 0xfffe
	s_xor_b32 exec_lo, exec_lo, s8
	s_cbranch_execz .LBB146_42
; %bb.41:                               ;   in Loop: Header=BB146_2 Depth=1
	ds_load_b64 v[7:8], v11 offset:8
	s_wait_dscnt 0x1
	v_dual_mov_b32 v6, v2 :: v_dual_mov_b32 v5, v1
.LBB146_42:                             ;   in Loop: Header=BB146_2 Depth=1
	s_or_b32 exec_lo, exec_lo, s8
	v_add_nc_u32_e32 v11, 1, v10
	v_add_nc_u32_e32 v12, 1, v9
	s_wait_dscnt 0x0
	v_cmp_lt_i64_e64 s8, v[7:8], v[5:6]
	s_delay_alu instid0(VALU_DEP_3) | instskip(NEXT) | instid1(VALU_DEP_3)
	v_cndmask_b32_e64 v14, v11, v10, s7
	v_cndmask_b32_e64 v13, v9, v12, s7
                                        ; implicit-def: $vgpr9_vgpr10
	s_delay_alu instid0(VALU_DEP_2) | instskip(NEXT) | instid1(VALU_DEP_2)
	v_cmp_ge_i32_e64 s9, v14, v29
	v_cmp_lt_i32_e64 s10, v13, v30
	s_or_b32 s8, s9, s8
	s_wait_alu 0xfffe
	s_and_b32 s8, s10, s8
	s_wait_alu 0xfffe
	s_xor_b32 s9, s8, -1
	s_wait_alu 0xfffe
	s_and_saveexec_b32 s10, s9
	s_delay_alu instid0(SALU_CYCLE_1)
	s_xor_b32 s9, exec_lo, s10
; %bb.43:                               ;   in Loop: Header=BB146_2 Depth=1
	v_lshlrev_b32_e32 v9, 3, v14
	ds_load_b64 v[9:10], v9 offset:8
; %bb.44:                               ;   in Loop: Header=BB146_2 Depth=1
	s_wait_alu 0xfffe
	s_or_saveexec_b32 s9, s9
	v_dual_mov_b32 v12, v8 :: v_dual_mov_b32 v11, v7
	s_wait_alu 0xfffe
	s_xor_b32 exec_lo, exec_lo, s9
	s_cbranch_execz .LBB146_46
; %bb.45:                               ;   in Loop: Header=BB146_2 Depth=1
	s_wait_dscnt 0x0
	v_lshlrev_b32_e32 v9, 3, v13
	ds_load_b64 v[11:12], v9 offset:8
	v_dual_mov_b32 v10, v6 :: v_dual_mov_b32 v9, v5
.LBB146_46:                             ;   in Loop: Header=BB146_2 Depth=1
	s_or_b32 exec_lo, exec_lo, s9
	v_add_nc_u32_e32 v15, 1, v14
	v_add_nc_u32_e32 v16, 1, v13
	s_wait_dscnt 0x0
	v_cmp_lt_i64_e64 s9, v[11:12], v[9:10]
	s_delay_alu instid0(VALU_DEP_3) | instskip(NEXT) | instid1(VALU_DEP_3)
	v_cndmask_b32_e64 v79, v15, v14, s8
	v_cndmask_b32_e64 v78, v13, v16, s8
                                        ; implicit-def: $vgpr13_vgpr14
	s_delay_alu instid0(VALU_DEP_2) | instskip(NEXT) | instid1(VALU_DEP_2)
	v_cmp_ge_i32_e64 s10, v79, v29
	v_cmp_lt_i32_e64 s11, v78, v30
	s_or_b32 s9, s10, s9
	s_wait_alu 0xfffe
	s_and_b32 s9, s11, s9
	s_wait_alu 0xfffe
	s_xor_b32 s10, s9, -1
	s_delay_alu instid0(SALU_CYCLE_1) | instskip(NEXT) | instid1(SALU_CYCLE_1)
	s_and_saveexec_b32 s11, s10
	s_xor_b32 s10, exec_lo, s11
; %bb.47:                               ;   in Loop: Header=BB146_2 Depth=1
	v_lshlrev_b32_e32 v13, 3, v79
	ds_load_b64 v[13:14], v13 offset:8
; %bb.48:                               ;   in Loop: Header=BB146_2 Depth=1
	s_or_saveexec_b32 s10, s10
	v_dual_mov_b32 v16, v12 :: v_dual_mov_b32 v15, v11
	s_xor_b32 exec_lo, exec_lo, s10
	s_cbranch_execz .LBB146_50
; %bb.49:                               ;   in Loop: Header=BB146_2 Depth=1
	s_wait_dscnt 0x0
	v_lshlrev_b32_e32 v13, 3, v78
	ds_load_b64 v[15:16], v13 offset:8
	v_dual_mov_b32 v14, v10 :: v_dual_mov_b32 v13, v9
.LBB146_50:                             ;   in Loop: Header=BB146_2 Depth=1
	s_or_b32 exec_lo, exec_lo, s10
	v_add_nc_u32_e32 v80, 1, v79
	v_add_nc_u32_e32 v81, 1, v78
	v_cndmask_b32_e64 v9, v9, v11, s9
	v_cndmask_b32_e64 v7, v5, v7, s8
	v_mov_b32_e32 v5, v45
	v_cndmask_b32_e64 v11, v80, v79, s9
	v_cndmask_b32_e64 v8, v6, v8, s8
	;; [unrolled: 1-line block ×3, first 2 shown]
	s_wait_dscnt 0x0
	v_cmp_lt_i64_e64 s8, v[15:16], v[13:14]
	v_cndmask_b32_e64 v10, v10, v12, s9
	v_cmp_ge_i32_e64 s9, v11, v29
	v_cndmask_b32_e64 v2, v2, v4, s7
	v_cmp_lt_i32_e64 s10, v6, v30
	v_cndmask_b32_e64 v1, v1, v3, s7
	s_wait_loadcnt 0x0
	s_or_b32 s7, s9, s8
	s_barrier_signal -1
	s_wait_alu 0xfffe
	s_and_b32 s7, s10, s7
	s_barrier_wait -1
	s_wait_alu 0xfffe
	v_cndmask_b32_e64 v4, v14, v16, s7
	v_cndmask_b32_e64 v3, v13, v15, s7
	global_inv scope:SCOPE_SE
	ds_store_2addr_b64 v21, v[1:2], v[7:8] offset1:1
	ds_store_2addr_b64 v21, v[9:10], v[3:4] offset0:2 offset1:3
	s_wait_loadcnt_dscnt 0x0
	s_barrier_signal -1
	s_barrier_wait -1
	global_inv scope:SCOPE_SE
	s_and_saveexec_b32 s8, s2
	s_cbranch_execz .LBB146_54
; %bb.51:                               ;   in Loop: Header=BB146_2 Depth=1
	v_mov_b32_e32 v5, v45
	v_mov_b32_e32 v1, v46
	s_mov_b32 s9, 0
.LBB146_52:                             ;   Parent Loop BB146_2 Depth=1
                                        ; =>  This Inner Loop Header: Depth=2
	s_delay_alu instid0(VALU_DEP_1) | instskip(NEXT) | instid1(VALU_DEP_1)
	v_sub_nc_u32_e32 v2, v1, v5
	v_lshrrev_b32_e32 v2, 1, v2
	s_delay_alu instid0(VALU_DEP_1) | instskip(NEXT) | instid1(VALU_DEP_1)
	v_add_nc_u32_e32 v4, v2, v5
	v_not_b32_e32 v2, v4
	v_lshl_add_u32 v3, v4, 3, v47
	s_delay_alu instid0(VALU_DEP_2)
	v_lshl_add_u32 v6, v2, 3, v73
	ds_load_b64 v[2:3], v3
	ds_load_b64 v[6:7], v6
	s_wait_dscnt 0x0
	v_cmp_lt_i64_e64 s7, v[6:7], v[2:3]
	v_add_nc_u32_e32 v2, 1, v4
	s_wait_alu 0xf1ff
	s_delay_alu instid0(VALU_DEP_2) | instskip(NEXT) | instid1(VALU_DEP_2)
	v_cndmask_b32_e64 v1, v1, v4, s7
	v_cndmask_b32_e64 v5, v2, v5, s7
	s_delay_alu instid0(VALU_DEP_1)
	v_cmp_ge_i32_e64 s7, v5, v1
	s_wait_alu 0xfffe
	s_or_b32 s9, s7, s9
	s_wait_alu 0xfffe
	s_and_not1_b32 exec_lo, exec_lo, s9
	s_cbranch_execnz .LBB146_52
; %bb.53:                               ;   in Loop: Header=BB146_2 Depth=1
	s_or_b32 exec_lo, exec_lo, s9
.LBB146_54:                             ;   in Loop: Header=BB146_2 Depth=1
	s_wait_alu 0xfffe
	s_or_b32 exec_lo, exec_lo, s8
	v_sub_nc_u32_e32 v9, v49, v5
	v_lshl_add_u32 v7, v5, 3, v47
	v_add_nc_u32_e32 v10, v5, v34
                                        ; implicit-def: $vgpr5_vgpr6
	s_delay_alu instid0(VALU_DEP_3) | instskip(SKIP_1) | instid1(VALU_DEP_3)
	v_lshlrev_b32_e32 v11, 3, v9
	v_cmp_gt_i32_e64 s9, v37, v9
	v_cmp_le_i32_e64 s8, v36, v10
	ds_load_b64 v[1:2], v7
	ds_load_b64 v[3:4], v11
	s_wait_dscnt 0x0
	v_cmp_lt_i64_e64 s7, v[3:4], v[1:2]
	s_or_b32 s7, s8, s7
	s_wait_alu 0xfffe
	s_and_b32 s7, s9, s7
	s_wait_alu 0xfffe
	s_xor_b32 s8, s7, -1
	s_wait_alu 0xfffe
	s_and_saveexec_b32 s9, s8
	s_wait_alu 0xfffe
	s_xor_b32 s8, exec_lo, s9
; %bb.55:                               ;   in Loop: Header=BB146_2 Depth=1
	ds_load_b64 v[5:6], v7 offset:8
                                        ; implicit-def: $vgpr11
; %bb.56:                               ;   in Loop: Header=BB146_2 Depth=1
	s_wait_alu 0xfffe
	s_or_saveexec_b32 s8, s8
	v_dual_mov_b32 v8, v4 :: v_dual_mov_b32 v7, v3
	s_wait_alu 0xfffe
	s_xor_b32 exec_lo, exec_lo, s8
	s_cbranch_execz .LBB146_58
; %bb.57:                               ;   in Loop: Header=BB146_2 Depth=1
	ds_load_b64 v[7:8], v11 offset:8
	s_wait_dscnt 0x1
	v_dual_mov_b32 v6, v2 :: v_dual_mov_b32 v5, v1
.LBB146_58:                             ;   in Loop: Header=BB146_2 Depth=1
	s_or_b32 exec_lo, exec_lo, s8
	v_add_nc_u32_e32 v11, 1, v10
	v_add_nc_u32_e32 v12, 1, v9
	s_wait_dscnt 0x0
	v_cmp_lt_i64_e64 s8, v[7:8], v[5:6]
	s_delay_alu instid0(VALU_DEP_3) | instskip(NEXT) | instid1(VALU_DEP_3)
	v_cndmask_b32_e64 v14, v11, v10, s7
	v_cndmask_b32_e64 v13, v9, v12, s7
                                        ; implicit-def: $vgpr9_vgpr10
	s_delay_alu instid0(VALU_DEP_2) | instskip(NEXT) | instid1(VALU_DEP_2)
	v_cmp_ge_i32_e64 s9, v14, v36
	v_cmp_lt_i32_e64 s10, v13, v37
	s_or_b32 s8, s9, s8
	s_wait_alu 0xfffe
	s_and_b32 s8, s10, s8
	s_wait_alu 0xfffe
	s_xor_b32 s9, s8, -1
	s_wait_alu 0xfffe
	s_and_saveexec_b32 s10, s9
	s_delay_alu instid0(SALU_CYCLE_1)
	s_xor_b32 s9, exec_lo, s10
; %bb.59:                               ;   in Loop: Header=BB146_2 Depth=1
	v_lshlrev_b32_e32 v9, 3, v14
	ds_load_b64 v[9:10], v9 offset:8
; %bb.60:                               ;   in Loop: Header=BB146_2 Depth=1
	s_wait_alu 0xfffe
	s_or_saveexec_b32 s9, s9
	v_dual_mov_b32 v12, v8 :: v_dual_mov_b32 v11, v7
	s_wait_alu 0xfffe
	s_xor_b32 exec_lo, exec_lo, s9
	s_cbranch_execz .LBB146_62
; %bb.61:                               ;   in Loop: Header=BB146_2 Depth=1
	s_wait_dscnt 0x0
	v_lshlrev_b32_e32 v9, 3, v13
	ds_load_b64 v[11:12], v9 offset:8
	v_dual_mov_b32 v10, v6 :: v_dual_mov_b32 v9, v5
.LBB146_62:                             ;   in Loop: Header=BB146_2 Depth=1
	s_or_b32 exec_lo, exec_lo, s9
	v_add_nc_u32_e32 v15, 1, v14
	v_add_nc_u32_e32 v16, 1, v13
	s_wait_dscnt 0x0
	v_cmp_lt_i64_e64 s9, v[11:12], v[9:10]
	s_delay_alu instid0(VALU_DEP_3) | instskip(NEXT) | instid1(VALU_DEP_3)
	v_cndmask_b32_e64 v79, v15, v14, s8
	v_cndmask_b32_e64 v78, v13, v16, s8
                                        ; implicit-def: $vgpr13_vgpr14
	s_delay_alu instid0(VALU_DEP_2) | instskip(NEXT) | instid1(VALU_DEP_2)
	v_cmp_ge_i32_e64 s10, v79, v36
	v_cmp_lt_i32_e64 s11, v78, v37
	s_or_b32 s9, s10, s9
	s_wait_alu 0xfffe
	s_and_b32 s9, s11, s9
	s_wait_alu 0xfffe
	s_xor_b32 s10, s9, -1
	s_delay_alu instid0(SALU_CYCLE_1) | instskip(NEXT) | instid1(SALU_CYCLE_1)
	s_and_saveexec_b32 s11, s10
	s_xor_b32 s10, exec_lo, s11
; %bb.63:                               ;   in Loop: Header=BB146_2 Depth=1
	v_lshlrev_b32_e32 v13, 3, v79
	ds_load_b64 v[13:14], v13 offset:8
; %bb.64:                               ;   in Loop: Header=BB146_2 Depth=1
	s_or_saveexec_b32 s10, s10
	v_dual_mov_b32 v16, v12 :: v_dual_mov_b32 v15, v11
	s_xor_b32 exec_lo, exec_lo, s10
	s_cbranch_execz .LBB146_66
; %bb.65:                               ;   in Loop: Header=BB146_2 Depth=1
	s_wait_dscnt 0x0
	v_lshlrev_b32_e32 v13, 3, v78
	ds_load_b64 v[15:16], v13 offset:8
	v_dual_mov_b32 v14, v10 :: v_dual_mov_b32 v13, v9
.LBB146_66:                             ;   in Loop: Header=BB146_2 Depth=1
	s_or_b32 exec_lo, exec_lo, s10
	v_add_nc_u32_e32 v80, 1, v79
	v_add_nc_u32_e32 v81, 1, v78
	v_cndmask_b32_e64 v9, v9, v11, s9
	v_cndmask_b32_e64 v7, v5, v7, s8
	v_mov_b32_e32 v5, v52
	v_cndmask_b32_e64 v11, v80, v79, s9
	v_cndmask_b32_e64 v8, v6, v8, s8
	;; [unrolled: 1-line block ×3, first 2 shown]
	s_wait_dscnt 0x0
	v_cmp_lt_i64_e64 s8, v[15:16], v[13:14]
	v_cndmask_b32_e64 v10, v10, v12, s9
	v_cmp_ge_i32_e64 s9, v11, v36
	v_cndmask_b32_e64 v2, v2, v4, s7
	v_cmp_lt_i32_e64 s10, v6, v37
	v_cndmask_b32_e64 v1, v1, v3, s7
	s_wait_loadcnt 0x0
	s_or_b32 s7, s9, s8
	s_barrier_signal -1
	s_wait_alu 0xfffe
	s_and_b32 s7, s10, s7
	s_barrier_wait -1
	s_wait_alu 0xfffe
	v_cndmask_b32_e64 v4, v14, v16, s7
	v_cndmask_b32_e64 v3, v13, v15, s7
	global_inv scope:SCOPE_SE
	ds_store_2addr_b64 v21, v[1:2], v[7:8] offset1:1
	ds_store_2addr_b64 v21, v[9:10], v[3:4] offset0:2 offset1:3
	s_wait_loadcnt_dscnt 0x0
	s_barrier_signal -1
	s_barrier_wait -1
	global_inv scope:SCOPE_SE
	s_and_saveexec_b32 s8, s3
	s_cbranch_execz .LBB146_70
; %bb.67:                               ;   in Loop: Header=BB146_2 Depth=1
	v_mov_b32_e32 v5, v52
	v_mov_b32_e32 v1, v54
	s_mov_b32 s9, 0
.LBB146_68:                             ;   Parent Loop BB146_2 Depth=1
                                        ; =>  This Inner Loop Header: Depth=2
	s_delay_alu instid0(VALU_DEP_1) | instskip(NEXT) | instid1(VALU_DEP_1)
	v_sub_nc_u32_e32 v2, v1, v5
	v_lshrrev_b32_e32 v2, 1, v2
	s_delay_alu instid0(VALU_DEP_1) | instskip(NEXT) | instid1(VALU_DEP_1)
	v_add_nc_u32_e32 v4, v2, v5
	v_not_b32_e32 v2, v4
	v_lshl_add_u32 v3, v4, 3, v55
	s_delay_alu instid0(VALU_DEP_2)
	v_lshl_add_u32 v6, v2, 3, v74
	ds_load_b64 v[2:3], v3
	ds_load_b64 v[6:7], v6
	s_wait_dscnt 0x0
	v_cmp_lt_i64_e64 s7, v[6:7], v[2:3]
	v_add_nc_u32_e32 v2, 1, v4
	s_wait_alu 0xf1ff
	s_delay_alu instid0(VALU_DEP_2) | instskip(NEXT) | instid1(VALU_DEP_2)
	v_cndmask_b32_e64 v1, v1, v4, s7
	v_cndmask_b32_e64 v5, v2, v5, s7
	s_delay_alu instid0(VALU_DEP_1)
	v_cmp_ge_i32_e64 s7, v5, v1
	s_wait_alu 0xfffe
	s_or_b32 s9, s7, s9
	s_wait_alu 0xfffe
	s_and_not1_b32 exec_lo, exec_lo, s9
	s_cbranch_execnz .LBB146_68
; %bb.69:                               ;   in Loop: Header=BB146_2 Depth=1
	s_or_b32 exec_lo, exec_lo, s9
.LBB146_70:                             ;   in Loop: Header=BB146_2 Depth=1
	s_wait_alu 0xfffe
	s_or_b32 exec_lo, exec_lo, s8
	v_sub_nc_u32_e32 v9, v60, v5
	v_lshl_add_u32 v7, v5, 3, v55
	v_add_nc_u32_e32 v10, v5, v41
                                        ; implicit-def: $vgpr5_vgpr6
	s_delay_alu instid0(VALU_DEP_3) | instskip(SKIP_1) | instid1(VALU_DEP_3)
	v_lshlrev_b32_e32 v11, 3, v9
	v_cmp_gt_i32_e64 s9, v44, v9
	v_cmp_le_i32_e64 s8, v43, v10
	ds_load_b64 v[1:2], v7
	ds_load_b64 v[3:4], v11
	s_wait_dscnt 0x0
	v_cmp_lt_i64_e64 s7, v[3:4], v[1:2]
	s_or_b32 s7, s8, s7
	s_wait_alu 0xfffe
	s_and_b32 s7, s9, s7
	s_wait_alu 0xfffe
	s_xor_b32 s8, s7, -1
	s_wait_alu 0xfffe
	s_and_saveexec_b32 s9, s8
	s_wait_alu 0xfffe
	s_xor_b32 s8, exec_lo, s9
; %bb.71:                               ;   in Loop: Header=BB146_2 Depth=1
	ds_load_b64 v[5:6], v7 offset:8
                                        ; implicit-def: $vgpr11
; %bb.72:                               ;   in Loop: Header=BB146_2 Depth=1
	s_wait_alu 0xfffe
	s_or_saveexec_b32 s8, s8
	v_dual_mov_b32 v8, v4 :: v_dual_mov_b32 v7, v3
	s_wait_alu 0xfffe
	s_xor_b32 exec_lo, exec_lo, s8
	s_cbranch_execz .LBB146_74
; %bb.73:                               ;   in Loop: Header=BB146_2 Depth=1
	ds_load_b64 v[7:8], v11 offset:8
	s_wait_dscnt 0x1
	v_dual_mov_b32 v6, v2 :: v_dual_mov_b32 v5, v1
.LBB146_74:                             ;   in Loop: Header=BB146_2 Depth=1
	s_or_b32 exec_lo, exec_lo, s8
	v_add_nc_u32_e32 v11, 1, v10
	v_add_nc_u32_e32 v12, 1, v9
	s_wait_dscnt 0x0
	v_cmp_lt_i64_e64 s8, v[7:8], v[5:6]
	s_delay_alu instid0(VALU_DEP_3) | instskip(NEXT) | instid1(VALU_DEP_3)
	v_cndmask_b32_e64 v14, v11, v10, s7
	v_cndmask_b32_e64 v13, v9, v12, s7
                                        ; implicit-def: $vgpr9_vgpr10
	s_delay_alu instid0(VALU_DEP_2) | instskip(NEXT) | instid1(VALU_DEP_2)
	v_cmp_ge_i32_e64 s9, v14, v43
	v_cmp_lt_i32_e64 s10, v13, v44
	s_or_b32 s8, s9, s8
	s_wait_alu 0xfffe
	s_and_b32 s8, s10, s8
	s_wait_alu 0xfffe
	s_xor_b32 s9, s8, -1
	s_wait_alu 0xfffe
	s_and_saveexec_b32 s10, s9
	s_delay_alu instid0(SALU_CYCLE_1)
	s_xor_b32 s9, exec_lo, s10
; %bb.75:                               ;   in Loop: Header=BB146_2 Depth=1
	v_lshlrev_b32_e32 v9, 3, v14
	ds_load_b64 v[9:10], v9 offset:8
; %bb.76:                               ;   in Loop: Header=BB146_2 Depth=1
	s_wait_alu 0xfffe
	s_or_saveexec_b32 s9, s9
	v_dual_mov_b32 v12, v8 :: v_dual_mov_b32 v11, v7
	s_wait_alu 0xfffe
	s_xor_b32 exec_lo, exec_lo, s9
	s_cbranch_execz .LBB146_78
; %bb.77:                               ;   in Loop: Header=BB146_2 Depth=1
	s_wait_dscnt 0x0
	v_lshlrev_b32_e32 v9, 3, v13
	ds_load_b64 v[11:12], v9 offset:8
	v_dual_mov_b32 v10, v6 :: v_dual_mov_b32 v9, v5
.LBB146_78:                             ;   in Loop: Header=BB146_2 Depth=1
	s_or_b32 exec_lo, exec_lo, s9
	v_add_nc_u32_e32 v15, 1, v14
	v_add_nc_u32_e32 v16, 1, v13
	s_wait_dscnt 0x0
	v_cmp_lt_i64_e64 s9, v[11:12], v[9:10]
	s_delay_alu instid0(VALU_DEP_3) | instskip(NEXT) | instid1(VALU_DEP_3)
	v_cndmask_b32_e64 v79, v15, v14, s8
	v_cndmask_b32_e64 v78, v13, v16, s8
                                        ; implicit-def: $vgpr13_vgpr14
	s_delay_alu instid0(VALU_DEP_2) | instskip(NEXT) | instid1(VALU_DEP_2)
	v_cmp_ge_i32_e64 s10, v79, v43
	v_cmp_lt_i32_e64 s11, v78, v44
	s_or_b32 s9, s10, s9
	s_wait_alu 0xfffe
	s_and_b32 s9, s11, s9
	s_wait_alu 0xfffe
	s_xor_b32 s10, s9, -1
	s_delay_alu instid0(SALU_CYCLE_1) | instskip(NEXT) | instid1(SALU_CYCLE_1)
	s_and_saveexec_b32 s11, s10
	s_xor_b32 s10, exec_lo, s11
; %bb.79:                               ;   in Loop: Header=BB146_2 Depth=1
	v_lshlrev_b32_e32 v13, 3, v79
	ds_load_b64 v[13:14], v13 offset:8
; %bb.80:                               ;   in Loop: Header=BB146_2 Depth=1
	s_or_saveexec_b32 s10, s10
	v_dual_mov_b32 v16, v12 :: v_dual_mov_b32 v15, v11
	s_xor_b32 exec_lo, exec_lo, s10
	s_cbranch_execz .LBB146_82
; %bb.81:                               ;   in Loop: Header=BB146_2 Depth=1
	s_wait_dscnt 0x0
	v_lshlrev_b32_e32 v13, 3, v78
	ds_load_b64 v[15:16], v13 offset:8
	v_dual_mov_b32 v14, v10 :: v_dual_mov_b32 v13, v9
.LBB146_82:                             ;   in Loop: Header=BB146_2 Depth=1
	s_or_b32 exec_lo, exec_lo, s10
	v_add_nc_u32_e32 v80, 1, v79
	v_add_nc_u32_e32 v81, 1, v78
	v_cndmask_b32_e64 v9, v9, v11, s9
	v_cndmask_b32_e64 v7, v5, v7, s8
	v_mov_b32_e32 v5, v58
	v_cndmask_b32_e64 v11, v80, v79, s9
	v_cndmask_b32_e64 v8, v6, v8, s8
	;; [unrolled: 1-line block ×3, first 2 shown]
	s_wait_dscnt 0x0
	v_cmp_lt_i64_e64 s8, v[15:16], v[13:14]
	v_cndmask_b32_e64 v10, v10, v12, s9
	v_cmp_ge_i32_e64 s9, v11, v43
	v_cndmask_b32_e64 v2, v2, v4, s7
	v_cmp_lt_i32_e64 s10, v6, v44
	v_cndmask_b32_e64 v1, v1, v3, s7
	s_wait_loadcnt 0x0
	s_or_b32 s7, s9, s8
	s_barrier_signal -1
	s_wait_alu 0xfffe
	s_and_b32 s7, s10, s7
	s_barrier_wait -1
	s_wait_alu 0xfffe
	v_cndmask_b32_e64 v4, v14, v16, s7
	v_cndmask_b32_e64 v3, v13, v15, s7
	global_inv scope:SCOPE_SE
	ds_store_2addr_b64 v21, v[1:2], v[7:8] offset1:1
	ds_store_2addr_b64 v21, v[9:10], v[3:4] offset0:2 offset1:3
	s_wait_loadcnt_dscnt 0x0
	s_barrier_signal -1
	s_barrier_wait -1
	global_inv scope:SCOPE_SE
	s_and_saveexec_b32 s8, s4
	s_cbranch_execz .LBB146_86
; %bb.83:                               ;   in Loop: Header=BB146_2 Depth=1
	v_mov_b32_e32 v5, v58
	v_mov_b32_e32 v1, v59
	s_mov_b32 s9, 0
.LBB146_84:                             ;   Parent Loop BB146_2 Depth=1
                                        ; =>  This Inner Loop Header: Depth=2
	s_delay_alu instid0(VALU_DEP_1) | instskip(NEXT) | instid1(VALU_DEP_1)
	v_sub_nc_u32_e32 v2, v1, v5
	v_lshrrev_b32_e32 v2, 1, v2
	s_delay_alu instid0(VALU_DEP_1) | instskip(NEXT) | instid1(VALU_DEP_1)
	v_add_nc_u32_e32 v4, v2, v5
	v_not_b32_e32 v2, v4
	v_lshl_add_u32 v3, v4, 3, v61
	s_delay_alu instid0(VALU_DEP_2)
	v_lshl_add_u32 v6, v2, 3, v75
	ds_load_b64 v[2:3], v3
	ds_load_b64 v[6:7], v6
	s_wait_dscnt 0x0
	v_cmp_lt_i64_e64 s7, v[6:7], v[2:3]
	v_add_nc_u32_e32 v2, 1, v4
	s_wait_alu 0xf1ff
	s_delay_alu instid0(VALU_DEP_2) | instskip(NEXT) | instid1(VALU_DEP_2)
	v_cndmask_b32_e64 v1, v1, v4, s7
	v_cndmask_b32_e64 v5, v2, v5, s7
	s_delay_alu instid0(VALU_DEP_1)
	v_cmp_ge_i32_e64 s7, v5, v1
	s_wait_alu 0xfffe
	s_or_b32 s9, s7, s9
	s_wait_alu 0xfffe
	s_and_not1_b32 exec_lo, exec_lo, s9
	s_cbranch_execnz .LBB146_84
; %bb.85:                               ;   in Loop: Header=BB146_2 Depth=1
	s_or_b32 exec_lo, exec_lo, s9
.LBB146_86:                             ;   in Loop: Header=BB146_2 Depth=1
	s_wait_alu 0xfffe
	s_or_b32 exec_lo, exec_lo, s8
	v_sub_nc_u32_e32 v9, v64, v5
	v_lshl_add_u32 v7, v5, 3, v61
	v_add_nc_u32_e32 v10, v5, v48
                                        ; implicit-def: $vgpr5_vgpr6
	s_delay_alu instid0(VALU_DEP_3) | instskip(SKIP_1) | instid1(VALU_DEP_3)
	v_lshlrev_b32_e32 v11, 3, v9
	v_cmp_gt_i32_e64 s9, v51, v9
	v_cmp_le_i32_e64 s8, v50, v10
	ds_load_b64 v[1:2], v7
	ds_load_b64 v[3:4], v11
	s_wait_dscnt 0x0
	v_cmp_lt_i64_e64 s7, v[3:4], v[1:2]
	s_or_b32 s7, s8, s7
	s_wait_alu 0xfffe
	s_and_b32 s7, s9, s7
	s_wait_alu 0xfffe
	s_xor_b32 s8, s7, -1
	s_wait_alu 0xfffe
	s_and_saveexec_b32 s9, s8
	s_wait_alu 0xfffe
	s_xor_b32 s8, exec_lo, s9
; %bb.87:                               ;   in Loop: Header=BB146_2 Depth=1
	ds_load_b64 v[5:6], v7 offset:8
                                        ; implicit-def: $vgpr11
; %bb.88:                               ;   in Loop: Header=BB146_2 Depth=1
	s_wait_alu 0xfffe
	s_or_saveexec_b32 s8, s8
	v_dual_mov_b32 v8, v4 :: v_dual_mov_b32 v7, v3
	s_wait_alu 0xfffe
	s_xor_b32 exec_lo, exec_lo, s8
	s_cbranch_execz .LBB146_90
; %bb.89:                               ;   in Loop: Header=BB146_2 Depth=1
	ds_load_b64 v[7:8], v11 offset:8
	s_wait_dscnt 0x1
	v_dual_mov_b32 v6, v2 :: v_dual_mov_b32 v5, v1
.LBB146_90:                             ;   in Loop: Header=BB146_2 Depth=1
	s_or_b32 exec_lo, exec_lo, s8
	v_add_nc_u32_e32 v11, 1, v10
	v_add_nc_u32_e32 v12, 1, v9
	s_wait_dscnt 0x0
	v_cmp_lt_i64_e64 s8, v[7:8], v[5:6]
	s_delay_alu instid0(VALU_DEP_3) | instskip(NEXT) | instid1(VALU_DEP_3)
	v_cndmask_b32_e64 v14, v11, v10, s7
	v_cndmask_b32_e64 v13, v9, v12, s7
                                        ; implicit-def: $vgpr9_vgpr10
	s_delay_alu instid0(VALU_DEP_2) | instskip(NEXT) | instid1(VALU_DEP_2)
	v_cmp_ge_i32_e64 s9, v14, v50
	v_cmp_lt_i32_e64 s10, v13, v51
	s_or_b32 s8, s9, s8
	s_wait_alu 0xfffe
	s_and_b32 s8, s10, s8
	s_wait_alu 0xfffe
	s_xor_b32 s9, s8, -1
	s_wait_alu 0xfffe
	s_and_saveexec_b32 s10, s9
	s_delay_alu instid0(SALU_CYCLE_1)
	s_xor_b32 s9, exec_lo, s10
; %bb.91:                               ;   in Loop: Header=BB146_2 Depth=1
	v_lshlrev_b32_e32 v9, 3, v14
	ds_load_b64 v[9:10], v9 offset:8
; %bb.92:                               ;   in Loop: Header=BB146_2 Depth=1
	s_wait_alu 0xfffe
	s_or_saveexec_b32 s9, s9
	v_dual_mov_b32 v12, v8 :: v_dual_mov_b32 v11, v7
	s_wait_alu 0xfffe
	s_xor_b32 exec_lo, exec_lo, s9
	s_cbranch_execz .LBB146_94
; %bb.93:                               ;   in Loop: Header=BB146_2 Depth=1
	s_wait_dscnt 0x0
	v_lshlrev_b32_e32 v9, 3, v13
	ds_load_b64 v[11:12], v9 offset:8
	v_dual_mov_b32 v10, v6 :: v_dual_mov_b32 v9, v5
.LBB146_94:                             ;   in Loop: Header=BB146_2 Depth=1
	s_or_b32 exec_lo, exec_lo, s9
	v_add_nc_u32_e32 v15, 1, v14
	v_add_nc_u32_e32 v16, 1, v13
	s_wait_dscnt 0x0
	v_cmp_lt_i64_e64 s9, v[11:12], v[9:10]
	s_delay_alu instid0(VALU_DEP_3) | instskip(NEXT) | instid1(VALU_DEP_3)
	v_cndmask_b32_e64 v79, v15, v14, s8
	v_cndmask_b32_e64 v78, v13, v16, s8
                                        ; implicit-def: $vgpr13_vgpr14
	s_delay_alu instid0(VALU_DEP_2) | instskip(NEXT) | instid1(VALU_DEP_2)
	v_cmp_ge_i32_e64 s10, v79, v50
	v_cmp_lt_i32_e64 s11, v78, v51
	s_or_b32 s9, s10, s9
	s_wait_alu 0xfffe
	s_and_b32 s9, s11, s9
	s_wait_alu 0xfffe
	s_xor_b32 s10, s9, -1
	s_delay_alu instid0(SALU_CYCLE_1) | instskip(NEXT) | instid1(SALU_CYCLE_1)
	s_and_saveexec_b32 s11, s10
	s_xor_b32 s10, exec_lo, s11
; %bb.95:                               ;   in Loop: Header=BB146_2 Depth=1
	v_lshlrev_b32_e32 v13, 3, v79
	ds_load_b64 v[13:14], v13 offset:8
; %bb.96:                               ;   in Loop: Header=BB146_2 Depth=1
	s_or_saveexec_b32 s10, s10
	v_dual_mov_b32 v16, v12 :: v_dual_mov_b32 v15, v11
	s_xor_b32 exec_lo, exec_lo, s10
	s_cbranch_execz .LBB146_98
; %bb.97:                               ;   in Loop: Header=BB146_2 Depth=1
	s_wait_dscnt 0x0
	v_lshlrev_b32_e32 v13, 3, v78
	ds_load_b64 v[15:16], v13 offset:8
	v_dual_mov_b32 v14, v10 :: v_dual_mov_b32 v13, v9
.LBB146_98:                             ;   in Loop: Header=BB146_2 Depth=1
	s_or_b32 exec_lo, exec_lo, s10
	v_add_nc_u32_e32 v80, 1, v79
	v_add_nc_u32_e32 v81, 1, v78
	v_cndmask_b32_e64 v9, v9, v11, s9
	v_cndmask_b32_e64 v7, v5, v7, s8
	v_mov_b32_e32 v5, v62
	v_cndmask_b32_e64 v11, v80, v79, s9
	v_cndmask_b32_e64 v8, v6, v8, s8
	;; [unrolled: 1-line block ×3, first 2 shown]
	s_wait_dscnt 0x0
	v_cmp_lt_i64_e64 s8, v[15:16], v[13:14]
	v_cndmask_b32_e64 v10, v10, v12, s9
	v_cmp_ge_i32_e64 s9, v11, v50
	v_cndmask_b32_e64 v2, v2, v4, s7
	v_cmp_lt_i32_e64 s10, v6, v51
	v_cndmask_b32_e64 v1, v1, v3, s7
	s_wait_loadcnt 0x0
	s_or_b32 s7, s9, s8
	s_barrier_signal -1
	s_wait_alu 0xfffe
	s_and_b32 s7, s10, s7
	s_barrier_wait -1
	s_wait_alu 0xfffe
	v_cndmask_b32_e64 v4, v14, v16, s7
	v_cndmask_b32_e64 v3, v13, v15, s7
	global_inv scope:SCOPE_SE
	ds_store_2addr_b64 v21, v[1:2], v[7:8] offset1:1
	ds_store_2addr_b64 v21, v[9:10], v[3:4] offset0:2 offset1:3
	s_wait_loadcnt_dscnt 0x0
	s_barrier_signal -1
	s_barrier_wait -1
	global_inv scope:SCOPE_SE
	s_and_saveexec_b32 s8, s5
	s_cbranch_execz .LBB146_102
; %bb.99:                               ;   in Loop: Header=BB146_2 Depth=1
	v_mov_b32_e32 v5, v62
	v_mov_b32_e32 v1, v63
	s_mov_b32 s9, 0
.LBB146_100:                            ;   Parent Loop BB146_2 Depth=1
                                        ; =>  This Inner Loop Header: Depth=2
	s_delay_alu instid0(VALU_DEP_1) | instskip(NEXT) | instid1(VALU_DEP_1)
	v_sub_nc_u32_e32 v2, v1, v5
	v_lshrrev_b32_e32 v2, 1, v2
	s_delay_alu instid0(VALU_DEP_1) | instskip(NEXT) | instid1(VALU_DEP_1)
	v_add_nc_u32_e32 v4, v2, v5
	v_not_b32_e32 v2, v4
	v_lshl_add_u32 v3, v4, 3, v65
	s_delay_alu instid0(VALU_DEP_2)
	v_lshl_add_u32 v6, v2, 3, v76
	ds_load_b64 v[2:3], v3
	ds_load_b64 v[6:7], v6
	s_wait_dscnt 0x0
	v_cmp_lt_i64_e64 s7, v[6:7], v[2:3]
	v_add_nc_u32_e32 v2, 1, v4
	s_wait_alu 0xf1ff
	s_delay_alu instid0(VALU_DEP_2) | instskip(NEXT) | instid1(VALU_DEP_2)
	v_cndmask_b32_e64 v1, v1, v4, s7
	v_cndmask_b32_e64 v5, v2, v5, s7
	s_delay_alu instid0(VALU_DEP_1)
	v_cmp_ge_i32_e64 s7, v5, v1
	s_wait_alu 0xfffe
	s_or_b32 s9, s7, s9
	s_wait_alu 0xfffe
	s_and_not1_b32 exec_lo, exec_lo, s9
	s_cbranch_execnz .LBB146_100
; %bb.101:                              ;   in Loop: Header=BB146_2 Depth=1
	s_or_b32 exec_lo, exec_lo, s9
.LBB146_102:                            ;   in Loop: Header=BB146_2 Depth=1
	s_wait_alu 0xfffe
	s_or_b32 exec_lo, exec_lo, s8
	v_sub_nc_u32_e32 v9, v68, v5
	v_lshl_add_u32 v7, v5, 3, v65
	v_add_nc_u32_e32 v10, v5, v53
                                        ; implicit-def: $vgpr5_vgpr6
	s_delay_alu instid0(VALU_DEP_3) | instskip(SKIP_1) | instid1(VALU_DEP_3)
	v_lshlrev_b32_e32 v11, 3, v9
	v_cmp_gt_i32_e64 s9, v57, v9
	v_cmp_le_i32_e64 s8, v56, v10
	ds_load_b64 v[1:2], v7
	ds_load_b64 v[3:4], v11
	s_wait_dscnt 0x0
	v_cmp_lt_i64_e64 s7, v[3:4], v[1:2]
	s_or_b32 s7, s8, s7
	s_wait_alu 0xfffe
	s_and_b32 s7, s9, s7
	s_wait_alu 0xfffe
	s_xor_b32 s8, s7, -1
	s_wait_alu 0xfffe
	s_and_saveexec_b32 s9, s8
	s_wait_alu 0xfffe
	s_xor_b32 s8, exec_lo, s9
; %bb.103:                              ;   in Loop: Header=BB146_2 Depth=1
	ds_load_b64 v[5:6], v7 offset:8
                                        ; implicit-def: $vgpr11
; %bb.104:                              ;   in Loop: Header=BB146_2 Depth=1
	s_wait_alu 0xfffe
	s_or_saveexec_b32 s8, s8
	v_dual_mov_b32 v8, v4 :: v_dual_mov_b32 v7, v3
	s_wait_alu 0xfffe
	s_xor_b32 exec_lo, exec_lo, s8
	s_cbranch_execz .LBB146_106
; %bb.105:                              ;   in Loop: Header=BB146_2 Depth=1
	ds_load_b64 v[7:8], v11 offset:8
	s_wait_dscnt 0x1
	v_dual_mov_b32 v6, v2 :: v_dual_mov_b32 v5, v1
.LBB146_106:                            ;   in Loop: Header=BB146_2 Depth=1
	s_or_b32 exec_lo, exec_lo, s8
	v_add_nc_u32_e32 v11, 1, v10
	v_add_nc_u32_e32 v12, 1, v9
	s_wait_dscnt 0x0
	v_cmp_lt_i64_e64 s8, v[7:8], v[5:6]
	s_delay_alu instid0(VALU_DEP_3) | instskip(NEXT) | instid1(VALU_DEP_3)
	v_cndmask_b32_e64 v14, v11, v10, s7
	v_cndmask_b32_e64 v13, v9, v12, s7
                                        ; implicit-def: $vgpr9_vgpr10
	s_delay_alu instid0(VALU_DEP_2) | instskip(NEXT) | instid1(VALU_DEP_2)
	v_cmp_ge_i32_e64 s9, v14, v56
	v_cmp_lt_i32_e64 s10, v13, v57
	s_or_b32 s8, s9, s8
	s_wait_alu 0xfffe
	s_and_b32 s8, s10, s8
	s_wait_alu 0xfffe
	s_xor_b32 s9, s8, -1
	s_wait_alu 0xfffe
	s_and_saveexec_b32 s10, s9
	s_delay_alu instid0(SALU_CYCLE_1)
	s_xor_b32 s9, exec_lo, s10
; %bb.107:                              ;   in Loop: Header=BB146_2 Depth=1
	v_lshlrev_b32_e32 v9, 3, v14
	ds_load_b64 v[9:10], v9 offset:8
; %bb.108:                              ;   in Loop: Header=BB146_2 Depth=1
	s_wait_alu 0xfffe
	s_or_saveexec_b32 s9, s9
	v_dual_mov_b32 v12, v8 :: v_dual_mov_b32 v11, v7
	s_wait_alu 0xfffe
	s_xor_b32 exec_lo, exec_lo, s9
	s_cbranch_execz .LBB146_110
; %bb.109:                              ;   in Loop: Header=BB146_2 Depth=1
	s_wait_dscnt 0x0
	v_lshlrev_b32_e32 v9, 3, v13
	ds_load_b64 v[11:12], v9 offset:8
	v_dual_mov_b32 v10, v6 :: v_dual_mov_b32 v9, v5
.LBB146_110:                            ;   in Loop: Header=BB146_2 Depth=1
	s_or_b32 exec_lo, exec_lo, s9
	v_add_nc_u32_e32 v15, 1, v14
	v_add_nc_u32_e32 v16, 1, v13
	s_wait_dscnt 0x0
	v_cmp_lt_i64_e64 s9, v[11:12], v[9:10]
	s_delay_alu instid0(VALU_DEP_3) | instskip(NEXT) | instid1(VALU_DEP_3)
	v_cndmask_b32_e64 v79, v15, v14, s8
	v_cndmask_b32_e64 v78, v13, v16, s8
                                        ; implicit-def: $vgpr13_vgpr14
	s_delay_alu instid0(VALU_DEP_2) | instskip(NEXT) | instid1(VALU_DEP_2)
	v_cmp_ge_i32_e64 s10, v79, v56
	v_cmp_lt_i32_e64 s11, v78, v57
	s_or_b32 s9, s10, s9
	s_wait_alu 0xfffe
	s_and_b32 s9, s11, s9
	s_wait_alu 0xfffe
	s_xor_b32 s10, s9, -1
	s_delay_alu instid0(SALU_CYCLE_1) | instskip(NEXT) | instid1(SALU_CYCLE_1)
	s_and_saveexec_b32 s11, s10
	s_xor_b32 s10, exec_lo, s11
; %bb.111:                              ;   in Loop: Header=BB146_2 Depth=1
	v_lshlrev_b32_e32 v13, 3, v79
	ds_load_b64 v[13:14], v13 offset:8
; %bb.112:                              ;   in Loop: Header=BB146_2 Depth=1
	s_or_saveexec_b32 s10, s10
	v_dual_mov_b32 v16, v12 :: v_dual_mov_b32 v15, v11
	s_xor_b32 exec_lo, exec_lo, s10
	s_cbranch_execz .LBB146_114
; %bb.113:                              ;   in Loop: Header=BB146_2 Depth=1
	s_wait_dscnt 0x0
	v_lshlrev_b32_e32 v13, 3, v78
	ds_load_b64 v[15:16], v13 offset:8
	v_dual_mov_b32 v14, v10 :: v_dual_mov_b32 v13, v9
.LBB146_114:                            ;   in Loop: Header=BB146_2 Depth=1
	s_or_b32 exec_lo, exec_lo, s10
	v_add_nc_u32_e32 v80, 1, v79
	v_add_nc_u32_e32 v81, 1, v78
	v_cndmask_b32_e64 v11, v9, v11, s9
	v_cndmask_b32_e64 v6, v6, v8, s8
	;; [unrolled: 1-line block ×5, first 2 shown]
	s_wait_dscnt 0x0
	v_cmp_lt_i64_e64 s8, v[15:16], v[13:14]
	v_cndmask_b32_e64 v12, v10, v12, s9
	v_cndmask_b32_e64 v2, v2, v4, s7
	v_cmp_ge_i32_e64 s9, v9, v56
	v_cmp_lt_i32_e64 s10, v8, v57
	v_cndmask_b32_e64 v1, v1, v3, s7
	v_mov_b32_e32 v9, v66
	s_wait_loadcnt 0x0
	s_or_b32 s7, s9, s8
	s_barrier_signal -1
	s_wait_alu 0xfffe
	s_and_b32 s7, s10, s7
	s_barrier_wait -1
	s_wait_alu 0xfffe
	v_cndmask_b32_e64 v4, v14, v16, s7
	v_cndmask_b32_e64 v3, v13, v15, s7
	global_inv scope:SCOPE_SE
	ds_store_2addr_b64 v21, v[1:2], v[5:6] offset1:1
	ds_store_2addr_b64 v21, v[11:12], v[3:4] offset0:2 offset1:3
	s_wait_loadcnt_dscnt 0x0
	s_barrier_signal -1
	s_barrier_wait -1
	global_inv scope:SCOPE_SE
	s_and_saveexec_b32 s8, s6
	s_cbranch_execz .LBB146_118
; %bb.115:                              ;   in Loop: Header=BB146_2 Depth=1
	v_mov_b32_e32 v9, v66
	v_mov_b32_e32 v1, v67
	s_mov_b32 s9, 0
.LBB146_116:                            ;   Parent Loop BB146_2 Depth=1
                                        ; =>  This Inner Loop Header: Depth=2
	s_delay_alu instid0(VALU_DEP_1) | instskip(NEXT) | instid1(VALU_DEP_1)
	v_sub_nc_u32_e32 v2, v1, v9
	v_lshrrev_b32_e32 v2, 1, v2
	s_delay_alu instid0(VALU_DEP_1) | instskip(NEXT) | instid1(VALU_DEP_1)
	v_add_nc_u32_e32 v6, v2, v9
	v_not_b32_e32 v2, v6
	v_lshlrev_b32_e32 v3, 3, v6
	s_delay_alu instid0(VALU_DEP_2)
	v_lshl_add_u32 v4, v2, 3, v77
	ds_load_b64 v[2:3], v3
	ds_load_b64 v[4:5], v4
	s_wait_dscnt 0x0
	v_cmp_lt_i64_e64 s7, v[4:5], v[2:3]
	v_add_nc_u32_e32 v2, 1, v6
	s_wait_alu 0xf1ff
	s_delay_alu instid0(VALU_DEP_2) | instskip(NEXT) | instid1(VALU_DEP_2)
	v_cndmask_b32_e64 v1, v1, v6, s7
	v_cndmask_b32_e64 v9, v2, v9, s7
	s_delay_alu instid0(VALU_DEP_1)
	v_cmp_ge_i32_e64 s7, v9, v1
	s_wait_alu 0xfffe
	s_or_b32 s9, s7, s9
	s_wait_alu 0xfffe
	s_and_not1_b32 exec_lo, exec_lo, s9
	s_cbranch_execnz .LBB146_116
; %bb.117:                              ;   in Loop: Header=BB146_2 Depth=1
	s_or_b32 exec_lo, exec_lo, s9
.LBB146_118:                            ;   in Loop: Header=BB146_2 Depth=1
	s_wait_alu 0xfffe
	s_or_b32 exec_lo, exec_lo, s8
	v_sub_nc_u32_e32 v10, v69, v9
	v_lshlrev_b32_e32 v7, 3, v9
	v_cmp_le_i32_e64 s8, 0x200, v9
                                        ; implicit-def: $vgpr3_vgpr4
	s_delay_alu instid0(VALU_DEP_3)
	v_lshlrev_b32_e32 v11, 3, v10
	v_cmp_gt_i32_e64 s9, 0x400, v10
	ds_load_b64 v[1:2], v7
	ds_load_b64 v[5:6], v11
	s_wait_dscnt 0x0
	v_cmp_lt_i64_e64 s7, v[5:6], v[1:2]
	s_or_b32 s7, s8, s7
	s_wait_alu 0xfffe
	s_and_b32 s7, s9, s7
	s_wait_alu 0xfffe
	s_xor_b32 s8, s7, -1
	s_wait_alu 0xfffe
	s_and_saveexec_b32 s9, s8
	s_wait_alu 0xfffe
	s_xor_b32 s8, exec_lo, s9
; %bb.119:                              ;   in Loop: Header=BB146_2 Depth=1
	ds_load_b64 v[3:4], v7 offset:8
                                        ; implicit-def: $vgpr11
; %bb.120:                              ;   in Loop: Header=BB146_2 Depth=1
	s_wait_alu 0xfffe
	s_or_saveexec_b32 s8, s8
	v_dual_mov_b32 v8, v6 :: v_dual_mov_b32 v7, v5
	s_wait_alu 0xfffe
	s_xor_b32 exec_lo, exec_lo, s8
	s_cbranch_execz .LBB146_122
; %bb.121:                              ;   in Loop: Header=BB146_2 Depth=1
	ds_load_b64 v[7:8], v11 offset:8
	s_wait_dscnt 0x1
	v_dual_mov_b32 v4, v2 :: v_dual_mov_b32 v3, v1
.LBB146_122:                            ;   in Loop: Header=BB146_2 Depth=1
	s_or_b32 exec_lo, exec_lo, s8
	v_add_nc_u32_e32 v11, 1, v9
	v_add_nc_u32_e32 v12, 1, v10
	s_wait_dscnt 0x0
	v_cmp_lt_i64_e64 s8, v[7:8], v[3:4]
	s_delay_alu instid0(VALU_DEP_3) | instskip(NEXT) | instid1(VALU_DEP_3)
	v_cndmask_b32_e64 v14, v11, v9, s7
	v_cndmask_b32_e64 v13, v10, v12, s7
                                        ; implicit-def: $vgpr9_vgpr10
	s_delay_alu instid0(VALU_DEP_2) | instskip(NEXT) | instid1(VALU_DEP_2)
	v_cmp_le_i32_e64 s9, 0x200, v14
	v_cmp_gt_i32_e64 s10, 0x400, v13
	s_or_b32 s8, s9, s8
	s_wait_alu 0xfffe
	s_and_b32 s8, s10, s8
	s_wait_alu 0xfffe
	s_xor_b32 s9, s8, -1
	s_wait_alu 0xfffe
	s_and_saveexec_b32 s10, s9
	s_delay_alu instid0(SALU_CYCLE_1)
	s_xor_b32 s9, exec_lo, s10
; %bb.123:                              ;   in Loop: Header=BB146_2 Depth=1
	v_lshlrev_b32_e32 v9, 3, v14
	ds_load_b64 v[9:10], v9 offset:8
; %bb.124:                              ;   in Loop: Header=BB146_2 Depth=1
	s_wait_alu 0xfffe
	s_or_saveexec_b32 s9, s9
	v_dual_mov_b32 v12, v8 :: v_dual_mov_b32 v11, v7
	s_wait_alu 0xfffe
	s_xor_b32 exec_lo, exec_lo, s9
	s_cbranch_execz .LBB146_126
; %bb.125:                              ;   in Loop: Header=BB146_2 Depth=1
	s_wait_dscnt 0x0
	v_lshlrev_b32_e32 v9, 3, v13
	ds_load_b64 v[11:12], v9 offset:8
	v_dual_mov_b32 v10, v4 :: v_dual_mov_b32 v9, v3
.LBB146_126:                            ;   in Loop: Header=BB146_2 Depth=1
	s_or_b32 exec_lo, exec_lo, s9
	v_add_nc_u32_e32 v15, 1, v14
	v_add_nc_u32_e32 v16, 1, v13
	s_wait_dscnt 0x0
	v_cmp_lt_i64_e64 s9, v[11:12], v[9:10]
                                        ; implicit-def: $vgpr79
	s_delay_alu instid0(VALU_DEP_3) | instskip(NEXT) | instid1(VALU_DEP_3)
	v_cndmask_b32_e64 v80, v15, v14, s8
	v_cndmask_b32_e64 v78, v13, v16, s8
                                        ; implicit-def: $vgpr13_vgpr14
	s_delay_alu instid0(VALU_DEP_2) | instskip(NEXT) | instid1(VALU_DEP_2)
	v_cmp_le_i32_e64 s10, 0x200, v80
	v_cmp_gt_i32_e64 s11, 0x400, v78
	s_or_b32 s9, s10, s9
	s_wait_alu 0xfffe
	s_and_b32 s9, s11, s9
	s_wait_alu 0xfffe
	s_xor_b32 s10, s9, -1
	s_delay_alu instid0(SALU_CYCLE_1) | instskip(NEXT) | instid1(SALU_CYCLE_1)
	s_and_saveexec_b32 s11, s10
	s_xor_b32 s10, exec_lo, s11
; %bb.127:                              ;   in Loop: Header=BB146_2 Depth=1
	v_lshlrev_b32_e32 v13, 3, v80
	v_add_nc_u32_e32 v79, 1, v80
                                        ; implicit-def: $vgpr80
	ds_load_b64 v[13:14], v13 offset:8
; %bb.128:                              ;   in Loop: Header=BB146_2 Depth=1
	s_or_saveexec_b32 s10, s10
	v_dual_mov_b32 v16, v12 :: v_dual_mov_b32 v15, v11
	s_xor_b32 exec_lo, exec_lo, s10
	s_cbranch_execz .LBB146_1
; %bb.129:                              ;   in Loop: Header=BB146_2 Depth=1
	s_wait_dscnt 0x0
	v_lshlrev_b32_e32 v13, 3, v78
	v_dual_mov_b32 v79, v80 :: v_dual_add_nc_u32 v78, 1, v78
	ds_load_b64 v[15:16], v13 offset:8
	v_dual_mov_b32 v14, v10 :: v_dual_mov_b32 v13, v9
	s_branch .LBB146_1
.LBB146_130:
	v_lshlrev_b32_e32 v0, 3, v0
	s_add_nc_u64 s[0:1], s[14:15], s[18:19]
	s_clause 0x3
	global_store_b64 v0, v[1:2], s[0:1]
	global_store_b64 v0, v[7:8], s[0:1] offset:2048
	global_store_b64 v0, v[3:4], s[0:1] offset:4096
	;; [unrolled: 1-line block ×3, first 2 shown]
	s_endpgm
	.section	.rodata,"a",@progbits
	.p2align	6, 0x0
	.amdhsa_kernel _Z16sort_keys_kernelIxLj256ELj4EN10test_utils4lessELj10EEvPKT_PS2_T2_
		.amdhsa_group_segment_fixed_size 8200
		.amdhsa_private_segment_fixed_size 0
		.amdhsa_kernarg_size 20
		.amdhsa_user_sgpr_count 2
		.amdhsa_user_sgpr_dispatch_ptr 0
		.amdhsa_user_sgpr_queue_ptr 0
		.amdhsa_user_sgpr_kernarg_segment_ptr 1
		.amdhsa_user_sgpr_dispatch_id 0
		.amdhsa_user_sgpr_private_segment_size 0
		.amdhsa_wavefront_size32 1
		.amdhsa_uses_dynamic_stack 0
		.amdhsa_enable_private_segment 0
		.amdhsa_system_sgpr_workgroup_id_x 1
		.amdhsa_system_sgpr_workgroup_id_y 0
		.amdhsa_system_sgpr_workgroup_id_z 0
		.amdhsa_system_sgpr_workgroup_info 0
		.amdhsa_system_vgpr_workitem_id 0
		.amdhsa_next_free_vgpr 83
		.amdhsa_next_free_sgpr 20
		.amdhsa_reserve_vcc 1
		.amdhsa_float_round_mode_32 0
		.amdhsa_float_round_mode_16_64 0
		.amdhsa_float_denorm_mode_32 3
		.amdhsa_float_denorm_mode_16_64 3
		.amdhsa_fp16_overflow 0
		.amdhsa_workgroup_processor_mode 1
		.amdhsa_memory_ordered 1
		.amdhsa_forward_progress 1
		.amdhsa_inst_pref_size 63
		.amdhsa_round_robin_scheduling 0
		.amdhsa_exception_fp_ieee_invalid_op 0
		.amdhsa_exception_fp_denorm_src 0
		.amdhsa_exception_fp_ieee_div_zero 0
		.amdhsa_exception_fp_ieee_overflow 0
		.amdhsa_exception_fp_ieee_underflow 0
		.amdhsa_exception_fp_ieee_inexact 0
		.amdhsa_exception_int_div_zero 0
	.end_amdhsa_kernel
	.section	.text._Z16sort_keys_kernelIxLj256ELj4EN10test_utils4lessELj10EEvPKT_PS2_T2_,"axG",@progbits,_Z16sort_keys_kernelIxLj256ELj4EN10test_utils4lessELj10EEvPKT_PS2_T2_,comdat
.Lfunc_end146:
	.size	_Z16sort_keys_kernelIxLj256ELj4EN10test_utils4lessELj10EEvPKT_PS2_T2_, .Lfunc_end146-_Z16sort_keys_kernelIxLj256ELj4EN10test_utils4lessELj10EEvPKT_PS2_T2_
                                        ; -- End function
	.set _Z16sort_keys_kernelIxLj256ELj4EN10test_utils4lessELj10EEvPKT_PS2_T2_.num_vgpr, 83
	.set _Z16sort_keys_kernelIxLj256ELj4EN10test_utils4lessELj10EEvPKT_PS2_T2_.num_agpr, 0
	.set _Z16sort_keys_kernelIxLj256ELj4EN10test_utils4lessELj10EEvPKT_PS2_T2_.numbered_sgpr, 20
	.set _Z16sort_keys_kernelIxLj256ELj4EN10test_utils4lessELj10EEvPKT_PS2_T2_.num_named_barrier, 0
	.set _Z16sort_keys_kernelIxLj256ELj4EN10test_utils4lessELj10EEvPKT_PS2_T2_.private_seg_size, 0
	.set _Z16sort_keys_kernelIxLj256ELj4EN10test_utils4lessELj10EEvPKT_PS2_T2_.uses_vcc, 1
	.set _Z16sort_keys_kernelIxLj256ELj4EN10test_utils4lessELj10EEvPKT_PS2_T2_.uses_flat_scratch, 0
	.set _Z16sort_keys_kernelIxLj256ELj4EN10test_utils4lessELj10EEvPKT_PS2_T2_.has_dyn_sized_stack, 0
	.set _Z16sort_keys_kernelIxLj256ELj4EN10test_utils4lessELj10EEvPKT_PS2_T2_.has_recursion, 0
	.set _Z16sort_keys_kernelIxLj256ELj4EN10test_utils4lessELj10EEvPKT_PS2_T2_.has_indirect_call, 0
	.section	.AMDGPU.csdata,"",@progbits
; Kernel info:
; codeLenInByte = 7956
; TotalNumSgprs: 22
; NumVgprs: 83
; ScratchSize: 0
; MemoryBound: 0
; FloatMode: 240
; IeeeMode: 1
; LDSByteSize: 8200 bytes/workgroup (compile time only)
; SGPRBlocks: 0
; VGPRBlocks: 10
; NumSGPRsForWavesPerEU: 22
; NumVGPRsForWavesPerEU: 83
; Occupancy: 16
; WaveLimiterHint : 1
; COMPUTE_PGM_RSRC2:SCRATCH_EN: 0
; COMPUTE_PGM_RSRC2:USER_SGPR: 2
; COMPUTE_PGM_RSRC2:TRAP_HANDLER: 0
; COMPUTE_PGM_RSRC2:TGID_X_EN: 1
; COMPUTE_PGM_RSRC2:TGID_Y_EN: 0
; COMPUTE_PGM_RSRC2:TGID_Z_EN: 0
; COMPUTE_PGM_RSRC2:TIDIG_COMP_CNT: 0
	.section	.text._Z17sort_pairs_kernelIxLj256ELj4EN10test_utils4lessELj10EEvPKT_PS2_T2_,"axG",@progbits,_Z17sort_pairs_kernelIxLj256ELj4EN10test_utils4lessELj10EEvPKT_PS2_T2_,comdat
	.protected	_Z17sort_pairs_kernelIxLj256ELj4EN10test_utils4lessELj10EEvPKT_PS2_T2_ ; -- Begin function _Z17sort_pairs_kernelIxLj256ELj4EN10test_utils4lessELj10EEvPKT_PS2_T2_
	.globl	_Z17sort_pairs_kernelIxLj256ELj4EN10test_utils4lessELj10EEvPKT_PS2_T2_
	.p2align	8
	.type	_Z17sort_pairs_kernelIxLj256ELj4EN10test_utils4lessELj10EEvPKT_PS2_T2_,@function
_Z17sort_pairs_kernelIxLj256ELj4EN10test_utils4lessELj10EEvPKT_PS2_T2_: ; @_Z17sort_pairs_kernelIxLj256ELj4EN10test_utils4lessELj10EEvPKT_PS2_T2_
; %bb.0:
	s_load_b128 s[16:19], s[0:1], 0x0
	s_lshl_b32 s22, ttmp9, 10
	s_mov_b32 s23, 0
	v_lshlrev_b32_e32 v1, 3, v0
	s_lshl_b64 s[20:21], s[22:23], 3
	v_lshlrev_b32_e32 v27, 5, v0
	s_delay_alu instid0(VALU_DEP_1)
	v_add_nc_u32_e32 v87, 0x1000, v27
	s_wait_kmcnt 0x0
	s_add_nc_u64 s[0:1], s[16:17], s[20:21]
	s_clause 0x3
	global_load_b64 v[15:16], v1, s[0:1]
	global_load_b64 v[13:14], v1, s[0:1] offset:2048
	global_load_b64 v[11:12], v1, s[0:1] offset:4096
	global_load_b64 v[9:10], v1, s[0:1] offset:6144
	v_lshlrev_b32_e32 v1, 2, v0
	s_delay_alu instid0(VALU_DEP_1)
	v_and_b32_e32 v28, 0x3f8, v1
	v_and_b32_e32 v2, 4, v1
	;; [unrolled: 1-line block ×5, first 2 shown]
	v_or_b32_e32 v38, 4, v28
	v_add_nc_u32_e32 v39, 8, v28
	v_and_b32_e32 v4, 28, v1
	v_and_b32_e32 v31, 0x3c0, v1
	;; [unrolled: 1-line block ×9, first 2 shown]
	v_subrev_nc_u32_e64 v35, 0x200, v1 clamp
	v_min_i32_e32 v36, 0x200, v1
	v_add_nc_u32_e32 v37, 0x200, v1
	v_or_b32_e32 v41, 8, v29
	v_add_nc_u32_e32 v42, 16, v29
	v_lshlrev_b32_e32 v1, 3, v2
	v_sub_nc_u32_e32 v24, v39, v38
	v_or_b32_e32 v44, 16, v30
	v_add_nc_u32_e32 v45, 32, v30
	v_lshlrev_b32_e32 v17, 3, v3
	v_sub_nc_u32_e32 v26, v42, v41
	v_lshl_add_u32 v66, v38, 3, v1
	v_sub_nc_u32_e32 v1, v2, v24
	v_cmp_ge_i32_e64 s0, v2, v24
	v_or_b32_e32 v47, 32, v31
	v_add_nc_u32_e32 v48, 64, v31
	v_lshlrev_b32_e32 v18, 3, v4
	v_sub_nc_u32_e32 v82, v45, v44
	v_lshl_add_u32 v67, v41, 3, v17
	v_sub_nc_u32_e32 v17, v3, v26
	v_cndmask_b32_e64 v80, 0, v1, s0
	v_cmp_ge_i32_e64 s0, v3, v26
	v_or_b32_e32 v50, 64, v32
	v_add_nc_u32_e32 v51, 0x80, v32
	v_lshlrev_b32_e32 v19, 3, v5
	v_sub_nc_u32_e32 v83, v48, v47
	v_lshl_add_u32 v68, v44, 3, v18
	v_sub_nc_u32_e32 v18, v4, v82
	s_wait_alu 0xf1ff
	v_cndmask_b32_e64 v81, 0, v17, s0
	v_cmp_ge_i32_e64 s0, v4, v82
	v_or_b32_e32 v53, 0x80, v33
	v_add_nc_u32_e32 v54, 0x100, v33
	v_lshlrev_b32_e32 v20, 3, v6
	v_sub_nc_u32_e32 v84, v51, v50
	v_lshl_add_u32 v69, v47, 3, v19
	v_sub_nc_u32_e32 v19, v5, v83
	s_wait_alu 0xf1ff
	;; [unrolled: 9-line block ×3, first 2 shown]
	v_cndmask_b32_e64 v83, 0, v19, s0
	v_cmp_ge_i32_e64 s0, v6, v84
	v_lshlrev_b32_e32 v22, 3, v8
	v_sub_nc_u32_e32 v86, v57, v56
	v_lshl_add_u32 v71, v53, 3, v21
	v_sub_nc_u32_e32 v21, v7, v85
	s_wait_alu 0xf1ff
	v_cndmask_b32_e64 v84, 0, v20, s0
	v_cmp_ge_i32_e64 s0, v7, v85
	v_sub_nc_u32_e32 v78, v53, v33
	v_sub_nc_u32_e32 v76, v47, v31
	;; [unrolled: 1-line block ×7, first 2 shown]
	v_lshl_add_u32 v72, v56, 3, v22
	v_sub_nc_u32_e32 v22, v8, v86
	s_wait_alu 0xf1ff
	v_cndmask_b32_e64 v85, 0, v21, s0
	v_cmp_ge_i32_e64 s0, v8, v86
	v_add_nc_u32_e32 v64, v53, v7
	v_min_i32_e32 v78, v7, v78
	v_add_nc_u32_e32 v62, v47, v5
	v_add_nc_u32_e32 v65, v56, v8
	v_min_i32_e32 v76, v5, v76
	v_min_i32_e32 v79, v8, v79
	v_min_i32_e32 v73, v2, v23
	v_min_i32_e32 v74, v3, v25
	v_min_i32_e32 v75, v4, v75
	v_min_i32_e32 v77, v6, v77
	s_wait_alu 0xf1ff
	v_cndmask_b32_e64 v86, 0, v22, s0
	v_add_nc_u32_e32 v60, v41, v3
	v_add_nc_u32_e32 v63, v50, v6
	;; [unrolled: 1-line block ×3, first 2 shown]
	v_lshlrev_b32_e32 v40, 3, v28
	v_lshlrev_b32_e32 v43, 3, v29
	;; [unrolled: 1-line block ×7, first 2 shown]
	v_add_nc_u32_e32 v59, v38, v2
	v_cmp_lt_i32_e64 s0, v80, v73
	v_cmp_lt_i32_e64 s1, v81, v74
	;; [unrolled: 1-line block ×7, first 2 shown]
	v_cmp_lt_i32_e32 vcc_lo, v35, v36
	s_wait_loadcnt 0x3
	v_add_co_u32 v7, s7, v15, 1
	s_delay_alu instid0(VALU_DEP_1)
	v_add_co_ci_u32_e64 v8, null, 0, v16, s7
	s_wait_loadcnt 0x2
	v_add_co_u32 v5, s7, v13, 1
	s_wait_alu 0xf1ff
	v_add_co_ci_u32_e64 v6, null, 0, v14, s7
	s_wait_loadcnt 0x1
	v_add_co_u32 v3, s7, v11, 1
	s_wait_alu 0xf1ff
	;; [unrolled: 4-line block ×3, first 2 shown]
	v_add_co_ci_u32_e64 v2, null, 0, v10, s7
	s_branch .LBB147_2
.LBB147_1:                              ;   in Loop: Header=BB147_2 Depth=1
	s_or_b32 exec_lo, exec_lo, s10
	s_wait_dscnt 0x0
	s_delay_alu instid0(VALU_DEP_1)
	v_cmp_lt_i64_e64 s10, v[25:26], v[9:10]
	v_cmp_le_i32_e64 s11, 0x200, v92
	v_cmp_gt_i32_e64 s12, 0x400, v90
	v_cndmask_b32_e64 v15, v15, v16, s7
	v_cndmask_b32_e64 v88, v88, v89, s8
	s_wait_loadcnt 0x0
	s_or_b32 s10, s11, s10
	s_barrier_signal -1
	s_wait_alu 0xfffe
	s_and_b32 s10, s12, s10
	s_barrier_wait -1
	s_wait_alu 0xfffe
	v_cndmask_b32_e64 v16, v92, v90, s10
	global_inv scope:SCOPE_SE
	ds_store_2addr_b64 v27, v[5:6], v[7:8] offset1:1
	ds_store_2addr_b64 v27, v[1:2], v[3:4] offset0:2 offset1:3
	v_lshlrev_b32_e32 v1, 3, v15
	v_lshlrev_b32_e32 v2, 3, v88
	;; [unrolled: 1-line block ×4, first 2 shown]
	s_wait_loadcnt_dscnt 0x0
	s_barrier_signal -1
	s_barrier_wait -1
	global_inv scope:SCOPE_SE
	ds_load_b64 v[7:8], v1
	ds_load_b64 v[5:6], v2
	;; [unrolled: 1-line block ×4, first 2 shown]
	v_cndmask_b32_e64 v10, v10, v26, s10
	v_cndmask_b32_e64 v16, v12, v14, s7
	;; [unrolled: 1-line block ×8, first 2 shown]
	s_add_co_i32 s23, s23, 1
	s_delay_alu instid0(SALU_CYCLE_1)
	s_cmp_eq_u32 s23, 10
	s_cbranch_scc1 .LBB147_130
.LBB147_2:                              ; =>This Loop Header: Depth=1
                                        ;     Child Loop BB147_4 Depth 2
                                        ;     Child Loop BB147_20 Depth 2
	;; [unrolled: 1-line block ×8, first 2 shown]
	v_cmp_lt_i64_e64 s7, v[13:14], v[15:16]
	v_cmp_lt_i64_e64 s8, v[9:10], v[11:12]
	s_barrier_signal -1
	s_barrier_wait -1
	global_inv scope:SCOPE_SE
	s_wait_alu 0xf1ff
	v_cndmask_b32_e64 v21, v14, v16, s7
	v_cndmask_b32_e64 v20, v13, v15, s7
	;; [unrolled: 1-line block ×8, first 2 shown]
	v_cmp_lt_i64_e64 s9, v[22:23], v[20:21]
	s_wait_alu 0xf1ff
	s_delay_alu instid0(VALU_DEP_1) | instskip(SKIP_3) | instid1(VALU_DEP_2)
	v_cndmask_b32_e64 v10, v23, v21, s9
	v_cndmask_b32_e64 v12, v21, v23, s9
	;; [unrolled: 1-line block ×4, first 2 shown]
	v_cmp_lt_i64_e64 s10, v[11:12], v[16:17]
	s_delay_alu instid0(VALU_DEP_2) | instskip(SKIP_1) | instid1(VALU_DEP_2)
	v_cmp_lt_i64_e64 s11, v[18:19], v[9:10]
	s_wait_alu 0xf1ff
	v_cndmask_b32_e64 v14, v12, v17, s10
	v_cndmask_b32_e64 v13, v11, v16, s10
	s_delay_alu instid0(VALU_DEP_3)
	v_cndmask_b32_e64 v22, v10, v19, s11
	v_cndmask_b32_e64 v21, v9, v18, s11
	;; [unrolled: 1-line block ×6, first 2 shown]
	v_cmp_lt_i64_e64 s12, v[21:22], v[13:14]
	s_wait_alu 0xf1ff
	s_delay_alu instid0(VALU_DEP_1)
	v_cndmask_b32_e64 v10, v22, v14, s12
	v_cndmask_b32_e64 v15, v14, v22, s12
	;; [unrolled: 1-line block ×4, first 2 shown]
	v_mov_b32_e32 v13, v80
	ds_store_2addr_b64 v27, v[11:12], v[14:15] offset1:1
	ds_store_2addr_b64 v27, v[9:10], v[19:20] offset0:2 offset1:3
	s_wait_loadcnt_dscnt 0x0
	s_barrier_signal -1
	s_barrier_wait -1
	global_inv scope:SCOPE_SE
	s_and_saveexec_b32 s14, s0
	s_cbranch_execz .LBB147_6
; %bb.3:                                ;   in Loop: Header=BB147_2 Depth=1
	v_mov_b32_e32 v13, v80
	v_mov_b32_e32 v9, v73
	s_mov_b32 s15, 0
.LBB147_4:                              ;   Parent Loop BB147_2 Depth=1
                                        ; =>  This Inner Loop Header: Depth=2
	s_delay_alu instid0(VALU_DEP_1) | instskip(NEXT) | instid1(VALU_DEP_1)
	v_sub_nc_u32_e32 v10, v9, v13
	v_lshrrev_b32_e32 v10, 1, v10
	s_delay_alu instid0(VALU_DEP_1) | instskip(NEXT) | instid1(VALU_DEP_1)
	v_add_nc_u32_e32 v12, v10, v13
	v_not_b32_e32 v10, v12
	v_lshl_add_u32 v11, v12, 3, v40
	s_delay_alu instid0(VALU_DEP_2)
	v_lshl_add_u32 v14, v10, 3, v66
	ds_load_b64 v[10:11], v11
	ds_load_b64 v[14:15], v14
	s_wait_dscnt 0x0
	v_cmp_lt_i64_e64 s13, v[14:15], v[10:11]
	v_add_nc_u32_e32 v10, 1, v12
	s_wait_alu 0xf1ff
	s_delay_alu instid0(VALU_DEP_2) | instskip(NEXT) | instid1(VALU_DEP_2)
	v_cndmask_b32_e64 v9, v9, v12, s13
	v_cndmask_b32_e64 v13, v10, v13, s13
	s_delay_alu instid0(VALU_DEP_1)
	v_cmp_ge_i32_e64 s13, v13, v9
	s_wait_alu 0xfffe
	s_or_b32 s15, s13, s15
	s_wait_alu 0xfffe
	s_and_not1_b32 exec_lo, exec_lo, s15
	s_cbranch_execnz .LBB147_4
; %bb.5:                                ;   in Loop: Header=BB147_2 Depth=1
	s_or_b32 exec_lo, exec_lo, s15
.LBB147_6:                              ;   in Loop: Header=BB147_2 Depth=1
	s_wait_alu 0xfffe
	s_or_b32 exec_lo, exec_lo, s14
	v_sub_nc_u32_e32 v25, v59, v13
	v_lshl_add_u32 v15, v13, 3, v40
	v_add_nc_u32_e32 v26, v13, v28
                                        ; implicit-def: $vgpr13_vgpr14
	s_delay_alu instid0(VALU_DEP_3) | instskip(SKIP_1) | instid1(VALU_DEP_3)
	v_lshlrev_b32_e32 v17, 3, v25
	v_cmp_gt_i32_e64 s15, v39, v25
	v_cmp_le_i32_e64 s14, v38, v26
	ds_load_b64 v[9:10], v15
	ds_load_b64 v[11:12], v17
	s_wait_dscnt 0x0
	v_cmp_lt_i64_e64 s13, v[11:12], v[9:10]
	s_or_b32 s13, s14, s13
	s_wait_alu 0xfffe
	s_and_b32 s13, s15, s13
	s_wait_alu 0xfffe
	s_xor_b32 s14, s13, -1
	s_wait_alu 0xfffe
	s_and_saveexec_b32 s15, s14
	s_wait_alu 0xfffe
	s_xor_b32 s14, exec_lo, s15
; %bb.7:                                ;   in Loop: Header=BB147_2 Depth=1
	ds_load_b64 v[13:14], v15 offset:8
                                        ; implicit-def: $vgpr17
; %bb.8:                                ;   in Loop: Header=BB147_2 Depth=1
	s_wait_alu 0xfffe
	s_or_saveexec_b32 s14, s14
	v_dual_mov_b32 v16, v12 :: v_dual_mov_b32 v15, v11
	s_wait_alu 0xfffe
	s_xor_b32 exec_lo, exec_lo, s14
	s_cbranch_execz .LBB147_10
; %bb.9:                                ;   in Loop: Header=BB147_2 Depth=1
	ds_load_b64 v[15:16], v17 offset:8
	s_wait_dscnt 0x1
	v_dual_mov_b32 v14, v10 :: v_dual_mov_b32 v13, v9
.LBB147_10:                             ;   in Loop: Header=BB147_2 Depth=1
	s_or_b32 exec_lo, exec_lo, s14
	v_add_nc_u32_e32 v17, 1, v26
	v_add_nc_u32_e32 v18, 1, v25
	s_wait_dscnt 0x0
	v_cmp_lt_i64_e64 s14, v[15:16], v[13:14]
	s_delay_alu instid0(VALU_DEP_3) | instskip(NEXT) | instid1(VALU_DEP_3)
	v_cndmask_b32_e64 v88, v17, v26, s13
	v_cndmask_b32_e64 v89, v25, v18, s13
                                        ; implicit-def: $vgpr17_vgpr18
	s_delay_alu instid0(VALU_DEP_2) | instskip(NEXT) | instid1(VALU_DEP_2)
	v_cmp_ge_i32_e64 s15, v88, v38
	v_cmp_lt_i32_e64 s16, v89, v39
	s_or_b32 s14, s15, s14
	s_wait_alu 0xfffe
	s_and_b32 s14, s16, s14
	s_wait_alu 0xfffe
	s_xor_b32 s15, s14, -1
	s_wait_alu 0xfffe
	s_and_saveexec_b32 s16, s15
	s_delay_alu instid0(SALU_CYCLE_1)
	s_xor_b32 s15, exec_lo, s16
; %bb.11:                               ;   in Loop: Header=BB147_2 Depth=1
	v_lshlrev_b32_e32 v17, 3, v88
	ds_load_b64 v[17:18], v17 offset:8
; %bb.12:                               ;   in Loop: Header=BB147_2 Depth=1
	s_wait_alu 0xfffe
	s_or_saveexec_b32 s15, s15
	v_dual_mov_b32 v20, v16 :: v_dual_mov_b32 v19, v15
	s_wait_alu 0xfffe
	s_xor_b32 exec_lo, exec_lo, s15
	s_cbranch_execz .LBB147_14
; %bb.13:                               ;   in Loop: Header=BB147_2 Depth=1
	s_wait_dscnt 0x0
	v_lshlrev_b32_e32 v17, 3, v89
	ds_load_b64 v[19:20], v17 offset:8
	v_dual_mov_b32 v18, v14 :: v_dual_mov_b32 v17, v13
.LBB147_14:                             ;   in Loop: Header=BB147_2 Depth=1
	s_or_b32 exec_lo, exec_lo, s15
	v_add_nc_u32_e32 v21, 1, v88
	v_add_nc_u32_e32 v22, 1, v89
	s_wait_dscnt 0x0
	v_cmp_lt_i64_e64 s15, v[19:20], v[17:18]
	s_delay_alu instid0(VALU_DEP_3) | instskip(NEXT) | instid1(VALU_DEP_3)
	v_cndmask_b32_e64 v90, v21, v88, s14
	v_cndmask_b32_e64 v91, v89, v22, s14
                                        ; implicit-def: $vgpr21_vgpr22
	s_delay_alu instid0(VALU_DEP_2) | instskip(NEXT) | instid1(VALU_DEP_2)
	v_cmp_ge_i32_e64 s16, v90, v38
	v_cmp_lt_i32_e64 s17, v91, v39
	s_or_b32 s15, s16, s15
	s_wait_alu 0xfffe
	s_and_b32 s15, s17, s15
	s_wait_alu 0xfffe
	s_xor_b32 s16, s15, -1
	s_delay_alu instid0(SALU_CYCLE_1) | instskip(NEXT) | instid1(SALU_CYCLE_1)
	s_and_saveexec_b32 s17, s16
	s_xor_b32 s16, exec_lo, s17
; %bb.15:                               ;   in Loop: Header=BB147_2 Depth=1
	v_lshlrev_b32_e32 v21, 3, v90
	ds_load_b64 v[21:22], v21 offset:8
; %bb.16:                               ;   in Loop: Header=BB147_2 Depth=1
	s_or_saveexec_b32 s16, s16
	v_dual_mov_b32 v24, v20 :: v_dual_mov_b32 v23, v19
	s_xor_b32 exec_lo, exec_lo, s16
	s_cbranch_execz .LBB147_18
; %bb.17:                               ;   in Loop: Header=BB147_2 Depth=1
	s_wait_dscnt 0x0
	v_lshlrev_b32_e32 v21, 3, v91
	ds_load_b64 v[23:24], v21 offset:8
	v_dual_mov_b32 v22, v18 :: v_dual_mov_b32 v21, v17
.LBB147_18:                             ;   in Loop: Header=BB147_2 Depth=1
	s_or_b32 exec_lo, exec_lo, s16
	v_add_nc_u32_e32 v92, 1, v91
	v_add_nc_u32_e32 v93, 1, v90
	v_cndmask_b32_e64 v94, v90, v91, s15
	v_cndmask_b32_e64 v88, v88, v89, s14
	;; [unrolled: 1-line block ×17, first 2 shown]
	s_wait_dscnt 0x0
	v_cmp_lt_i64_e64 s7, v[23:24], v[21:22]
	v_cmp_ge_i32_e64 s8, v90, v38
	v_cndmask_b32_e64 v2, v6, v3, s10
	v_cndmask_b32_e64 v1, v5, v8, s10
	v_cndmask_b32_e64 v92, v8, v5, s10
	v_cndmask_b32_e64 v8, v3, v6, s10
	v_cndmask_b32_e64 v4, v95, v26, s11
	v_cndmask_b32_e64 v26, v26, v95, s11
	v_cndmask_b32_e64 v3, v7, v91, s11
	v_cndmask_b32_e64 v7, v91, v7, s11
	v_cmp_lt_i32_e64 s9, v89, v39
	s_or_b32 s7, s8, s7
	v_cndmask_b32_e64 v6, v26, v8, s12
	v_cndmask_b32_e64 v8, v8, v26, s12
	;; [unrolled: 1-line block ×4, first 2 shown]
	s_wait_alu 0xfffe
	s_and_b32 s7, s9, s7
	s_wait_loadcnt 0x0
	s_wait_alu 0xfffe
	v_cndmask_b32_e64 v22, v22, v24, s7
	v_cndmask_b32_e64 v24, v90, v89, s7
	s_barrier_signal -1
	s_barrier_wait -1
	global_inv scope:SCOPE_SE
	ds_store_2addr_b64 v27, v[1:2], v[7:8] offset1:1
	ds_store_2addr_b64 v27, v[5:6], v[3:4] offset0:2 offset1:3
	v_lshlrev_b32_e32 v1, 3, v25
	v_lshlrev_b32_e32 v2, 3, v88
	;; [unrolled: 1-line block ×4, first 2 shown]
	s_wait_loadcnt_dscnt 0x0
	s_barrier_signal -1
	s_barrier_wait -1
	global_inv scope:SCOPE_SE
	ds_load_b64 v[5:6], v1
	ds_load_b64 v[7:8], v2
	;; [unrolled: 1-line block ×4, first 2 shown]
	v_cndmask_b32_e64 v14, v14, v16, s14
	v_cndmask_b32_e64 v13, v13, v15, s14
	;; [unrolled: 1-line block ×7, first 2 shown]
	s_wait_loadcnt_dscnt 0x0
	s_barrier_signal -1
	s_barrier_wait -1
	global_inv scope:SCOPE_SE
	ds_store_2addr_b64 v27, v[9:10], v[13:14] offset1:1
	ds_store_2addr_b64 v27, v[17:18], v[21:22] offset0:2 offset1:3
	v_mov_b32_e32 v13, v81
	s_wait_loadcnt_dscnt 0x0
	s_barrier_signal -1
	s_barrier_wait -1
	global_inv scope:SCOPE_SE
	s_and_saveexec_b32 s8, s1
	s_cbranch_execz .LBB147_22
; %bb.19:                               ;   in Loop: Header=BB147_2 Depth=1
	v_mov_b32_e32 v13, v81
	v_mov_b32_e32 v9, v74
	s_mov_b32 s9, 0
.LBB147_20:                             ;   Parent Loop BB147_2 Depth=1
                                        ; =>  This Inner Loop Header: Depth=2
	s_delay_alu instid0(VALU_DEP_1) | instskip(NEXT) | instid1(VALU_DEP_1)
	v_sub_nc_u32_e32 v10, v9, v13
	v_lshrrev_b32_e32 v10, 1, v10
	s_delay_alu instid0(VALU_DEP_1) | instskip(NEXT) | instid1(VALU_DEP_1)
	v_add_nc_u32_e32 v12, v10, v13
	v_not_b32_e32 v10, v12
	v_lshl_add_u32 v11, v12, 3, v43
	s_delay_alu instid0(VALU_DEP_2)
	v_lshl_add_u32 v14, v10, 3, v67
	ds_load_b64 v[10:11], v11
	ds_load_b64 v[14:15], v14
	s_wait_dscnt 0x0
	v_cmp_lt_i64_e64 s7, v[14:15], v[10:11]
	v_add_nc_u32_e32 v10, 1, v12
	s_wait_alu 0xf1ff
	s_delay_alu instid0(VALU_DEP_2) | instskip(NEXT) | instid1(VALU_DEP_2)
	v_cndmask_b32_e64 v9, v9, v12, s7
	v_cndmask_b32_e64 v13, v10, v13, s7
	s_delay_alu instid0(VALU_DEP_1)
	v_cmp_ge_i32_e64 s7, v13, v9
	s_wait_alu 0xfffe
	s_or_b32 s9, s7, s9
	s_wait_alu 0xfffe
	s_and_not1_b32 exec_lo, exec_lo, s9
	s_cbranch_execnz .LBB147_20
; %bb.21:                               ;   in Loop: Header=BB147_2 Depth=1
	s_or_b32 exec_lo, exec_lo, s9
.LBB147_22:                             ;   in Loop: Header=BB147_2 Depth=1
	s_wait_alu 0xfffe
	s_or_b32 exec_lo, exec_lo, s8
	v_sub_nc_u32_e32 v25, v60, v13
	v_lshl_add_u32 v15, v13, 3, v43
	v_add_nc_u32_e32 v26, v13, v29
                                        ; implicit-def: $vgpr13_vgpr14
	s_delay_alu instid0(VALU_DEP_3) | instskip(SKIP_1) | instid1(VALU_DEP_3)
	v_lshlrev_b32_e32 v17, 3, v25
	v_cmp_gt_i32_e64 s9, v42, v25
	v_cmp_le_i32_e64 s8, v41, v26
	ds_load_b64 v[9:10], v15
	ds_load_b64 v[11:12], v17
	s_wait_dscnt 0x0
	v_cmp_lt_i64_e64 s7, v[11:12], v[9:10]
	s_or_b32 s7, s8, s7
	s_wait_alu 0xfffe
	s_and_b32 s7, s9, s7
	s_wait_alu 0xfffe
	s_xor_b32 s8, s7, -1
	s_wait_alu 0xfffe
	s_and_saveexec_b32 s9, s8
	s_wait_alu 0xfffe
	s_xor_b32 s8, exec_lo, s9
; %bb.23:                               ;   in Loop: Header=BB147_2 Depth=1
	ds_load_b64 v[13:14], v15 offset:8
                                        ; implicit-def: $vgpr17
; %bb.24:                               ;   in Loop: Header=BB147_2 Depth=1
	s_wait_alu 0xfffe
	s_or_saveexec_b32 s8, s8
	v_dual_mov_b32 v16, v12 :: v_dual_mov_b32 v15, v11
	s_wait_alu 0xfffe
	s_xor_b32 exec_lo, exec_lo, s8
	s_cbranch_execz .LBB147_26
; %bb.25:                               ;   in Loop: Header=BB147_2 Depth=1
	ds_load_b64 v[15:16], v17 offset:8
	s_wait_dscnt 0x1
	v_dual_mov_b32 v14, v10 :: v_dual_mov_b32 v13, v9
.LBB147_26:                             ;   in Loop: Header=BB147_2 Depth=1
	s_or_b32 exec_lo, exec_lo, s8
	v_add_nc_u32_e32 v17, 1, v26
	v_add_nc_u32_e32 v18, 1, v25
	s_wait_dscnt 0x0
	v_cmp_lt_i64_e64 s8, v[15:16], v[13:14]
	s_delay_alu instid0(VALU_DEP_3) | instskip(NEXT) | instid1(VALU_DEP_3)
	v_cndmask_b32_e64 v88, v17, v26, s7
	v_cndmask_b32_e64 v89, v25, v18, s7
                                        ; implicit-def: $vgpr17_vgpr18
	s_delay_alu instid0(VALU_DEP_2) | instskip(NEXT) | instid1(VALU_DEP_2)
	v_cmp_ge_i32_e64 s9, v88, v41
	v_cmp_lt_i32_e64 s10, v89, v42
	s_or_b32 s8, s9, s8
	s_wait_alu 0xfffe
	s_and_b32 s8, s10, s8
	s_wait_alu 0xfffe
	s_xor_b32 s9, s8, -1
	s_wait_alu 0xfffe
	s_and_saveexec_b32 s10, s9
	s_wait_alu 0xfffe
	s_xor_b32 s9, exec_lo, s10
; %bb.27:                               ;   in Loop: Header=BB147_2 Depth=1
	v_lshlrev_b32_e32 v17, 3, v88
	ds_load_b64 v[17:18], v17 offset:8
; %bb.28:                               ;   in Loop: Header=BB147_2 Depth=1
	s_wait_alu 0xfffe
	s_or_saveexec_b32 s9, s9
	v_dual_mov_b32 v20, v16 :: v_dual_mov_b32 v19, v15
	s_wait_alu 0xfffe
	s_xor_b32 exec_lo, exec_lo, s9
	s_cbranch_execz .LBB147_30
; %bb.29:                               ;   in Loop: Header=BB147_2 Depth=1
	s_wait_dscnt 0x0
	v_lshlrev_b32_e32 v17, 3, v89
	ds_load_b64 v[19:20], v17 offset:8
	v_dual_mov_b32 v18, v14 :: v_dual_mov_b32 v17, v13
.LBB147_30:                             ;   in Loop: Header=BB147_2 Depth=1
	s_or_b32 exec_lo, exec_lo, s9
	v_add_nc_u32_e32 v21, 1, v88
	v_add_nc_u32_e32 v22, 1, v89
	s_wait_dscnt 0x0
	v_cmp_lt_i64_e64 s9, v[19:20], v[17:18]
	s_delay_alu instid0(VALU_DEP_3) | instskip(NEXT) | instid1(VALU_DEP_3)
	v_cndmask_b32_e64 v91, v21, v88, s8
	v_cndmask_b32_e64 v90, v89, v22, s8
                                        ; implicit-def: $vgpr21_vgpr22
	s_delay_alu instid0(VALU_DEP_2) | instskip(NEXT) | instid1(VALU_DEP_2)
	v_cmp_ge_i32_e64 s10, v91, v41
	v_cmp_lt_i32_e64 s11, v90, v42
	s_or_b32 s9, s10, s9
	s_wait_alu 0xfffe
	s_and_b32 s9, s11, s9
	s_wait_alu 0xfffe
	s_xor_b32 s10, s9, -1
	s_wait_alu 0xfffe
	s_and_saveexec_b32 s11, s10
	s_wait_alu 0xfffe
	s_xor_b32 s10, exec_lo, s11
; %bb.31:                               ;   in Loop: Header=BB147_2 Depth=1
	v_lshlrev_b32_e32 v21, 3, v91
	ds_load_b64 v[21:22], v21 offset:8
; %bb.32:                               ;   in Loop: Header=BB147_2 Depth=1
	s_wait_alu 0xfffe
	s_or_saveexec_b32 s10, s10
	v_dual_mov_b32 v24, v20 :: v_dual_mov_b32 v23, v19
	s_wait_alu 0xfffe
	s_xor_b32 exec_lo, exec_lo, s10
	s_cbranch_execz .LBB147_34
; %bb.33:                               ;   in Loop: Header=BB147_2 Depth=1
	s_wait_dscnt 0x0
	v_lshlrev_b32_e32 v21, 3, v90
	ds_load_b64 v[23:24], v21 offset:8
	v_dual_mov_b32 v22, v18 :: v_dual_mov_b32 v21, v17
.LBB147_34:                             ;   in Loop: Header=BB147_2 Depth=1
	s_or_b32 exec_lo, exec_lo, s10
	v_add_nc_u32_e32 v92, 1, v91
	v_add_nc_u32_e32 v93, 1, v90
	v_cndmask_b32_e64 v88, v88, v89, s8
	v_cndmask_b32_e64 v25, v26, v25, s7
	s_wait_dscnt 0x0
	v_cmp_lt_i64_e64 s10, v[23:24], v[21:22]
	v_cndmask_b32_e64 v89, v92, v91, s9
	v_cndmask_b32_e64 v26, v90, v93, s9
	;; [unrolled: 1-line block ×3, first 2 shown]
	s_wait_loadcnt 0x0
	s_barrier_signal -1
	v_cmp_ge_i32_e64 s11, v89, v41
	v_cmp_lt_i32_e64 s12, v26, v42
	s_barrier_wait -1
	global_inv scope:SCOPE_SE
	ds_store_2addr_b64 v27, v[5:6], v[7:8] offset1:1
	ds_store_2addr_b64 v27, v[1:2], v[3:4] offset0:2 offset1:3
	s_or_b32 s10, s11, s10
	v_lshlrev_b32_e32 v2, 3, v25
	s_wait_alu 0xfffe
	s_and_b32 s10, s12, s10
	v_lshlrev_b32_e32 v3, 3, v88
	s_wait_alu 0xfffe
	v_cndmask_b32_e64 v1, v89, v26, s10
	v_lshlrev_b32_e32 v4, 3, v94
	v_cndmask_b32_e64 v22, v22, v24, s10
	s_wait_loadcnt_dscnt 0x0
	s_barrier_signal -1
	v_lshlrev_b32_e32 v24, 3, v1
	s_barrier_wait -1
	global_inv scope:SCOPE_SE
	ds_load_b64 v[5:6], v2
	ds_load_b64 v[7:8], v3
	ds_load_b64 v[1:2], v4
	ds_load_b64 v[3:4], v24
	v_cndmask_b32_e64 v14, v14, v16, s8
	v_cndmask_b32_e64 v13, v13, v15, s8
	;; [unrolled: 1-line block ×7, first 2 shown]
	s_wait_loadcnt_dscnt 0x0
	s_barrier_signal -1
	s_barrier_wait -1
	global_inv scope:SCOPE_SE
	ds_store_2addr_b64 v27, v[9:10], v[13:14] offset1:1
	ds_store_2addr_b64 v27, v[17:18], v[21:22] offset0:2 offset1:3
	v_mov_b32_e32 v13, v82
	s_wait_loadcnt_dscnt 0x0
	s_barrier_signal -1
	s_barrier_wait -1
	global_inv scope:SCOPE_SE
	s_and_saveexec_b32 s8, s2
	s_cbranch_execz .LBB147_38
; %bb.35:                               ;   in Loop: Header=BB147_2 Depth=1
	v_mov_b32_e32 v13, v82
	v_mov_b32_e32 v9, v75
	s_mov_b32 s9, 0
.LBB147_36:                             ;   Parent Loop BB147_2 Depth=1
                                        ; =>  This Inner Loop Header: Depth=2
	s_delay_alu instid0(VALU_DEP_1) | instskip(NEXT) | instid1(VALU_DEP_1)
	v_sub_nc_u32_e32 v10, v9, v13
	v_lshrrev_b32_e32 v10, 1, v10
	s_delay_alu instid0(VALU_DEP_1) | instskip(NEXT) | instid1(VALU_DEP_1)
	v_add_nc_u32_e32 v12, v10, v13
	v_not_b32_e32 v10, v12
	v_lshl_add_u32 v11, v12, 3, v46
	s_delay_alu instid0(VALU_DEP_2)
	v_lshl_add_u32 v14, v10, 3, v68
	ds_load_b64 v[10:11], v11
	ds_load_b64 v[14:15], v14
	s_wait_dscnt 0x0
	v_cmp_lt_i64_e64 s7, v[14:15], v[10:11]
	v_add_nc_u32_e32 v10, 1, v12
	s_wait_alu 0xf1ff
	s_delay_alu instid0(VALU_DEP_2) | instskip(NEXT) | instid1(VALU_DEP_2)
	v_cndmask_b32_e64 v9, v9, v12, s7
	v_cndmask_b32_e64 v13, v10, v13, s7
	s_delay_alu instid0(VALU_DEP_1)
	v_cmp_ge_i32_e64 s7, v13, v9
	s_wait_alu 0xfffe
	s_or_b32 s9, s7, s9
	s_wait_alu 0xfffe
	s_and_not1_b32 exec_lo, exec_lo, s9
	s_cbranch_execnz .LBB147_36
; %bb.37:                               ;   in Loop: Header=BB147_2 Depth=1
	s_or_b32 exec_lo, exec_lo, s9
.LBB147_38:                             ;   in Loop: Header=BB147_2 Depth=1
	s_wait_alu 0xfffe
	s_or_b32 exec_lo, exec_lo, s8
	v_sub_nc_u32_e32 v25, v61, v13
	v_lshl_add_u32 v15, v13, 3, v46
	v_add_nc_u32_e32 v26, v13, v30
                                        ; implicit-def: $vgpr13_vgpr14
	s_delay_alu instid0(VALU_DEP_3) | instskip(SKIP_1) | instid1(VALU_DEP_3)
	v_lshlrev_b32_e32 v17, 3, v25
	v_cmp_gt_i32_e64 s9, v45, v25
	v_cmp_le_i32_e64 s8, v44, v26
	ds_load_b64 v[9:10], v15
	ds_load_b64 v[11:12], v17
	s_wait_dscnt 0x0
	v_cmp_lt_i64_e64 s7, v[11:12], v[9:10]
	s_or_b32 s7, s8, s7
	s_wait_alu 0xfffe
	s_and_b32 s7, s9, s7
	s_wait_alu 0xfffe
	s_xor_b32 s8, s7, -1
	s_wait_alu 0xfffe
	s_and_saveexec_b32 s9, s8
	s_wait_alu 0xfffe
	s_xor_b32 s8, exec_lo, s9
; %bb.39:                               ;   in Loop: Header=BB147_2 Depth=1
	ds_load_b64 v[13:14], v15 offset:8
                                        ; implicit-def: $vgpr17
; %bb.40:                               ;   in Loop: Header=BB147_2 Depth=1
	s_wait_alu 0xfffe
	s_or_saveexec_b32 s8, s8
	v_dual_mov_b32 v16, v12 :: v_dual_mov_b32 v15, v11
	s_wait_alu 0xfffe
	s_xor_b32 exec_lo, exec_lo, s8
	s_cbranch_execz .LBB147_42
; %bb.41:                               ;   in Loop: Header=BB147_2 Depth=1
	ds_load_b64 v[15:16], v17 offset:8
	s_wait_dscnt 0x1
	v_dual_mov_b32 v14, v10 :: v_dual_mov_b32 v13, v9
.LBB147_42:                             ;   in Loop: Header=BB147_2 Depth=1
	s_or_b32 exec_lo, exec_lo, s8
	v_add_nc_u32_e32 v17, 1, v26
	v_add_nc_u32_e32 v18, 1, v25
	s_wait_dscnt 0x0
	v_cmp_lt_i64_e64 s8, v[15:16], v[13:14]
	s_delay_alu instid0(VALU_DEP_3) | instskip(NEXT) | instid1(VALU_DEP_3)
	v_cndmask_b32_e64 v88, v17, v26, s7
	v_cndmask_b32_e64 v89, v25, v18, s7
                                        ; implicit-def: $vgpr17_vgpr18
	s_delay_alu instid0(VALU_DEP_2) | instskip(NEXT) | instid1(VALU_DEP_2)
	v_cmp_ge_i32_e64 s9, v88, v44
	v_cmp_lt_i32_e64 s10, v89, v45
	s_or_b32 s8, s9, s8
	s_wait_alu 0xfffe
	s_and_b32 s8, s10, s8
	s_wait_alu 0xfffe
	s_xor_b32 s9, s8, -1
	s_wait_alu 0xfffe
	s_and_saveexec_b32 s10, s9
	s_wait_alu 0xfffe
	s_xor_b32 s9, exec_lo, s10
; %bb.43:                               ;   in Loop: Header=BB147_2 Depth=1
	v_lshlrev_b32_e32 v17, 3, v88
	ds_load_b64 v[17:18], v17 offset:8
; %bb.44:                               ;   in Loop: Header=BB147_2 Depth=1
	s_wait_alu 0xfffe
	s_or_saveexec_b32 s9, s9
	v_dual_mov_b32 v20, v16 :: v_dual_mov_b32 v19, v15
	s_wait_alu 0xfffe
	s_xor_b32 exec_lo, exec_lo, s9
	s_cbranch_execz .LBB147_46
; %bb.45:                               ;   in Loop: Header=BB147_2 Depth=1
	s_wait_dscnt 0x0
	v_lshlrev_b32_e32 v17, 3, v89
	ds_load_b64 v[19:20], v17 offset:8
	v_dual_mov_b32 v18, v14 :: v_dual_mov_b32 v17, v13
.LBB147_46:                             ;   in Loop: Header=BB147_2 Depth=1
	s_or_b32 exec_lo, exec_lo, s9
	v_add_nc_u32_e32 v21, 1, v88
	v_add_nc_u32_e32 v22, 1, v89
	s_wait_dscnt 0x0
	v_cmp_lt_i64_e64 s9, v[19:20], v[17:18]
	s_delay_alu instid0(VALU_DEP_3) | instskip(NEXT) | instid1(VALU_DEP_3)
	v_cndmask_b32_e64 v91, v21, v88, s8
	v_cndmask_b32_e64 v90, v89, v22, s8
                                        ; implicit-def: $vgpr21_vgpr22
	s_delay_alu instid0(VALU_DEP_2) | instskip(NEXT) | instid1(VALU_DEP_2)
	v_cmp_ge_i32_e64 s10, v91, v44
	v_cmp_lt_i32_e64 s11, v90, v45
	s_or_b32 s9, s10, s9
	s_wait_alu 0xfffe
	s_and_b32 s9, s11, s9
	s_wait_alu 0xfffe
	s_xor_b32 s10, s9, -1
	s_wait_alu 0xfffe
	s_and_saveexec_b32 s11, s10
	s_wait_alu 0xfffe
	s_xor_b32 s10, exec_lo, s11
; %bb.47:                               ;   in Loop: Header=BB147_2 Depth=1
	v_lshlrev_b32_e32 v21, 3, v91
	ds_load_b64 v[21:22], v21 offset:8
; %bb.48:                               ;   in Loop: Header=BB147_2 Depth=1
	s_wait_alu 0xfffe
	s_or_saveexec_b32 s10, s10
	v_dual_mov_b32 v24, v20 :: v_dual_mov_b32 v23, v19
	s_wait_alu 0xfffe
	s_xor_b32 exec_lo, exec_lo, s10
	s_cbranch_execz .LBB147_50
; %bb.49:                               ;   in Loop: Header=BB147_2 Depth=1
	s_wait_dscnt 0x0
	v_lshlrev_b32_e32 v21, 3, v90
	ds_load_b64 v[23:24], v21 offset:8
	v_dual_mov_b32 v22, v18 :: v_dual_mov_b32 v21, v17
.LBB147_50:                             ;   in Loop: Header=BB147_2 Depth=1
	s_or_b32 exec_lo, exec_lo, s10
	v_add_nc_u32_e32 v92, 1, v91
	v_add_nc_u32_e32 v93, 1, v90
	v_cndmask_b32_e64 v88, v88, v89, s8
	v_cndmask_b32_e64 v25, v26, v25, s7
	s_wait_dscnt 0x0
	v_cmp_lt_i64_e64 s10, v[23:24], v[21:22]
	v_cndmask_b32_e64 v89, v92, v91, s9
	v_cndmask_b32_e64 v26, v90, v93, s9
	;; [unrolled: 1-line block ×3, first 2 shown]
	s_wait_loadcnt 0x0
	s_barrier_signal -1
	v_cmp_ge_i32_e64 s11, v89, v44
	v_cmp_lt_i32_e64 s12, v26, v45
	s_barrier_wait -1
	global_inv scope:SCOPE_SE
	ds_store_2addr_b64 v27, v[5:6], v[7:8] offset1:1
	ds_store_2addr_b64 v27, v[1:2], v[3:4] offset0:2 offset1:3
	s_or_b32 s10, s11, s10
	v_lshlrev_b32_e32 v2, 3, v25
	s_wait_alu 0xfffe
	s_and_b32 s10, s12, s10
	v_lshlrev_b32_e32 v3, 3, v88
	s_wait_alu 0xfffe
	v_cndmask_b32_e64 v1, v89, v26, s10
	v_lshlrev_b32_e32 v4, 3, v94
	v_cndmask_b32_e64 v22, v22, v24, s10
	s_wait_loadcnt_dscnt 0x0
	s_barrier_signal -1
	v_lshlrev_b32_e32 v24, 3, v1
	s_barrier_wait -1
	global_inv scope:SCOPE_SE
	ds_load_b64 v[5:6], v2
	ds_load_b64 v[7:8], v3
	;; [unrolled: 1-line block ×4, first 2 shown]
	v_cndmask_b32_e64 v14, v14, v16, s8
	v_cndmask_b32_e64 v13, v13, v15, s8
	;; [unrolled: 1-line block ×7, first 2 shown]
	s_wait_loadcnt_dscnt 0x0
	s_barrier_signal -1
	s_barrier_wait -1
	global_inv scope:SCOPE_SE
	ds_store_2addr_b64 v27, v[9:10], v[13:14] offset1:1
	ds_store_2addr_b64 v27, v[17:18], v[21:22] offset0:2 offset1:3
	v_mov_b32_e32 v13, v83
	s_wait_loadcnt_dscnt 0x0
	s_barrier_signal -1
	s_barrier_wait -1
	global_inv scope:SCOPE_SE
	s_and_saveexec_b32 s8, s3
	s_cbranch_execz .LBB147_54
; %bb.51:                               ;   in Loop: Header=BB147_2 Depth=1
	v_mov_b32_e32 v13, v83
	v_mov_b32_e32 v9, v76
	s_mov_b32 s9, 0
.LBB147_52:                             ;   Parent Loop BB147_2 Depth=1
                                        ; =>  This Inner Loop Header: Depth=2
	s_delay_alu instid0(VALU_DEP_1) | instskip(NEXT) | instid1(VALU_DEP_1)
	v_sub_nc_u32_e32 v10, v9, v13
	v_lshrrev_b32_e32 v10, 1, v10
	s_delay_alu instid0(VALU_DEP_1) | instskip(NEXT) | instid1(VALU_DEP_1)
	v_add_nc_u32_e32 v12, v10, v13
	v_not_b32_e32 v10, v12
	v_lshl_add_u32 v11, v12, 3, v49
	s_delay_alu instid0(VALU_DEP_2)
	v_lshl_add_u32 v14, v10, 3, v69
	ds_load_b64 v[10:11], v11
	ds_load_b64 v[14:15], v14
	s_wait_dscnt 0x0
	v_cmp_lt_i64_e64 s7, v[14:15], v[10:11]
	v_add_nc_u32_e32 v10, 1, v12
	s_wait_alu 0xf1ff
	s_delay_alu instid0(VALU_DEP_2) | instskip(NEXT) | instid1(VALU_DEP_2)
	v_cndmask_b32_e64 v9, v9, v12, s7
	v_cndmask_b32_e64 v13, v10, v13, s7
	s_delay_alu instid0(VALU_DEP_1)
	v_cmp_ge_i32_e64 s7, v13, v9
	s_wait_alu 0xfffe
	s_or_b32 s9, s7, s9
	s_wait_alu 0xfffe
	s_and_not1_b32 exec_lo, exec_lo, s9
	s_cbranch_execnz .LBB147_52
; %bb.53:                               ;   in Loop: Header=BB147_2 Depth=1
	s_or_b32 exec_lo, exec_lo, s9
.LBB147_54:                             ;   in Loop: Header=BB147_2 Depth=1
	s_wait_alu 0xfffe
	s_or_b32 exec_lo, exec_lo, s8
	v_sub_nc_u32_e32 v25, v62, v13
	v_lshl_add_u32 v15, v13, 3, v49
	v_add_nc_u32_e32 v26, v13, v31
                                        ; implicit-def: $vgpr13_vgpr14
	s_delay_alu instid0(VALU_DEP_3) | instskip(SKIP_1) | instid1(VALU_DEP_3)
	v_lshlrev_b32_e32 v17, 3, v25
	v_cmp_gt_i32_e64 s9, v48, v25
	v_cmp_le_i32_e64 s8, v47, v26
	ds_load_b64 v[9:10], v15
	ds_load_b64 v[11:12], v17
	s_wait_dscnt 0x0
	v_cmp_lt_i64_e64 s7, v[11:12], v[9:10]
	s_or_b32 s7, s8, s7
	s_wait_alu 0xfffe
	s_and_b32 s7, s9, s7
	s_wait_alu 0xfffe
	s_xor_b32 s8, s7, -1
	s_wait_alu 0xfffe
	s_and_saveexec_b32 s9, s8
	s_wait_alu 0xfffe
	s_xor_b32 s8, exec_lo, s9
; %bb.55:                               ;   in Loop: Header=BB147_2 Depth=1
	ds_load_b64 v[13:14], v15 offset:8
                                        ; implicit-def: $vgpr17
; %bb.56:                               ;   in Loop: Header=BB147_2 Depth=1
	s_wait_alu 0xfffe
	s_or_saveexec_b32 s8, s8
	v_dual_mov_b32 v16, v12 :: v_dual_mov_b32 v15, v11
	s_wait_alu 0xfffe
	s_xor_b32 exec_lo, exec_lo, s8
	s_cbranch_execz .LBB147_58
; %bb.57:                               ;   in Loop: Header=BB147_2 Depth=1
	ds_load_b64 v[15:16], v17 offset:8
	s_wait_dscnt 0x1
	v_dual_mov_b32 v14, v10 :: v_dual_mov_b32 v13, v9
.LBB147_58:                             ;   in Loop: Header=BB147_2 Depth=1
	s_or_b32 exec_lo, exec_lo, s8
	v_add_nc_u32_e32 v17, 1, v26
	v_add_nc_u32_e32 v18, 1, v25
	s_wait_dscnt 0x0
	v_cmp_lt_i64_e64 s8, v[15:16], v[13:14]
	s_delay_alu instid0(VALU_DEP_3) | instskip(NEXT) | instid1(VALU_DEP_3)
	v_cndmask_b32_e64 v88, v17, v26, s7
	v_cndmask_b32_e64 v89, v25, v18, s7
                                        ; implicit-def: $vgpr17_vgpr18
	s_delay_alu instid0(VALU_DEP_2) | instskip(NEXT) | instid1(VALU_DEP_2)
	v_cmp_ge_i32_e64 s9, v88, v47
	v_cmp_lt_i32_e64 s10, v89, v48
	s_or_b32 s8, s9, s8
	s_wait_alu 0xfffe
	s_and_b32 s8, s10, s8
	s_wait_alu 0xfffe
	s_xor_b32 s9, s8, -1
	s_wait_alu 0xfffe
	s_and_saveexec_b32 s10, s9
	s_wait_alu 0xfffe
	s_xor_b32 s9, exec_lo, s10
; %bb.59:                               ;   in Loop: Header=BB147_2 Depth=1
	v_lshlrev_b32_e32 v17, 3, v88
	ds_load_b64 v[17:18], v17 offset:8
; %bb.60:                               ;   in Loop: Header=BB147_2 Depth=1
	s_wait_alu 0xfffe
	s_or_saveexec_b32 s9, s9
	v_dual_mov_b32 v20, v16 :: v_dual_mov_b32 v19, v15
	s_wait_alu 0xfffe
	s_xor_b32 exec_lo, exec_lo, s9
	s_cbranch_execz .LBB147_62
; %bb.61:                               ;   in Loop: Header=BB147_2 Depth=1
	s_wait_dscnt 0x0
	v_lshlrev_b32_e32 v17, 3, v89
	ds_load_b64 v[19:20], v17 offset:8
	v_dual_mov_b32 v18, v14 :: v_dual_mov_b32 v17, v13
.LBB147_62:                             ;   in Loop: Header=BB147_2 Depth=1
	s_or_b32 exec_lo, exec_lo, s9
	v_add_nc_u32_e32 v21, 1, v88
	v_add_nc_u32_e32 v22, 1, v89
	s_wait_dscnt 0x0
	v_cmp_lt_i64_e64 s9, v[19:20], v[17:18]
	s_delay_alu instid0(VALU_DEP_3) | instskip(NEXT) | instid1(VALU_DEP_3)
	v_cndmask_b32_e64 v91, v21, v88, s8
	v_cndmask_b32_e64 v90, v89, v22, s8
                                        ; implicit-def: $vgpr21_vgpr22
	s_delay_alu instid0(VALU_DEP_2) | instskip(NEXT) | instid1(VALU_DEP_2)
	v_cmp_ge_i32_e64 s10, v91, v47
	v_cmp_lt_i32_e64 s11, v90, v48
	s_or_b32 s9, s10, s9
	s_wait_alu 0xfffe
	s_and_b32 s9, s11, s9
	s_wait_alu 0xfffe
	s_xor_b32 s10, s9, -1
	s_wait_alu 0xfffe
	s_and_saveexec_b32 s11, s10
	s_wait_alu 0xfffe
	s_xor_b32 s10, exec_lo, s11
; %bb.63:                               ;   in Loop: Header=BB147_2 Depth=1
	v_lshlrev_b32_e32 v21, 3, v91
	ds_load_b64 v[21:22], v21 offset:8
; %bb.64:                               ;   in Loop: Header=BB147_2 Depth=1
	s_wait_alu 0xfffe
	s_or_saveexec_b32 s10, s10
	v_dual_mov_b32 v24, v20 :: v_dual_mov_b32 v23, v19
	s_wait_alu 0xfffe
	s_xor_b32 exec_lo, exec_lo, s10
	s_cbranch_execz .LBB147_66
; %bb.65:                               ;   in Loop: Header=BB147_2 Depth=1
	s_wait_dscnt 0x0
	v_lshlrev_b32_e32 v21, 3, v90
	ds_load_b64 v[23:24], v21 offset:8
	v_dual_mov_b32 v22, v18 :: v_dual_mov_b32 v21, v17
.LBB147_66:                             ;   in Loop: Header=BB147_2 Depth=1
	s_or_b32 exec_lo, exec_lo, s10
	v_add_nc_u32_e32 v92, 1, v91
	v_add_nc_u32_e32 v93, 1, v90
	v_cndmask_b32_e64 v88, v88, v89, s8
	v_cndmask_b32_e64 v25, v26, v25, s7
	s_wait_dscnt 0x0
	v_cmp_lt_i64_e64 s10, v[23:24], v[21:22]
	v_cndmask_b32_e64 v89, v92, v91, s9
	v_cndmask_b32_e64 v26, v90, v93, s9
	;; [unrolled: 1-line block ×3, first 2 shown]
	s_wait_loadcnt 0x0
	s_barrier_signal -1
	v_cmp_ge_i32_e64 s11, v89, v47
	v_cmp_lt_i32_e64 s12, v26, v48
	s_barrier_wait -1
	global_inv scope:SCOPE_SE
	ds_store_2addr_b64 v27, v[5:6], v[7:8] offset1:1
	ds_store_2addr_b64 v27, v[1:2], v[3:4] offset0:2 offset1:3
	s_or_b32 s10, s11, s10
	v_lshlrev_b32_e32 v2, 3, v25
	s_wait_alu 0xfffe
	s_and_b32 s10, s12, s10
	v_lshlrev_b32_e32 v3, 3, v88
	s_wait_alu 0xfffe
	v_cndmask_b32_e64 v1, v89, v26, s10
	v_lshlrev_b32_e32 v4, 3, v94
	v_cndmask_b32_e64 v22, v22, v24, s10
	s_wait_loadcnt_dscnt 0x0
	s_barrier_signal -1
	v_lshlrev_b32_e32 v24, 3, v1
	s_barrier_wait -1
	global_inv scope:SCOPE_SE
	ds_load_b64 v[5:6], v2
	ds_load_b64 v[7:8], v3
	;; [unrolled: 1-line block ×4, first 2 shown]
	v_cndmask_b32_e64 v14, v14, v16, s8
	v_cndmask_b32_e64 v13, v13, v15, s8
	;; [unrolled: 1-line block ×7, first 2 shown]
	s_wait_loadcnt_dscnt 0x0
	s_barrier_signal -1
	s_barrier_wait -1
	global_inv scope:SCOPE_SE
	ds_store_2addr_b64 v27, v[9:10], v[13:14] offset1:1
	ds_store_2addr_b64 v27, v[17:18], v[21:22] offset0:2 offset1:3
	v_mov_b32_e32 v13, v84
	s_wait_loadcnt_dscnt 0x0
	s_barrier_signal -1
	s_barrier_wait -1
	global_inv scope:SCOPE_SE
	s_and_saveexec_b32 s8, s4
	s_cbranch_execz .LBB147_70
; %bb.67:                               ;   in Loop: Header=BB147_2 Depth=1
	v_mov_b32_e32 v13, v84
	v_mov_b32_e32 v9, v77
	s_mov_b32 s9, 0
.LBB147_68:                             ;   Parent Loop BB147_2 Depth=1
                                        ; =>  This Inner Loop Header: Depth=2
	s_delay_alu instid0(VALU_DEP_1) | instskip(NEXT) | instid1(VALU_DEP_1)
	v_sub_nc_u32_e32 v10, v9, v13
	v_lshrrev_b32_e32 v10, 1, v10
	s_delay_alu instid0(VALU_DEP_1) | instskip(NEXT) | instid1(VALU_DEP_1)
	v_add_nc_u32_e32 v12, v10, v13
	v_not_b32_e32 v10, v12
	v_lshl_add_u32 v11, v12, 3, v52
	s_delay_alu instid0(VALU_DEP_2)
	v_lshl_add_u32 v14, v10, 3, v70
	ds_load_b64 v[10:11], v11
	ds_load_b64 v[14:15], v14
	s_wait_dscnt 0x0
	v_cmp_lt_i64_e64 s7, v[14:15], v[10:11]
	v_add_nc_u32_e32 v10, 1, v12
	s_wait_alu 0xf1ff
	s_delay_alu instid0(VALU_DEP_2) | instskip(NEXT) | instid1(VALU_DEP_2)
	v_cndmask_b32_e64 v9, v9, v12, s7
	v_cndmask_b32_e64 v13, v10, v13, s7
	s_delay_alu instid0(VALU_DEP_1)
	v_cmp_ge_i32_e64 s7, v13, v9
	s_wait_alu 0xfffe
	s_or_b32 s9, s7, s9
	s_wait_alu 0xfffe
	s_and_not1_b32 exec_lo, exec_lo, s9
	s_cbranch_execnz .LBB147_68
; %bb.69:                               ;   in Loop: Header=BB147_2 Depth=1
	s_or_b32 exec_lo, exec_lo, s9
.LBB147_70:                             ;   in Loop: Header=BB147_2 Depth=1
	s_wait_alu 0xfffe
	s_or_b32 exec_lo, exec_lo, s8
	v_sub_nc_u32_e32 v25, v63, v13
	v_lshl_add_u32 v15, v13, 3, v52
	v_add_nc_u32_e32 v26, v13, v32
                                        ; implicit-def: $vgpr13_vgpr14
	s_delay_alu instid0(VALU_DEP_3) | instskip(SKIP_1) | instid1(VALU_DEP_3)
	v_lshlrev_b32_e32 v17, 3, v25
	v_cmp_gt_i32_e64 s9, v51, v25
	v_cmp_le_i32_e64 s8, v50, v26
	ds_load_b64 v[9:10], v15
	ds_load_b64 v[11:12], v17
	s_wait_dscnt 0x0
	v_cmp_lt_i64_e64 s7, v[11:12], v[9:10]
	s_or_b32 s7, s8, s7
	s_wait_alu 0xfffe
	s_and_b32 s7, s9, s7
	s_wait_alu 0xfffe
	s_xor_b32 s8, s7, -1
	s_wait_alu 0xfffe
	s_and_saveexec_b32 s9, s8
	s_wait_alu 0xfffe
	s_xor_b32 s8, exec_lo, s9
; %bb.71:                               ;   in Loop: Header=BB147_2 Depth=1
	ds_load_b64 v[13:14], v15 offset:8
                                        ; implicit-def: $vgpr17
; %bb.72:                               ;   in Loop: Header=BB147_2 Depth=1
	s_wait_alu 0xfffe
	s_or_saveexec_b32 s8, s8
	v_dual_mov_b32 v16, v12 :: v_dual_mov_b32 v15, v11
	s_wait_alu 0xfffe
	s_xor_b32 exec_lo, exec_lo, s8
	s_cbranch_execz .LBB147_74
; %bb.73:                               ;   in Loop: Header=BB147_2 Depth=1
	ds_load_b64 v[15:16], v17 offset:8
	s_wait_dscnt 0x1
	v_dual_mov_b32 v14, v10 :: v_dual_mov_b32 v13, v9
.LBB147_74:                             ;   in Loop: Header=BB147_2 Depth=1
	s_or_b32 exec_lo, exec_lo, s8
	v_add_nc_u32_e32 v17, 1, v26
	v_add_nc_u32_e32 v18, 1, v25
	s_wait_dscnt 0x0
	v_cmp_lt_i64_e64 s8, v[15:16], v[13:14]
	s_delay_alu instid0(VALU_DEP_3) | instskip(NEXT) | instid1(VALU_DEP_3)
	v_cndmask_b32_e64 v88, v17, v26, s7
	v_cndmask_b32_e64 v89, v25, v18, s7
                                        ; implicit-def: $vgpr17_vgpr18
	s_delay_alu instid0(VALU_DEP_2) | instskip(NEXT) | instid1(VALU_DEP_2)
	v_cmp_ge_i32_e64 s9, v88, v50
	v_cmp_lt_i32_e64 s10, v89, v51
	s_or_b32 s8, s9, s8
	s_wait_alu 0xfffe
	s_and_b32 s8, s10, s8
	s_wait_alu 0xfffe
	s_xor_b32 s9, s8, -1
	s_wait_alu 0xfffe
	s_and_saveexec_b32 s10, s9
	s_wait_alu 0xfffe
	s_xor_b32 s9, exec_lo, s10
; %bb.75:                               ;   in Loop: Header=BB147_2 Depth=1
	v_lshlrev_b32_e32 v17, 3, v88
	ds_load_b64 v[17:18], v17 offset:8
; %bb.76:                               ;   in Loop: Header=BB147_2 Depth=1
	s_wait_alu 0xfffe
	s_or_saveexec_b32 s9, s9
	v_dual_mov_b32 v20, v16 :: v_dual_mov_b32 v19, v15
	s_wait_alu 0xfffe
	s_xor_b32 exec_lo, exec_lo, s9
	s_cbranch_execz .LBB147_78
; %bb.77:                               ;   in Loop: Header=BB147_2 Depth=1
	s_wait_dscnt 0x0
	v_lshlrev_b32_e32 v17, 3, v89
	ds_load_b64 v[19:20], v17 offset:8
	v_dual_mov_b32 v18, v14 :: v_dual_mov_b32 v17, v13
.LBB147_78:                             ;   in Loop: Header=BB147_2 Depth=1
	s_or_b32 exec_lo, exec_lo, s9
	v_add_nc_u32_e32 v21, 1, v88
	v_add_nc_u32_e32 v22, 1, v89
	s_wait_dscnt 0x0
	v_cmp_lt_i64_e64 s9, v[19:20], v[17:18]
	s_delay_alu instid0(VALU_DEP_3) | instskip(NEXT) | instid1(VALU_DEP_3)
	v_cndmask_b32_e64 v91, v21, v88, s8
	v_cndmask_b32_e64 v90, v89, v22, s8
                                        ; implicit-def: $vgpr21_vgpr22
	s_delay_alu instid0(VALU_DEP_2) | instskip(NEXT) | instid1(VALU_DEP_2)
	v_cmp_ge_i32_e64 s10, v91, v50
	v_cmp_lt_i32_e64 s11, v90, v51
	s_or_b32 s9, s10, s9
	s_wait_alu 0xfffe
	s_and_b32 s9, s11, s9
	s_wait_alu 0xfffe
	s_xor_b32 s10, s9, -1
	s_wait_alu 0xfffe
	s_and_saveexec_b32 s11, s10
	s_wait_alu 0xfffe
	s_xor_b32 s10, exec_lo, s11
; %bb.79:                               ;   in Loop: Header=BB147_2 Depth=1
	v_lshlrev_b32_e32 v21, 3, v91
	ds_load_b64 v[21:22], v21 offset:8
; %bb.80:                               ;   in Loop: Header=BB147_2 Depth=1
	s_wait_alu 0xfffe
	s_or_saveexec_b32 s10, s10
	v_dual_mov_b32 v24, v20 :: v_dual_mov_b32 v23, v19
	s_wait_alu 0xfffe
	s_xor_b32 exec_lo, exec_lo, s10
	s_cbranch_execz .LBB147_82
; %bb.81:                               ;   in Loop: Header=BB147_2 Depth=1
	s_wait_dscnt 0x0
	v_lshlrev_b32_e32 v21, 3, v90
	ds_load_b64 v[23:24], v21 offset:8
	v_dual_mov_b32 v22, v18 :: v_dual_mov_b32 v21, v17
.LBB147_82:                             ;   in Loop: Header=BB147_2 Depth=1
	s_or_b32 exec_lo, exec_lo, s10
	v_add_nc_u32_e32 v92, 1, v91
	v_add_nc_u32_e32 v93, 1, v90
	v_cndmask_b32_e64 v88, v88, v89, s8
	v_cndmask_b32_e64 v25, v26, v25, s7
	s_wait_dscnt 0x0
	v_cmp_lt_i64_e64 s10, v[23:24], v[21:22]
	v_cndmask_b32_e64 v89, v92, v91, s9
	v_cndmask_b32_e64 v26, v90, v93, s9
	;; [unrolled: 1-line block ×3, first 2 shown]
	s_wait_loadcnt 0x0
	s_barrier_signal -1
	v_cmp_ge_i32_e64 s11, v89, v50
	v_cmp_lt_i32_e64 s12, v26, v51
	s_barrier_wait -1
	global_inv scope:SCOPE_SE
	ds_store_2addr_b64 v27, v[5:6], v[7:8] offset1:1
	ds_store_2addr_b64 v27, v[1:2], v[3:4] offset0:2 offset1:3
	s_or_b32 s10, s11, s10
	v_lshlrev_b32_e32 v2, 3, v25
	s_wait_alu 0xfffe
	s_and_b32 s10, s12, s10
	v_lshlrev_b32_e32 v3, 3, v88
	s_wait_alu 0xfffe
	v_cndmask_b32_e64 v1, v89, v26, s10
	v_lshlrev_b32_e32 v4, 3, v94
	v_cndmask_b32_e64 v22, v22, v24, s10
	s_wait_loadcnt_dscnt 0x0
	s_barrier_signal -1
	v_lshlrev_b32_e32 v24, 3, v1
	s_barrier_wait -1
	global_inv scope:SCOPE_SE
	ds_load_b64 v[5:6], v2
	ds_load_b64 v[7:8], v3
	;; [unrolled: 1-line block ×4, first 2 shown]
	v_cndmask_b32_e64 v14, v14, v16, s8
	v_cndmask_b32_e64 v13, v13, v15, s8
	;; [unrolled: 1-line block ×7, first 2 shown]
	s_wait_loadcnt_dscnt 0x0
	s_barrier_signal -1
	s_barrier_wait -1
	global_inv scope:SCOPE_SE
	ds_store_2addr_b64 v27, v[9:10], v[13:14] offset1:1
	ds_store_2addr_b64 v27, v[17:18], v[21:22] offset0:2 offset1:3
	v_mov_b32_e32 v13, v85
	s_wait_loadcnt_dscnt 0x0
	s_barrier_signal -1
	s_barrier_wait -1
	global_inv scope:SCOPE_SE
	s_and_saveexec_b32 s8, s5
	s_cbranch_execz .LBB147_86
; %bb.83:                               ;   in Loop: Header=BB147_2 Depth=1
	v_mov_b32_e32 v13, v85
	v_mov_b32_e32 v9, v78
	s_mov_b32 s9, 0
.LBB147_84:                             ;   Parent Loop BB147_2 Depth=1
                                        ; =>  This Inner Loop Header: Depth=2
	s_delay_alu instid0(VALU_DEP_1) | instskip(NEXT) | instid1(VALU_DEP_1)
	v_sub_nc_u32_e32 v10, v9, v13
	v_lshrrev_b32_e32 v10, 1, v10
	s_delay_alu instid0(VALU_DEP_1) | instskip(NEXT) | instid1(VALU_DEP_1)
	v_add_nc_u32_e32 v12, v10, v13
	v_not_b32_e32 v10, v12
	v_lshl_add_u32 v11, v12, 3, v55
	s_delay_alu instid0(VALU_DEP_2)
	v_lshl_add_u32 v14, v10, 3, v71
	ds_load_b64 v[10:11], v11
	ds_load_b64 v[14:15], v14
	s_wait_dscnt 0x0
	v_cmp_lt_i64_e64 s7, v[14:15], v[10:11]
	v_add_nc_u32_e32 v10, 1, v12
	s_wait_alu 0xf1ff
	s_delay_alu instid0(VALU_DEP_2) | instskip(NEXT) | instid1(VALU_DEP_2)
	v_cndmask_b32_e64 v9, v9, v12, s7
	v_cndmask_b32_e64 v13, v10, v13, s7
	s_delay_alu instid0(VALU_DEP_1)
	v_cmp_ge_i32_e64 s7, v13, v9
	s_wait_alu 0xfffe
	s_or_b32 s9, s7, s9
	s_wait_alu 0xfffe
	s_and_not1_b32 exec_lo, exec_lo, s9
	s_cbranch_execnz .LBB147_84
; %bb.85:                               ;   in Loop: Header=BB147_2 Depth=1
	s_or_b32 exec_lo, exec_lo, s9
.LBB147_86:                             ;   in Loop: Header=BB147_2 Depth=1
	s_wait_alu 0xfffe
	s_or_b32 exec_lo, exec_lo, s8
	v_sub_nc_u32_e32 v25, v64, v13
	v_lshl_add_u32 v15, v13, 3, v55
	v_add_nc_u32_e32 v26, v13, v33
                                        ; implicit-def: $vgpr13_vgpr14
	s_delay_alu instid0(VALU_DEP_3) | instskip(SKIP_1) | instid1(VALU_DEP_3)
	v_lshlrev_b32_e32 v17, 3, v25
	v_cmp_gt_i32_e64 s9, v54, v25
	v_cmp_le_i32_e64 s8, v53, v26
	ds_load_b64 v[9:10], v15
	ds_load_b64 v[11:12], v17
	s_wait_dscnt 0x0
	v_cmp_lt_i64_e64 s7, v[11:12], v[9:10]
	s_or_b32 s7, s8, s7
	s_wait_alu 0xfffe
	s_and_b32 s7, s9, s7
	s_wait_alu 0xfffe
	s_xor_b32 s8, s7, -1
	s_wait_alu 0xfffe
	s_and_saveexec_b32 s9, s8
	s_wait_alu 0xfffe
	s_xor_b32 s8, exec_lo, s9
; %bb.87:                               ;   in Loop: Header=BB147_2 Depth=1
	ds_load_b64 v[13:14], v15 offset:8
                                        ; implicit-def: $vgpr17
; %bb.88:                               ;   in Loop: Header=BB147_2 Depth=1
	s_wait_alu 0xfffe
	s_or_saveexec_b32 s8, s8
	v_dual_mov_b32 v16, v12 :: v_dual_mov_b32 v15, v11
	s_wait_alu 0xfffe
	s_xor_b32 exec_lo, exec_lo, s8
	s_cbranch_execz .LBB147_90
; %bb.89:                               ;   in Loop: Header=BB147_2 Depth=1
	ds_load_b64 v[15:16], v17 offset:8
	s_wait_dscnt 0x1
	v_dual_mov_b32 v14, v10 :: v_dual_mov_b32 v13, v9
.LBB147_90:                             ;   in Loop: Header=BB147_2 Depth=1
	s_or_b32 exec_lo, exec_lo, s8
	v_add_nc_u32_e32 v17, 1, v26
	v_add_nc_u32_e32 v18, 1, v25
	s_wait_dscnt 0x0
	v_cmp_lt_i64_e64 s8, v[15:16], v[13:14]
	s_delay_alu instid0(VALU_DEP_3) | instskip(NEXT) | instid1(VALU_DEP_3)
	v_cndmask_b32_e64 v88, v17, v26, s7
	v_cndmask_b32_e64 v89, v25, v18, s7
                                        ; implicit-def: $vgpr17_vgpr18
	s_delay_alu instid0(VALU_DEP_2) | instskip(NEXT) | instid1(VALU_DEP_2)
	v_cmp_ge_i32_e64 s9, v88, v53
	v_cmp_lt_i32_e64 s10, v89, v54
	s_or_b32 s8, s9, s8
	s_wait_alu 0xfffe
	s_and_b32 s8, s10, s8
	s_wait_alu 0xfffe
	s_xor_b32 s9, s8, -1
	s_wait_alu 0xfffe
	s_and_saveexec_b32 s10, s9
	s_wait_alu 0xfffe
	s_xor_b32 s9, exec_lo, s10
; %bb.91:                               ;   in Loop: Header=BB147_2 Depth=1
	v_lshlrev_b32_e32 v17, 3, v88
	ds_load_b64 v[17:18], v17 offset:8
; %bb.92:                               ;   in Loop: Header=BB147_2 Depth=1
	s_wait_alu 0xfffe
	s_or_saveexec_b32 s9, s9
	v_dual_mov_b32 v20, v16 :: v_dual_mov_b32 v19, v15
	s_wait_alu 0xfffe
	s_xor_b32 exec_lo, exec_lo, s9
	s_cbranch_execz .LBB147_94
; %bb.93:                               ;   in Loop: Header=BB147_2 Depth=1
	s_wait_dscnt 0x0
	v_lshlrev_b32_e32 v17, 3, v89
	ds_load_b64 v[19:20], v17 offset:8
	v_dual_mov_b32 v18, v14 :: v_dual_mov_b32 v17, v13
.LBB147_94:                             ;   in Loop: Header=BB147_2 Depth=1
	s_or_b32 exec_lo, exec_lo, s9
	v_add_nc_u32_e32 v21, 1, v88
	v_add_nc_u32_e32 v22, 1, v89
	s_wait_dscnt 0x0
	v_cmp_lt_i64_e64 s9, v[19:20], v[17:18]
	s_delay_alu instid0(VALU_DEP_3) | instskip(NEXT) | instid1(VALU_DEP_3)
	v_cndmask_b32_e64 v91, v21, v88, s8
	v_cndmask_b32_e64 v90, v89, v22, s8
                                        ; implicit-def: $vgpr21_vgpr22
	s_delay_alu instid0(VALU_DEP_2) | instskip(NEXT) | instid1(VALU_DEP_2)
	v_cmp_ge_i32_e64 s10, v91, v53
	v_cmp_lt_i32_e64 s11, v90, v54
	s_or_b32 s9, s10, s9
	s_wait_alu 0xfffe
	s_and_b32 s9, s11, s9
	s_wait_alu 0xfffe
	s_xor_b32 s10, s9, -1
	s_wait_alu 0xfffe
	s_and_saveexec_b32 s11, s10
	s_wait_alu 0xfffe
	s_xor_b32 s10, exec_lo, s11
; %bb.95:                               ;   in Loop: Header=BB147_2 Depth=1
	v_lshlrev_b32_e32 v21, 3, v91
	ds_load_b64 v[21:22], v21 offset:8
; %bb.96:                               ;   in Loop: Header=BB147_2 Depth=1
	s_wait_alu 0xfffe
	s_or_saveexec_b32 s10, s10
	v_dual_mov_b32 v24, v20 :: v_dual_mov_b32 v23, v19
	s_wait_alu 0xfffe
	s_xor_b32 exec_lo, exec_lo, s10
	s_cbranch_execz .LBB147_98
; %bb.97:                               ;   in Loop: Header=BB147_2 Depth=1
	s_wait_dscnt 0x0
	v_lshlrev_b32_e32 v21, 3, v90
	ds_load_b64 v[23:24], v21 offset:8
	v_dual_mov_b32 v22, v18 :: v_dual_mov_b32 v21, v17
.LBB147_98:                             ;   in Loop: Header=BB147_2 Depth=1
	s_or_b32 exec_lo, exec_lo, s10
	v_add_nc_u32_e32 v92, 1, v91
	v_add_nc_u32_e32 v93, 1, v90
	v_cndmask_b32_e64 v88, v88, v89, s8
	v_cndmask_b32_e64 v25, v26, v25, s7
	s_wait_dscnt 0x0
	v_cmp_lt_i64_e64 s10, v[23:24], v[21:22]
	v_cndmask_b32_e64 v89, v92, v91, s9
	v_cndmask_b32_e64 v26, v90, v93, s9
	;; [unrolled: 1-line block ×3, first 2 shown]
	s_wait_loadcnt 0x0
	s_barrier_signal -1
	v_cmp_ge_i32_e64 s11, v89, v53
	v_cmp_lt_i32_e64 s12, v26, v54
	s_barrier_wait -1
	global_inv scope:SCOPE_SE
	ds_store_2addr_b64 v27, v[5:6], v[7:8] offset1:1
	ds_store_2addr_b64 v27, v[1:2], v[3:4] offset0:2 offset1:3
	s_or_b32 s10, s11, s10
	v_lshlrev_b32_e32 v2, 3, v25
	s_wait_alu 0xfffe
	s_and_b32 s10, s12, s10
	v_lshlrev_b32_e32 v3, 3, v88
	s_wait_alu 0xfffe
	v_cndmask_b32_e64 v1, v89, v26, s10
	v_lshlrev_b32_e32 v4, 3, v94
	v_cndmask_b32_e64 v22, v22, v24, s10
	s_wait_loadcnt_dscnt 0x0
	s_barrier_signal -1
	v_lshlrev_b32_e32 v24, 3, v1
	s_barrier_wait -1
	global_inv scope:SCOPE_SE
	ds_load_b64 v[5:6], v2
	ds_load_b64 v[7:8], v3
	ds_load_b64 v[1:2], v4
	ds_load_b64 v[3:4], v24
	v_cndmask_b32_e64 v14, v14, v16, s8
	v_cndmask_b32_e64 v13, v13, v15, s8
	;; [unrolled: 1-line block ×7, first 2 shown]
	s_wait_loadcnt_dscnt 0x0
	s_barrier_signal -1
	s_barrier_wait -1
	global_inv scope:SCOPE_SE
	ds_store_2addr_b64 v27, v[9:10], v[13:14] offset1:1
	ds_store_2addr_b64 v27, v[17:18], v[21:22] offset0:2 offset1:3
	v_mov_b32_e32 v13, v86
	s_wait_loadcnt_dscnt 0x0
	s_barrier_signal -1
	s_barrier_wait -1
	global_inv scope:SCOPE_SE
	s_and_saveexec_b32 s8, s6
	s_cbranch_execz .LBB147_102
; %bb.99:                               ;   in Loop: Header=BB147_2 Depth=1
	v_mov_b32_e32 v13, v86
	v_mov_b32_e32 v9, v79
	s_mov_b32 s9, 0
.LBB147_100:                            ;   Parent Loop BB147_2 Depth=1
                                        ; =>  This Inner Loop Header: Depth=2
	s_delay_alu instid0(VALU_DEP_1) | instskip(NEXT) | instid1(VALU_DEP_1)
	v_sub_nc_u32_e32 v10, v9, v13
	v_lshrrev_b32_e32 v10, 1, v10
	s_delay_alu instid0(VALU_DEP_1) | instskip(NEXT) | instid1(VALU_DEP_1)
	v_add_nc_u32_e32 v12, v10, v13
	v_not_b32_e32 v10, v12
	v_lshl_add_u32 v11, v12, 3, v58
	s_delay_alu instid0(VALU_DEP_2)
	v_lshl_add_u32 v14, v10, 3, v72
	ds_load_b64 v[10:11], v11
	ds_load_b64 v[14:15], v14
	s_wait_dscnt 0x0
	v_cmp_lt_i64_e64 s7, v[14:15], v[10:11]
	v_add_nc_u32_e32 v10, 1, v12
	s_wait_alu 0xf1ff
	s_delay_alu instid0(VALU_DEP_2) | instskip(NEXT) | instid1(VALU_DEP_2)
	v_cndmask_b32_e64 v9, v9, v12, s7
	v_cndmask_b32_e64 v13, v10, v13, s7
	s_delay_alu instid0(VALU_DEP_1)
	v_cmp_ge_i32_e64 s7, v13, v9
	s_wait_alu 0xfffe
	s_or_b32 s9, s7, s9
	s_wait_alu 0xfffe
	s_and_not1_b32 exec_lo, exec_lo, s9
	s_cbranch_execnz .LBB147_100
; %bb.101:                              ;   in Loop: Header=BB147_2 Depth=1
	s_or_b32 exec_lo, exec_lo, s9
.LBB147_102:                            ;   in Loop: Header=BB147_2 Depth=1
	s_wait_alu 0xfffe
	s_or_b32 exec_lo, exec_lo, s8
	v_sub_nc_u32_e32 v25, v65, v13
	v_lshl_add_u32 v15, v13, 3, v58
	v_add_nc_u32_e32 v26, v13, v34
                                        ; implicit-def: $vgpr13_vgpr14
	s_delay_alu instid0(VALU_DEP_3) | instskip(SKIP_1) | instid1(VALU_DEP_3)
	v_lshlrev_b32_e32 v17, 3, v25
	v_cmp_gt_i32_e64 s9, v57, v25
	v_cmp_le_i32_e64 s8, v56, v26
	ds_load_b64 v[9:10], v15
	ds_load_b64 v[11:12], v17
	s_wait_dscnt 0x0
	v_cmp_lt_i64_e64 s7, v[11:12], v[9:10]
	s_or_b32 s7, s8, s7
	s_wait_alu 0xfffe
	s_and_b32 s7, s9, s7
	s_wait_alu 0xfffe
	s_xor_b32 s8, s7, -1
	s_wait_alu 0xfffe
	s_and_saveexec_b32 s9, s8
	s_wait_alu 0xfffe
	s_xor_b32 s8, exec_lo, s9
; %bb.103:                              ;   in Loop: Header=BB147_2 Depth=1
	ds_load_b64 v[13:14], v15 offset:8
                                        ; implicit-def: $vgpr17
; %bb.104:                              ;   in Loop: Header=BB147_2 Depth=1
	s_wait_alu 0xfffe
	s_or_saveexec_b32 s8, s8
	v_dual_mov_b32 v16, v12 :: v_dual_mov_b32 v15, v11
	s_wait_alu 0xfffe
	s_xor_b32 exec_lo, exec_lo, s8
	s_cbranch_execz .LBB147_106
; %bb.105:                              ;   in Loop: Header=BB147_2 Depth=1
	ds_load_b64 v[15:16], v17 offset:8
	s_wait_dscnt 0x1
	v_dual_mov_b32 v14, v10 :: v_dual_mov_b32 v13, v9
.LBB147_106:                            ;   in Loop: Header=BB147_2 Depth=1
	s_or_b32 exec_lo, exec_lo, s8
	v_add_nc_u32_e32 v17, 1, v26
	v_add_nc_u32_e32 v18, 1, v25
	s_wait_dscnt 0x0
	v_cmp_lt_i64_e64 s8, v[15:16], v[13:14]
	s_delay_alu instid0(VALU_DEP_3) | instskip(NEXT) | instid1(VALU_DEP_3)
	v_cndmask_b32_e64 v88, v17, v26, s7
	v_cndmask_b32_e64 v89, v25, v18, s7
                                        ; implicit-def: $vgpr17_vgpr18
	s_delay_alu instid0(VALU_DEP_2) | instskip(NEXT) | instid1(VALU_DEP_2)
	v_cmp_ge_i32_e64 s9, v88, v56
	v_cmp_lt_i32_e64 s10, v89, v57
	s_or_b32 s8, s9, s8
	s_wait_alu 0xfffe
	s_and_b32 s8, s10, s8
	s_wait_alu 0xfffe
	s_xor_b32 s9, s8, -1
	s_wait_alu 0xfffe
	s_and_saveexec_b32 s10, s9
	s_wait_alu 0xfffe
	s_xor_b32 s9, exec_lo, s10
; %bb.107:                              ;   in Loop: Header=BB147_2 Depth=1
	v_lshlrev_b32_e32 v17, 3, v88
	ds_load_b64 v[17:18], v17 offset:8
; %bb.108:                              ;   in Loop: Header=BB147_2 Depth=1
	s_wait_alu 0xfffe
	s_or_saveexec_b32 s9, s9
	v_dual_mov_b32 v20, v16 :: v_dual_mov_b32 v19, v15
	s_wait_alu 0xfffe
	s_xor_b32 exec_lo, exec_lo, s9
	s_cbranch_execz .LBB147_110
; %bb.109:                              ;   in Loop: Header=BB147_2 Depth=1
	s_wait_dscnt 0x0
	v_lshlrev_b32_e32 v17, 3, v89
	ds_load_b64 v[19:20], v17 offset:8
	v_dual_mov_b32 v18, v14 :: v_dual_mov_b32 v17, v13
.LBB147_110:                            ;   in Loop: Header=BB147_2 Depth=1
	s_or_b32 exec_lo, exec_lo, s9
	v_add_nc_u32_e32 v21, 1, v88
	v_add_nc_u32_e32 v22, 1, v89
	s_wait_dscnt 0x0
	v_cmp_lt_i64_e64 s9, v[19:20], v[17:18]
	s_delay_alu instid0(VALU_DEP_3) | instskip(NEXT) | instid1(VALU_DEP_3)
	v_cndmask_b32_e64 v91, v21, v88, s8
	v_cndmask_b32_e64 v90, v89, v22, s8
                                        ; implicit-def: $vgpr21_vgpr22
	s_delay_alu instid0(VALU_DEP_2) | instskip(NEXT) | instid1(VALU_DEP_2)
	v_cmp_ge_i32_e64 s10, v91, v56
	v_cmp_lt_i32_e64 s11, v90, v57
	s_or_b32 s9, s10, s9
	s_wait_alu 0xfffe
	s_and_b32 s9, s11, s9
	s_wait_alu 0xfffe
	s_xor_b32 s10, s9, -1
	s_wait_alu 0xfffe
	s_and_saveexec_b32 s11, s10
	s_wait_alu 0xfffe
	s_xor_b32 s10, exec_lo, s11
; %bb.111:                              ;   in Loop: Header=BB147_2 Depth=1
	v_lshlrev_b32_e32 v21, 3, v91
	ds_load_b64 v[21:22], v21 offset:8
; %bb.112:                              ;   in Loop: Header=BB147_2 Depth=1
	s_wait_alu 0xfffe
	s_or_saveexec_b32 s10, s10
	v_dual_mov_b32 v24, v20 :: v_dual_mov_b32 v23, v19
	s_wait_alu 0xfffe
	s_xor_b32 exec_lo, exec_lo, s10
	s_cbranch_execz .LBB147_114
; %bb.113:                              ;   in Loop: Header=BB147_2 Depth=1
	s_wait_dscnt 0x0
	v_lshlrev_b32_e32 v21, 3, v90
	ds_load_b64 v[23:24], v21 offset:8
	v_dual_mov_b32 v22, v18 :: v_dual_mov_b32 v21, v17
.LBB147_114:                            ;   in Loop: Header=BB147_2 Depth=1
	s_or_b32 exec_lo, exec_lo, s10
	v_add_nc_u32_e32 v92, 1, v91
	v_add_nc_u32_e32 v93, 1, v90
	v_cndmask_b32_e64 v88, v88, v89, s8
	v_cndmask_b32_e64 v13, v13, v15, s8
	v_mov_b32_e32 v15, v35
	v_cndmask_b32_e64 v89, v92, v91, s9
	v_cndmask_b32_e64 v25, v26, v25, s7
	v_cndmask_b32_e64 v26, v90, v93, s9
	s_wait_dscnt 0x0
	v_cmp_lt_i64_e64 s10, v[23:24], v[21:22]
	v_cndmask_b32_e64 v94, v91, v90, s9
	v_cmp_ge_i32_e64 s11, v89, v56
	s_wait_loadcnt 0x0
	v_cmp_lt_i32_e64 s12, v26, v57
	s_barrier_signal -1
	s_barrier_wait -1
	s_or_b32 s10, s11, s10
	global_inv scope:SCOPE_SE
	s_wait_alu 0xfffe
	s_and_b32 s10, s12, s10
	ds_store_2addr_b64 v27, v[5:6], v[7:8] offset1:1
	ds_store_2addr_b64 v27, v[1:2], v[3:4] offset0:2 offset1:3
	s_wait_alu 0xfffe
	v_cndmask_b32_e64 v1, v89, v26, s10
	v_lshlrev_b32_e32 v2, 3, v25
	v_lshlrev_b32_e32 v3, 3, v88
	;; [unrolled: 1-line block ×3, first 2 shown]
	v_cndmask_b32_e64 v22, v22, v24, s10
	v_lshlrev_b32_e32 v24, 3, v1
	s_wait_loadcnt_dscnt 0x0
	s_barrier_signal -1
	s_barrier_wait -1
	global_inv scope:SCOPE_SE
	ds_load_b64 v[5:6], v2
	ds_load_b64 v[7:8], v3
	;; [unrolled: 1-line block ×4, first 2 shown]
	v_cndmask_b32_e64 v14, v14, v16, s8
	v_cndmask_b32_e64 v10, v10, v12, s7
	;; [unrolled: 1-line block ×6, first 2 shown]
	s_wait_loadcnt_dscnt 0x0
	s_barrier_signal -1
	s_barrier_wait -1
	global_inv scope:SCOPE_SE
	ds_store_2addr_b64 v27, v[9:10], v[13:14] offset1:1
	ds_store_2addr_b64 v27, v[17:18], v[21:22] offset0:2 offset1:3
	s_wait_loadcnt_dscnt 0x0
	s_barrier_signal -1
	s_barrier_wait -1
	global_inv scope:SCOPE_SE
	s_and_saveexec_b32 s8, vcc_lo
	s_cbranch_execz .LBB147_118
; %bb.115:                              ;   in Loop: Header=BB147_2 Depth=1
	v_mov_b32_e32 v15, v35
	v_mov_b32_e32 v9, v36
	s_mov_b32 s9, 0
.LBB147_116:                            ;   Parent Loop BB147_2 Depth=1
                                        ; =>  This Inner Loop Header: Depth=2
	s_delay_alu instid0(VALU_DEP_1) | instskip(NEXT) | instid1(VALU_DEP_1)
	v_sub_nc_u32_e32 v10, v9, v15
	v_lshrrev_b32_e32 v10, 1, v10
	s_delay_alu instid0(VALU_DEP_1) | instskip(NEXT) | instid1(VALU_DEP_1)
	v_add_nc_u32_e32 v14, v10, v15
	v_not_b32_e32 v10, v14
	v_lshlrev_b32_e32 v11, 3, v14
	s_delay_alu instid0(VALU_DEP_2)
	v_lshl_add_u32 v12, v10, 3, v87
	ds_load_b64 v[10:11], v11
	ds_load_b64 v[12:13], v12
	s_wait_dscnt 0x0
	v_cmp_lt_i64_e64 s7, v[12:13], v[10:11]
	v_add_nc_u32_e32 v10, 1, v14
	s_wait_alu 0xf1ff
	s_delay_alu instid0(VALU_DEP_2) | instskip(NEXT) | instid1(VALU_DEP_2)
	v_cndmask_b32_e64 v9, v9, v14, s7
	v_cndmask_b32_e64 v15, v10, v15, s7
	s_delay_alu instid0(VALU_DEP_1)
	v_cmp_ge_i32_e64 s7, v15, v9
	s_wait_alu 0xfffe
	s_or_b32 s9, s7, s9
	s_wait_alu 0xfffe
	s_and_not1_b32 exec_lo, exec_lo, s9
	s_cbranch_execnz .LBB147_116
; %bb.117:                              ;   in Loop: Header=BB147_2 Depth=1
	s_or_b32 exec_lo, exec_lo, s9
.LBB147_118:                            ;   in Loop: Header=BB147_2 Depth=1
	s_wait_alu 0xfffe
	s_or_b32 exec_lo, exec_lo, s8
	v_sub_nc_u32_e32 v16, v37, v15
	v_lshlrev_b32_e32 v10, 3, v15
	v_cmp_le_i32_e64 s8, 0x200, v15
                                        ; implicit-def: $vgpr17_vgpr18
	s_delay_alu instid0(VALU_DEP_3)
	v_lshlrev_b32_e32 v9, 3, v16
	v_cmp_gt_i32_e64 s9, 0x400, v16
	ds_load_b64 v[11:12], v10
	ds_load_b64 v[13:14], v9
	s_wait_dscnt 0x0
	v_cmp_lt_i64_e64 s7, v[13:14], v[11:12]
	s_or_b32 s7, s8, s7
	s_wait_alu 0xfffe
	s_and_b32 s7, s9, s7
	s_wait_alu 0xfffe
	s_xor_b32 s8, s7, -1
	s_wait_alu 0xfffe
	s_and_saveexec_b32 s9, s8
	s_wait_alu 0xfffe
	s_xor_b32 s8, exec_lo, s9
; %bb.119:                              ;   in Loop: Header=BB147_2 Depth=1
	ds_load_b64 v[17:18], v10 offset:8
                                        ; implicit-def: $vgpr9
; %bb.120:                              ;   in Loop: Header=BB147_2 Depth=1
	s_wait_alu 0xfffe
	s_or_saveexec_b32 s8, s8
	v_dual_mov_b32 v20, v14 :: v_dual_mov_b32 v19, v13
	s_wait_alu 0xfffe
	s_xor_b32 exec_lo, exec_lo, s8
	s_cbranch_execz .LBB147_122
; %bb.121:                              ;   in Loop: Header=BB147_2 Depth=1
	ds_load_b64 v[19:20], v9 offset:8
	s_wait_dscnt 0x1
	v_dual_mov_b32 v18, v12 :: v_dual_mov_b32 v17, v11
.LBB147_122:                            ;   in Loop: Header=BB147_2 Depth=1
	s_or_b32 exec_lo, exec_lo, s8
	v_add_nc_u32_e32 v9, 1, v15
	v_add_nc_u32_e32 v10, 1, v16
	s_wait_dscnt 0x0
	v_cmp_lt_i64_e64 s8, v[19:20], v[17:18]
                                        ; implicit-def: $vgpr21_vgpr22
	s_delay_alu instid0(VALU_DEP_3) | instskip(NEXT) | instid1(VALU_DEP_3)
	v_cndmask_b32_e64 v88, v9, v15, s7
	v_cndmask_b32_e64 v89, v16, v10, s7
	s_delay_alu instid0(VALU_DEP_2) | instskip(NEXT) | instid1(VALU_DEP_2)
	v_cmp_le_i32_e64 s9, 0x200, v88
	v_cmp_gt_i32_e64 s10, 0x400, v89
	s_or_b32 s8, s9, s8
	s_wait_alu 0xfffe
	s_and_b32 s8, s10, s8
	s_wait_alu 0xfffe
	s_xor_b32 s9, s8, -1
	s_wait_alu 0xfffe
	s_and_saveexec_b32 s10, s9
	s_wait_alu 0xfffe
	s_xor_b32 s9, exec_lo, s10
; %bb.123:                              ;   in Loop: Header=BB147_2 Depth=1
	v_lshlrev_b32_e32 v9, 3, v88
	ds_load_b64 v[21:22], v9 offset:8
; %bb.124:                              ;   in Loop: Header=BB147_2 Depth=1
	s_wait_alu 0xfffe
	s_or_saveexec_b32 s9, s9
	v_dual_mov_b32 v24, v20 :: v_dual_mov_b32 v23, v19
	s_wait_alu 0xfffe
	s_xor_b32 exec_lo, exec_lo, s9
	s_cbranch_execz .LBB147_126
; %bb.125:                              ;   in Loop: Header=BB147_2 Depth=1
	s_wait_dscnt 0x0
	v_dual_mov_b32 v22, v18 :: v_dual_lshlrev_b32 v9, 3, v89
	v_mov_b32_e32 v21, v17
	ds_load_b64 v[23:24], v9 offset:8
.LBB147_126:                            ;   in Loop: Header=BB147_2 Depth=1
	s_or_b32 exec_lo, exec_lo, s9
	v_add_nc_u32_e32 v9, 1, v88
	v_add_nc_u32_e32 v10, 1, v89
	s_wait_dscnt 0x0
	v_cmp_lt_i64_e64 s9, v[23:24], v[21:22]
                                        ; implicit-def: $vgpr92
	s_delay_alu instid0(VALU_DEP_3) | instskip(NEXT) | instid1(VALU_DEP_3)
	v_cndmask_b32_e64 v93, v9, v88, s8
	v_cndmask_b32_e64 v90, v89, v10, s8
                                        ; implicit-def: $vgpr9_vgpr10
	s_delay_alu instid0(VALU_DEP_2) | instskip(NEXT) | instid1(VALU_DEP_2)
	v_cmp_le_i32_e64 s10, 0x200, v93
	v_cmp_gt_i32_e64 s11, 0x400, v90
	s_or_b32 s9, s10, s9
	s_wait_alu 0xfffe
	s_and_b32 s9, s11, s9
	s_wait_alu 0xfffe
	s_xor_b32 s10, s9, -1
	s_wait_alu 0xfffe
	s_and_saveexec_b32 s11, s10
	s_wait_alu 0xfffe
	s_xor_b32 s10, exec_lo, s11
; %bb.127:                              ;   in Loop: Header=BB147_2 Depth=1
	v_lshlrev_b32_e32 v9, 3, v93
	v_add_nc_u32_e32 v92, 1, v93
	ds_load_b64 v[9:10], v9 offset:8
; %bb.128:                              ;   in Loop: Header=BB147_2 Depth=1
	s_wait_alu 0xfffe
	s_or_saveexec_b32 s10, s10
	v_dual_mov_b32 v91, v93 :: v_dual_mov_b32 v26, v24
	v_mov_b32_e32 v25, v23
	s_wait_alu 0xfffe
	s_xor_b32 exec_lo, exec_lo, s10
	s_cbranch_execz .LBB147_1
; %bb.129:                              ;   in Loop: Header=BB147_2 Depth=1
	s_wait_dscnt 0x0
	v_dual_mov_b32 v92, v93 :: v_dual_lshlrev_b32 v9, 3, v90
	ds_load_b64 v[25:26], v9 offset:8
	v_add_nc_u32_e32 v9, 1, v90
	s_delay_alu instid0(VALU_DEP_1)
	v_dual_mov_b32 v91, v90 :: v_dual_mov_b32 v90, v9
	v_dual_mov_b32 v9, v21 :: v_dual_mov_b32 v10, v22
	s_branch .LBB147_1
.LBB147_130:
	s_wait_dscnt 0x3
	v_add_co_u32 v7, vcc_lo, v15, v7
	s_delay_alu instid0(VALU_DEP_1)
	v_add_co_ci_u32_e64 v8, null, v16, v8, vcc_lo
	s_wait_dscnt 0x2
	v_add_co_u32 v5, vcc_lo, v13, v5
	s_wait_alu 0xfffd
	v_add_co_ci_u32_e64 v6, null, v14, v6, vcc_lo
	s_wait_dscnt 0x1
	v_add_co_u32 v3, vcc_lo, v11, v3
	v_lshlrev_b32_e32 v11, 3, v0
	s_wait_alu 0xfffd
	v_add_co_ci_u32_e64 v4, null, v12, v4, vcc_lo
	s_wait_dscnt 0x0
	v_add_co_u32 v0, vcc_lo, v9, v1
	s_wait_alu 0xfffd
	v_add_co_ci_u32_e64 v1, null, v10, v2, vcc_lo
	s_add_nc_u64 s[0:1], s[18:19], s[20:21]
	s_clause 0x3
	global_store_b64 v11, v[7:8], s[0:1]
	global_store_b64 v11, v[5:6], s[0:1] offset:2048
	global_store_b64 v11, v[3:4], s[0:1] offset:4096
	;; [unrolled: 1-line block ×3, first 2 shown]
	s_endpgm
	.section	.rodata,"a",@progbits
	.p2align	6, 0x0
	.amdhsa_kernel _Z17sort_pairs_kernelIxLj256ELj4EN10test_utils4lessELj10EEvPKT_PS2_T2_
		.amdhsa_group_segment_fixed_size 8200
		.amdhsa_private_segment_fixed_size 0
		.amdhsa_kernarg_size 20
		.amdhsa_user_sgpr_count 2
		.amdhsa_user_sgpr_dispatch_ptr 0
		.amdhsa_user_sgpr_queue_ptr 0
		.amdhsa_user_sgpr_kernarg_segment_ptr 1
		.amdhsa_user_sgpr_dispatch_id 0
		.amdhsa_user_sgpr_private_segment_size 0
		.amdhsa_wavefront_size32 1
		.amdhsa_uses_dynamic_stack 0
		.amdhsa_enable_private_segment 0
		.amdhsa_system_sgpr_workgroup_id_x 1
		.amdhsa_system_sgpr_workgroup_id_y 0
		.amdhsa_system_sgpr_workgroup_id_z 0
		.amdhsa_system_sgpr_workgroup_info 0
		.amdhsa_system_vgpr_workitem_id 0
		.amdhsa_next_free_vgpr 96
		.amdhsa_next_free_sgpr 24
		.amdhsa_reserve_vcc 1
		.amdhsa_float_round_mode_32 0
		.amdhsa_float_round_mode_16_64 0
		.amdhsa_float_denorm_mode_32 3
		.amdhsa_float_denorm_mode_16_64 3
		.amdhsa_fp16_overflow 0
		.amdhsa_workgroup_processor_mode 1
		.amdhsa_memory_ordered 1
		.amdhsa_forward_progress 1
		.amdhsa_inst_pref_size 75
		.amdhsa_round_robin_scheduling 0
		.amdhsa_exception_fp_ieee_invalid_op 0
		.amdhsa_exception_fp_denorm_src 0
		.amdhsa_exception_fp_ieee_div_zero 0
		.amdhsa_exception_fp_ieee_overflow 0
		.amdhsa_exception_fp_ieee_underflow 0
		.amdhsa_exception_fp_ieee_inexact 0
		.amdhsa_exception_int_div_zero 0
	.end_amdhsa_kernel
	.section	.text._Z17sort_pairs_kernelIxLj256ELj4EN10test_utils4lessELj10EEvPKT_PS2_T2_,"axG",@progbits,_Z17sort_pairs_kernelIxLj256ELj4EN10test_utils4lessELj10EEvPKT_PS2_T2_,comdat
.Lfunc_end147:
	.size	_Z17sort_pairs_kernelIxLj256ELj4EN10test_utils4lessELj10EEvPKT_PS2_T2_, .Lfunc_end147-_Z17sort_pairs_kernelIxLj256ELj4EN10test_utils4lessELj10EEvPKT_PS2_T2_
                                        ; -- End function
	.set _Z17sort_pairs_kernelIxLj256ELj4EN10test_utils4lessELj10EEvPKT_PS2_T2_.num_vgpr, 96
	.set _Z17sort_pairs_kernelIxLj256ELj4EN10test_utils4lessELj10EEvPKT_PS2_T2_.num_agpr, 0
	.set _Z17sort_pairs_kernelIxLj256ELj4EN10test_utils4lessELj10EEvPKT_PS2_T2_.numbered_sgpr, 24
	.set _Z17sort_pairs_kernelIxLj256ELj4EN10test_utils4lessELj10EEvPKT_PS2_T2_.num_named_barrier, 0
	.set _Z17sort_pairs_kernelIxLj256ELj4EN10test_utils4lessELj10EEvPKT_PS2_T2_.private_seg_size, 0
	.set _Z17sort_pairs_kernelIxLj256ELj4EN10test_utils4lessELj10EEvPKT_PS2_T2_.uses_vcc, 1
	.set _Z17sort_pairs_kernelIxLj256ELj4EN10test_utils4lessELj10EEvPKT_PS2_T2_.uses_flat_scratch, 0
	.set _Z17sort_pairs_kernelIxLj256ELj4EN10test_utils4lessELj10EEvPKT_PS2_T2_.has_dyn_sized_stack, 0
	.set _Z17sort_pairs_kernelIxLj256ELj4EN10test_utils4lessELj10EEvPKT_PS2_T2_.has_recursion, 0
	.set _Z17sort_pairs_kernelIxLj256ELj4EN10test_utils4lessELj10EEvPKT_PS2_T2_.has_indirect_call, 0
	.section	.AMDGPU.csdata,"",@progbits
; Kernel info:
; codeLenInByte = 9504
; TotalNumSgprs: 26
; NumVgprs: 96
; ScratchSize: 0
; MemoryBound: 0
; FloatMode: 240
; IeeeMode: 1
; LDSByteSize: 8200 bytes/workgroup (compile time only)
; SGPRBlocks: 0
; VGPRBlocks: 11
; NumSGPRsForWavesPerEU: 26
; NumVGPRsForWavesPerEU: 96
; Occupancy: 16
; WaveLimiterHint : 1
; COMPUTE_PGM_RSRC2:SCRATCH_EN: 0
; COMPUTE_PGM_RSRC2:USER_SGPR: 2
; COMPUTE_PGM_RSRC2:TRAP_HANDLER: 0
; COMPUTE_PGM_RSRC2:TGID_X_EN: 1
; COMPUTE_PGM_RSRC2:TGID_Y_EN: 0
; COMPUTE_PGM_RSRC2:TGID_Z_EN: 0
; COMPUTE_PGM_RSRC2:TIDIG_COMP_CNT: 0
	.section	.text._Z16sort_keys_kernelIxLj256ELj8EN10test_utils4lessELj10EEvPKT_PS2_T2_,"axG",@progbits,_Z16sort_keys_kernelIxLj256ELj8EN10test_utils4lessELj10EEvPKT_PS2_T2_,comdat
	.protected	_Z16sort_keys_kernelIxLj256ELj8EN10test_utils4lessELj10EEvPKT_PS2_T2_ ; -- Begin function _Z16sort_keys_kernelIxLj256ELj8EN10test_utils4lessELj10EEvPKT_PS2_T2_
	.globl	_Z16sort_keys_kernelIxLj256ELj8EN10test_utils4lessELj10EEvPKT_PS2_T2_
	.p2align	8
	.type	_Z16sort_keys_kernelIxLj256ELj8EN10test_utils4lessELj10EEvPKT_PS2_T2_,@function
_Z16sort_keys_kernelIxLj256ELj8EN10test_utils4lessELj10EEvPKT_PS2_T2_: ; @_Z16sort_keys_kernelIxLj256ELj8EN10test_utils4lessELj10EEvPKT_PS2_T2_
; %bb.0:
	s_load_b128 s[16:19], s[0:1], 0x0
	s_lshl_b32 s20, ttmp9, 11
	s_mov_b32 s21, 0
	v_lshlrev_b32_e32 v17, 3, v0
	s_lshl_b64 s[22:23], s[20:21], 3
	v_lshlrev_b32_e32 v41, 6, v0
	s_delay_alu instid0(VALU_DEP_2)
	v_and_b32_e32 v37, 0x7f0, v17
	v_and_b32_e32 v18, 8, v17
	;; [unrolled: 1-line block ×5, first 2 shown]
	v_or_b32_e32 v38, 8, v37
	v_add_nc_u32_e32 v39, 16, v37
	v_or_b32_e32 v42, 16, v40
	v_add_nc_u32_e32 v43, 32, v40
	;; [unrolled: 2-line block ×3, first 2 shown]
	v_sub_nc_u32_e32 v19, v39, v38
	s_wait_kmcnt 0x0
	s_add_nc_u64 s[0:1], s[16:17], s[22:23]
	v_sub_nc_u32_e32 v22, v42, v40
	s_clause 0x7
	global_load_b64 v[11:12], v17, s[0:1]
	global_load_b64 v[15:16], v17, s[0:1] offset:2048
	global_load_b64 v[5:6], v17, s[0:1] offset:4096
	;; [unrolled: 1-line block ×7, first 2 shown]
	v_or_b32_e32 v56, 64, v54
	v_sub_nc_u32_e32 v20, v18, v19
	v_cmp_ge_i32_e32 vcc_lo, v18, v19
	v_and_b32_e32 v19, 24, v17
	v_add_nc_u32_e32 v57, 0x80, v54
	v_sub_nc_u32_e32 v23, v49, v47
	v_dual_cndmask_b32 v44, 0, v20 :: v_dual_and_b32 v61, 0x700, v17
	v_sub_nc_u32_e32 v21, v38, v37
	v_sub_nc_u32_e32 v20, v43, v42
	v_min_i32_e32 v52, v19, v22
	s_delay_alu instid0(VALU_DEP_4)
	v_or_b32_e32 v63, 0x80, v61
	v_add_nc_u32_e32 v64, 0x100, v61
	v_min_i32_e32 v45, v18, v21
	v_sub_nc_u32_e32 v21, v19, v20
	v_cmp_ge_i32_e64 s0, v19, v20
	v_and_b32_e32 v20, 56, v17
	v_sub_nc_u32_e32 v24, v56, v54
	v_and_b32_e32 v68, 0x600, v17
	v_and_b32_e32 v73, 0x400, v17
	v_cndmask_b32_e64 v51, 0, v21, s0
	v_sub_nc_u32_e32 v21, v50, v49
	v_min_i32_e32 v59, v20, v23
	v_or_b32_e32 v70, 0x100, v68
	v_add_nc_u32_e32 v71, 0x200, v68
	v_sub_nc_u32_e32 v25, v63, v61
	v_sub_nc_u32_e32 v22, v20, v21
	v_cmp_ge_i32_e64 s1, v20, v21
	v_and_b32_e32 v21, 0x78, v17
	v_or_b32_e32 v76, 0x200, v73
	v_add_nc_u32_e32 v77, 0x400, v73
	v_and_b32_e32 v27, 0x3f8, v17
	s_wait_alu 0xf1ff
	v_cndmask_b32_e64 v58, 0, v22, s1
	v_sub_nc_u32_e32 v22, v57, v56
	v_min_i32_e32 v66, v21, v24
	v_sub_nc_u32_e32 v28, v77, v76
	v_add_nc_u32_e32 v48, v38, v18
	v_add_nc_u32_e32 v55, v42, v19
	v_sub_nc_u32_e32 v23, v21, v22
	v_cmp_ge_i32_e64 s2, v21, v22
	v_and_b32_e32 v22, 0xf8, v17
	v_sub_nc_u32_e32 v26, v70, v68
	v_cmp_ge_i32_e64 s5, v27, v28
	v_lshlrev_b32_e32 v18, 3, v18
	v_cndmask_b32_e64 v65, 0, v23, s2
	v_sub_nc_u32_e32 v23, v64, v63
	v_min_i32_e32 v74, v22, v25
	v_lshlrev_b32_e32 v19, 3, v19
	v_add_nc_u32_e32 v62, v49, v20
	v_add_nc_u32_e32 v69, v56, v21
	v_sub_nc_u32_e32 v24, v22, v23
	v_cmp_ge_i32_e64 s3, v22, v23
	v_and_b32_e32 v23, 0x1f8, v17
	v_subrev_nc_u32_e64 v86, 0x400, v17 clamp
	v_min_i32_e32 v87, 0x400, v17
	v_add_nc_u32_e32 v89, 0x400, v17
	s_wait_alu 0xf1ff
	v_cndmask_b32_e64 v72, 0, v24, s3
	v_sub_nc_u32_e32 v24, v71, v70
	v_min_i32_e32 v79, v23, v26
	v_lshl_add_u32 v90, v38, 3, v18
	v_lshl_add_u32 v91, v42, 3, v19
	v_lshlrev_b32_e32 v17, 3, v20
	v_sub_nc_u32_e32 v25, v23, v24
	v_cmp_ge_i32_e64 s4, v23, v24
	v_sub_nc_u32_e32 v24, v27, v28
	v_lshlrev_b32_e32 v18, 3, v21
	v_lshlrev_b32_e32 v19, 3, v22
	;; [unrolled: 1-line block ×3, first 2 shown]
	v_cndmask_b32_e64 v78, 0, v25, s4
	v_sub_nc_u32_e32 v25, v76, v73
	v_cndmask_b32_e64 v82, 0, v24, s5
	v_lshlrev_b32_e32 v21, 3, v27
	v_lshlrev_b32_e32 v46, 3, v37
	;; [unrolled: 1-line block ×3, first 2 shown]
	v_min_i32_e32 v83, v27, v25
	v_cmp_lt_i32_e64 s0, v51, v52
	v_lshlrev_b32_e32 v60, 3, v47
	v_cmp_lt_i32_e64 s1, v58, v59
	v_lshlrev_b32_e32 v67, 3, v54
	;; [unrolled: 2-line block ×3, first 2 shown]
	v_cmp_lt_i32_e64 s3, v72, v74
	v_add_nc_u32_e32 v80, v63, v22
	v_lshlrev_b32_e32 v81, 3, v68
	v_cmp_lt_i32_e64 s4, v78, v79
	v_add_nc_u32_e32 v84, v70, v23
	v_lshlrev_b32_e32 v85, 3, v73
	v_cmp_lt_i32_e64 s5, v82, v83
	v_add_nc_u32_e32 v88, v76, v27
	v_cmp_lt_i32_e64 s6, v86, v87
	v_lshl_add_u32 v92, v49, 3, v17
	v_lshl_add_u32 v93, v56, 3, v18
	;; [unrolled: 1-line block ×5, first 2 shown]
	v_add_nc_u32_e32 v97, 0x2000, v41
	v_cmp_lt_i32_e32 vcc_lo, v44, v45
	s_branch .LBB148_2
.LBB148_1:                              ;   in Loop: Header=BB148_2 Depth=1
	s_or_b32 exec_lo, exec_lo, s14
	v_cndmask_b32_e64 v12, v2, v4, s7
	v_cndmask_b32_e64 v11, v1, v3, s7
	s_wait_dscnt 0x0
	v_cmp_lt_i64_e64 s7, v[35:36], v[33:34]
	v_cndmask_b32_e64 v16, v6, v8, s8
	v_cndmask_b32_e64 v15, v5, v7, s8
	v_cmp_le_i32_e64 s8, 0x400, v99
	v_cndmask_b32_e64 v6, v10, v14, s9
	v_cndmask_b32_e64 v5, v9, v13, s9
	v_cmp_gt_i32_e64 s9, 0x800, v98
	v_cndmask_b32_e64 v10, v18, v20, s10
	s_or_b32 s7, s8, s7
	v_cndmask_b32_e64 v9, v17, v19, s10
	v_cndmask_b32_e64 v2, v22, v24, s11
	s_wait_alu 0xfffe
	s_and_b32 s7, s9, s7
	v_cndmask_b32_e64 v1, v21, v23, s11
	v_cndmask_b32_e64 v14, v26, v28, s12
	;; [unrolled: 1-line block ×5, first 2 shown]
	s_wait_alu 0xfffe
	v_cndmask_b32_e64 v8, v34, v36, s7
	v_cndmask_b32_e64 v7, v33, v35, s7
	s_add_co_i32 s21, s21, 1
	s_delay_alu instid0(SALU_CYCLE_1)
	s_cmp_eq_u32 s21, 10
	s_cbranch_scc1 .LBB148_258
.LBB148_2:                              ; =>This Loop Header: Depth=1
                                        ;     Child Loop BB148_4 Depth 2
                                        ;     Child Loop BB148_36 Depth 2
	;; [unrolled: 1-line block ×8, first 2 shown]
	s_wait_loadcnt 0x6
	v_cmp_lt_i64_e64 s7, v[15:16], v[11:12]
	v_cmp_gt_i64_e64 s8, v[15:16], v[11:12]
	s_wait_loadcnt 0x4
	v_cmp_lt_i64_e64 s9, v[9:10], v[5:6]
	s_wait_loadcnt 0x0
	s_barrier_signal -1
	s_barrier_wait -1
	s_wait_alu 0xf1ff
	v_cndmask_b32_e64 v18, v12, v16, s7
	v_cndmask_b32_e64 v17, v11, v15, s7
	;; [unrolled: 1-line block ×4, first 2 shown]
	v_cmp_gt_i64_e64 s7, v[9:10], v[5:6]
	v_cndmask_b32_e64 v12, v12, v16, s8
	v_cndmask_b32_e64 v11, v11, v15, s8
	;; [unrolled: 1-line block ×5, first 2 shown]
	v_cmp_lt_i64_e64 s8, v[13:14], v[1:2]
	v_cndmask_b32_e64 v22, v10, v6, s9
	s_wait_alu 0xf1ff
	v_cndmask_b32_e64 v6, v6, v10, s7
	v_cndmask_b32_e64 v5, v5, v9, s7
	v_cmp_gt_i64_e64 s7, v[13:14], v[1:2]
	v_cmp_lt_i64_e64 s9, v[7:8], v[3:4]
	v_cndmask_b32_e64 v10, v2, v14, s8
	v_cndmask_b32_e64 v9, v1, v13, s8
	;; [unrolled: 1-line block ×4, first 2 shown]
	s_wait_alu 0xf1ff
	v_cndmask_b32_e64 v2, v2, v14, s7
	v_cndmask_b32_e64 v1, v1, v13, s7
	v_cmp_gt_i64_e64 s7, v[7:8], v[3:4]
	v_cndmask_b32_e64 v14, v4, v8, s9
	v_cndmask_b32_e64 v13, v3, v7, s9
	;; [unrolled: 1-line block ×4, first 2 shown]
	v_cmp_lt_i64_e64 s8, v[15:16], v[11:12]
	s_wait_alu 0xf1ff
	v_cndmask_b32_e64 v4, v4, v8, s7
	v_cndmask_b32_e64 v3, v3, v7, s7
	v_cmp_gt_i64_e64 s7, v[15:16], v[11:12]
	v_cmp_lt_i64_e64 s9, v[9:10], v[5:6]
	global_inv scope:SCOPE_SE
	v_cndmask_b32_e64 v27, v16, v12, s8
	v_cndmask_b32_e64 v28, v15, v11, s8
	;; [unrolled: 1-line block ×3, first 2 shown]
	s_wait_alu 0xf1ff
	v_cndmask_b32_e64 v8, v12, v16, s7
	v_cndmask_b32_e64 v7, v11, v15, s7
	v_cmp_gt_i64_e64 s7, v[9:10], v[5:6]
	v_cndmask_b32_e64 v19, v19, v15, s8
	v_cndmask_b32_e64 v29, v11, v15, s8
	;; [unrolled: 1-line block ×3, first 2 shown]
	v_cmp_lt_i64_e64 s8, v[13:14], v[1:2]
	v_cndmask_b32_e64 v31, v10, v6, s9
	s_wait_alu 0xf1ff
	v_cndmask_b32_e64 v12, v6, v10, s7
	v_cndmask_b32_e64 v11, v5, v9, s7
	v_cmp_gt_i64_e64 s7, v[13:14], v[1:2]
	v_cndmask_b32_e64 v32, v9, v5, s9
	v_cndmask_b32_e64 v6, v6, v10, s9
	;; [unrolled: 1-line block ×9, first 2 shown]
	v_cmp_lt_i64_e64 s9, v[15:16], v[17:18]
	s_wait_alu 0xf1ff
	v_cndmask_b32_e64 v35, v1, v13, s7
	v_cndmask_b32_e64 v36, v2, v14, s7
	;; [unrolled: 1-line block ×4, first 2 shown]
	v_cmp_lt_i64_e64 s7, v[5:6], v[7:8]
	v_cmp_gt_i64_e64 s8, v[5:6], v[7:8]
	v_cndmask_b32_e64 v14, v18, v30, s9
	v_cndmask_b32_e64 v13, v17, v29, s9
	;; [unrolled: 1-line block ×6, first 2 shown]
	s_wait_alu 0xf1ff
	v_cndmask_b32_e64 v21, v21, v7, s7
	v_cndmask_b32_e64 v22, v22, v8, s7
	;; [unrolled: 1-line block ×5, first 2 shown]
	v_cmp_lt_i64_e64 s9, v[9:10], v[11:12]
	v_cndmask_b32_e64 v17, v7, v5, s8
	v_cndmask_b32_e64 v6, v8, v6, s7
	v_cndmask_b32_e64 v5, v7, v5, s7
	v_cmp_gt_i64_e64 s7, v[9:10], v[11:12]
	v_cmp_gt_i64_e64 s8, v[1:2], v[3:4]
	s_wait_alu 0xf1ff
	v_cndmask_b32_e64 v29, v32, v9, s9
	v_cndmask_b32_e64 v30, v31, v10, s9
	v_cndmask_b32_e64 v8, v12, v10, s9
	v_cndmask_b32_e64 v7, v11, v9, s9
	v_cndmask_b32_e64 v2, v12, v10, s7
	v_cndmask_b32_e64 v1, v11, v9, s7
	v_cndmask_b32_e64 v26, v26, v36, s8
	v_cndmask_b32_e64 v25, v25, v35, s8
	v_cndmask_b32_e64 v31, v34, v3, s8
	v_cndmask_b32_e64 v32, v33, v4, s8
	v_cndmask_b32_e64 v10, v4, v36, s8
	v_cmp_lt_i64_e64 s7, v[5:6], v[15:16]
	v_cndmask_b32_e64 v9, v3, v35, s8
	v_cndmask_b32_e64 v4, v36, v4, s8
	;; [unrolled: 1-line block ×3, first 2 shown]
	v_cmp_gt_i64_e64 s8, v[5:6], v[15:16]
	v_cndmask_b32_e64 v23, v23, v11, s9
	v_cndmask_b32_e64 v24, v24, v12, s9
	s_wait_alu 0xf1ff
	v_cndmask_b32_e64 v27, v27, v16, s7
	v_cndmask_b32_e64 v28, v28, v15, s7
	;; [unrolled: 1-line block ×8, first 2 shown]
	v_cmp_gt_i64_e64 s7, v[7:8], v[17:18]
	v_cmp_lt_i64_e64 s9, v[7:8], v[17:18]
	v_cmp_lt_i64_e64 s8, v[3:4], v[1:2]
	s_wait_alu 0xf1ff
	s_delay_alu instid0(VALU_DEP_3)
	v_cndmask_b32_e64 v16, v18, v8, s7
	v_cndmask_b32_e64 v15, v17, v7, s7
	v_cmp_gt_i64_e64 s7, v[3:4], v[1:2]
	v_cndmask_b32_e64 v30, v30, v18, s9
	v_cndmask_b32_e64 v29, v29, v17, s9
	;; [unrolled: 1-line block ×6, first 2 shown]
	s_wait_alu 0xf1ff
	v_cndmask_b32_e64 v18, v2, v4, s7
	v_cmp_lt_i64_e64 s9, v[5:6], v[13:14]
	v_cndmask_b32_e64 v17, v1, v3, s7
	v_cmp_gt_i64_e64 s7, v[5:6], v[13:14]
	v_cndmask_b32_e64 v32, v32, v2, s8
	v_cndmask_b32_e64 v31, v31, v1, s8
	;; [unrolled: 1-line block ×6, first 2 shown]
	s_wait_alu 0xf1ff
	v_cndmask_b32_e64 v4, v14, v6, s9
	v_cndmask_b32_e64 v3, v13, v5, s9
	;; [unrolled: 1-line block ×4, first 2 shown]
	v_cmp_gt_i64_e64 s7, v[7:8], v[11:12]
	v_cndmask_b32_e64 v19, v19, v13, s9
	v_cndmask_b32_e64 v20, v20, v14, s9
	v_cmp_lt_i64_e64 s8, v[7:8], v[11:12]
	v_cmp_lt_i64_e64 s9, v[1:2], v[15:16]
	s_wait_alu 0xf1ff
	v_cndmask_b32_e64 v14, v12, v8, s7
	v_cndmask_b32_e64 v13, v11, v7, s7
	v_cmp_gt_i64_e64 s7, v[1:2], v[15:16]
	v_cndmask_b32_e64 v21, v21, v11, s8
	v_cndmask_b32_e64 v22, v22, v12, s8
	;; [unrolled: 1-line block ×6, first 2 shown]
	s_wait_alu 0xf1ff
	v_cndmask_b32_e64 v12, v16, v2, s7
	v_cndmask_b32_e64 v11, v15, v1, s7
	v_cmp_gt_i64_e64 s7, v[9:10], v[17:18]
	v_cndmask_b32_e64 v23, v23, v15, s9
	v_cndmask_b32_e64 v24, v24, v16, s9
	;; [unrolled: 1-line block ×4, first 2 shown]
	v_cmp_lt_i64_e64 s8, v[9:10], v[17:18]
	v_cndmask_b32_e64 v2, v16, v2, s9
	v_cndmask_b32_e64 v1, v15, v1, s9
	s_wait_alu 0xf1ff
	v_cndmask_b32_e64 v16, v18, v10, s7
	v_cndmask_b32_e64 v15, v17, v9, s7
	v_cmp_gt_i64_e64 s7, v[7:8], v[5:6]
	v_cndmask_b32_e64 v25, v25, v17, s8
	v_cndmask_b32_e64 v26, v26, v18, s8
	;; [unrolled: 1-line block ×4, first 2 shown]
	v_cmp_lt_i64_e64 s9, v[7:8], v[5:6]
	v_cndmask_b32_e64 v10, v18, v10, s8
	v_cndmask_b32_e64 v9, v17, v9, s8
	s_wait_alu 0xf1ff
	v_cndmask_b32_e64 v18, v6, v8, s7
	v_cmp_lt_i64_e64 s8, v[1:2], v[13:14]
	v_cndmask_b32_e64 v17, v5, v7, s7
	v_cmp_gt_i64_e64 s7, v[1:2], v[13:14]
	v_cndmask_b32_e64 v27, v27, v6, s9
	v_cndmask_b32_e64 v28, v28, v5, s9
	;; [unrolled: 1-line block ×6, first 2 shown]
	s_wait_alu 0xf1ff
	v_cndmask_b32_e64 v30, v30, v14, s8
	v_cndmask_b32_e64 v29, v29, v13, s8
	;; [unrolled: 1-line block ×5, first 2 shown]
	v_cmp_lt_i64_e64 s9, v[9:10], v[11:12]
	v_cndmask_b32_e64 v5, v13, v1, s7
	v_cndmask_b32_e64 v2, v14, v2, s8
	;; [unrolled: 1-line block ×3, first 2 shown]
	v_cmp_gt_i64_e64 s7, v[9:10], v[11:12]
	v_cmp_lt_i64_e64 s8, v[7:8], v[3:4]
	s_wait_alu 0xf1ff
	v_cndmask_b32_e64 v24, v24, v10, s9
	v_cndmask_b32_e64 v23, v23, v9, s9
	;; [unrolled: 1-line block ×9, first 2 shown]
	v_cmp_lt_i64_e64 s7, v[1:2], v[17:18]
	v_cndmask_b32_e64 v20, v20, v4, s8
	v_cndmask_b32_e64 v4, v34, v4, s8
	;; [unrolled: 1-line block ×3, first 2 shown]
	v_cmp_gt_i64_e64 s8, v[1:2], v[17:18]
	v_cndmask_b32_e64 v32, v32, v12, s9
	v_cndmask_b32_e64 v31, v31, v11, s9
	s_wait_alu 0xf1ff
	v_cndmask_b32_e64 v21, v21, v17, s7
	v_cndmask_b32_e64 v22, v22, v18, s7
	;; [unrolled: 1-line block ×5, first 2 shown]
	v_cmp_lt_i64_e64 s9, v[7:8], v[5:6]
	v_cndmask_b32_e64 v13, v17, v1, s8
	v_cndmask_b32_e64 v2, v18, v2, s7
	v_cndmask_b32_e64 v1, v17, v1, s7
	v_cmp_gt_i64_e64 s7, v[7:8], v[5:6]
	v_cmp_gt_i64_e64 s8, v[11:12], v[15:16]
	s_wait_alu 0xf1ff
	v_cndmask_b32_e64 v17, v23, v5, s9
	v_cndmask_b32_e64 v18, v24, v6, s9
	;; [unrolled: 1-line block ×8, first 2 shown]
	v_cmp_lt_i64_e64 s7, v[1:2], v[3:4]
	v_cndmask_b32_e64 v8, v26, v36, s8
	v_cndmask_b32_e64 v7, v25, v35, s8
	;; [unrolled: 1-line block ×6, first 2 shown]
	v_cmp_lt_i64_e64 s8, v[5:6], v[13:14]
	s_wait_alu 0xf1ff
	v_cndmask_b32_e64 v4, v27, v4, s7
	v_cndmask_b32_e64 v3, v28, v3, s7
	v_cndmask_b32_e64 v2, v20, v2, s7
	v_cndmask_b32_e64 v1, v19, v1, s7
	v_cmp_lt_i64_e64 s7, v[15:16], v[11:12]
	v_cndmask_b32_e64 v6, v22, v6, s8
	v_cndmask_b32_e64 v5, v21, v5, s8
	;; [unrolled: 1-line block ×4, first 2 shown]
	s_wait_alu 0xf1ff
	v_cndmask_b32_e64 v16, v18, v16, s7
	v_cndmask_b32_e64 v15, v17, v15, s7
	;; [unrolled: 1-line block ×4, first 2 shown]
	ds_store_2addr_b64 v41, v[9:10], v[1:2] offset1:1
	ds_store_2addr_b64 v41, v[3:4], v[5:6] offset0:2 offset1:3
	ds_store_2addr_b64 v41, v[13:14], v[15:16] offset0:4 offset1:5
	;; [unrolled: 1-line block ×3, first 2 shown]
	v_mov_b32_e32 v5, v44
	s_wait_loadcnt_dscnt 0x0
	s_barrier_signal -1
	s_barrier_wait -1
	global_inv scope:SCOPE_SE
	s_and_saveexec_b32 s8, vcc_lo
	s_cbranch_execz .LBB148_6
; %bb.3:                                ;   in Loop: Header=BB148_2 Depth=1
	v_mov_b32_e32 v5, v44
	v_mov_b32_e32 v1, v45
	s_mov_b32 s9, 0
.LBB148_4:                              ;   Parent Loop BB148_2 Depth=1
                                        ; =>  This Inner Loop Header: Depth=2
	s_delay_alu instid0(VALU_DEP_1) | instskip(NEXT) | instid1(VALU_DEP_1)
	v_sub_nc_u32_e32 v2, v1, v5
	v_lshrrev_b32_e32 v2, 1, v2
	s_delay_alu instid0(VALU_DEP_1) | instskip(NEXT) | instid1(VALU_DEP_1)
	v_add_nc_u32_e32 v4, v2, v5
	v_not_b32_e32 v2, v4
	v_lshl_add_u32 v3, v4, 3, v46
	s_delay_alu instid0(VALU_DEP_2)
	v_lshl_add_u32 v6, v2, 3, v90
	ds_load_b64 v[2:3], v3
	ds_load_b64 v[6:7], v6
	s_wait_dscnt 0x0
	v_cmp_lt_i64_e64 s7, v[6:7], v[2:3]
	v_add_nc_u32_e32 v2, 1, v4
	s_wait_alu 0xf1ff
	s_delay_alu instid0(VALU_DEP_2) | instskip(NEXT) | instid1(VALU_DEP_2)
	v_cndmask_b32_e64 v1, v1, v4, s7
	v_cndmask_b32_e64 v5, v2, v5, s7
	s_delay_alu instid0(VALU_DEP_1)
	v_cmp_ge_i32_e64 s7, v5, v1
	s_wait_alu 0xfffe
	s_or_b32 s9, s7, s9
	s_wait_alu 0xfffe
	s_and_not1_b32 exec_lo, exec_lo, s9
	s_cbranch_execnz .LBB148_4
; %bb.5:                                ;   in Loop: Header=BB148_2 Depth=1
	s_or_b32 exec_lo, exec_lo, s9
.LBB148_6:                              ;   in Loop: Header=BB148_2 Depth=1
	s_wait_alu 0xfffe
	s_or_b32 exec_lo, exec_lo, s8
	v_sub_nc_u32_e32 v9, v48, v5
	v_lshl_add_u32 v7, v5, 3, v46
	v_add_nc_u32_e32 v10, v5, v37
                                        ; implicit-def: $vgpr5_vgpr6
	s_delay_alu instid0(VALU_DEP_3) | instskip(SKIP_1) | instid1(VALU_DEP_3)
	v_lshlrev_b32_e32 v11, 3, v9
	v_cmp_gt_i32_e64 s9, v39, v9
	v_cmp_le_i32_e64 s8, v38, v10
	ds_load_b64 v[1:2], v7
	ds_load_b64 v[3:4], v11
	s_wait_dscnt 0x0
	v_cmp_lt_i64_e64 s7, v[3:4], v[1:2]
	s_or_b32 s7, s8, s7
	s_wait_alu 0xfffe
	s_and_b32 s7, s9, s7
	s_wait_alu 0xfffe
	s_xor_b32 s8, s7, -1
	s_wait_alu 0xfffe
	s_and_saveexec_b32 s9, s8
	s_wait_alu 0xfffe
	s_xor_b32 s8, exec_lo, s9
; %bb.7:                                ;   in Loop: Header=BB148_2 Depth=1
	ds_load_b64 v[5:6], v7 offset:8
                                        ; implicit-def: $vgpr11
; %bb.8:                                ;   in Loop: Header=BB148_2 Depth=1
	s_wait_alu 0xfffe
	s_or_saveexec_b32 s8, s8
	v_dual_mov_b32 v8, v4 :: v_dual_mov_b32 v7, v3
	s_wait_alu 0xfffe
	s_xor_b32 exec_lo, exec_lo, s8
	s_cbranch_execz .LBB148_10
; %bb.9:                                ;   in Loop: Header=BB148_2 Depth=1
	ds_load_b64 v[7:8], v11 offset:8
	s_wait_dscnt 0x1
	v_dual_mov_b32 v6, v2 :: v_dual_mov_b32 v5, v1
.LBB148_10:                             ;   in Loop: Header=BB148_2 Depth=1
	s_or_b32 exec_lo, exec_lo, s8
	v_add_nc_u32_e32 v11, 1, v10
	v_add_nc_u32_e32 v12, 1, v9
	s_wait_dscnt 0x0
	v_cmp_lt_i64_e64 s8, v[7:8], v[5:6]
	s_delay_alu instid0(VALU_DEP_3) | instskip(NEXT) | instid1(VALU_DEP_3)
	v_cndmask_b32_e64 v14, v11, v10, s7
	v_cndmask_b32_e64 v13, v9, v12, s7
                                        ; implicit-def: $vgpr9_vgpr10
	s_delay_alu instid0(VALU_DEP_2) | instskip(NEXT) | instid1(VALU_DEP_2)
	v_cmp_ge_i32_e64 s9, v14, v38
	v_cmp_lt_i32_e64 s10, v13, v39
	s_or_b32 s8, s9, s8
	s_wait_alu 0xfffe
	s_and_b32 s8, s10, s8
	s_wait_alu 0xfffe
	s_xor_b32 s9, s8, -1
	s_wait_alu 0xfffe
	s_and_saveexec_b32 s10, s9
	s_wait_alu 0xfffe
	s_xor_b32 s9, exec_lo, s10
; %bb.11:                               ;   in Loop: Header=BB148_2 Depth=1
	v_lshlrev_b32_e32 v9, 3, v14
	ds_load_b64 v[9:10], v9 offset:8
; %bb.12:                               ;   in Loop: Header=BB148_2 Depth=1
	s_wait_alu 0xfffe
	s_or_saveexec_b32 s9, s9
	v_dual_mov_b32 v12, v8 :: v_dual_mov_b32 v11, v7
	s_wait_alu 0xfffe
	s_xor_b32 exec_lo, exec_lo, s9
	s_cbranch_execz .LBB148_14
; %bb.13:                               ;   in Loop: Header=BB148_2 Depth=1
	s_wait_dscnt 0x0
	v_lshlrev_b32_e32 v9, 3, v13
	ds_load_b64 v[11:12], v9 offset:8
	v_dual_mov_b32 v10, v6 :: v_dual_mov_b32 v9, v5
.LBB148_14:                             ;   in Loop: Header=BB148_2 Depth=1
	s_or_b32 exec_lo, exec_lo, s9
	v_add_nc_u32_e32 v15, 1, v14
	v_add_nc_u32_e32 v16, 1, v13
	s_wait_dscnt 0x0
	v_cmp_lt_i64_e64 s9, v[11:12], v[9:10]
	s_delay_alu instid0(VALU_DEP_3) | instskip(NEXT) | instid1(VALU_DEP_3)
	v_cndmask_b32_e64 v18, v15, v14, s8
	v_cndmask_b32_e64 v17, v13, v16, s8
                                        ; implicit-def: $vgpr13_vgpr14
	s_delay_alu instid0(VALU_DEP_2) | instskip(NEXT) | instid1(VALU_DEP_2)
	v_cmp_ge_i32_e64 s10, v18, v38
	v_cmp_lt_i32_e64 s11, v17, v39
	s_or_b32 s9, s10, s9
	s_wait_alu 0xfffe
	s_and_b32 s9, s11, s9
	s_wait_alu 0xfffe
	s_xor_b32 s10, s9, -1
	s_wait_alu 0xfffe
	s_and_saveexec_b32 s11, s10
	s_wait_alu 0xfffe
	s_xor_b32 s10, exec_lo, s11
; %bb.15:                               ;   in Loop: Header=BB148_2 Depth=1
	v_lshlrev_b32_e32 v13, 3, v18
	ds_load_b64 v[13:14], v13 offset:8
; %bb.16:                               ;   in Loop: Header=BB148_2 Depth=1
	s_wait_alu 0xfffe
	s_or_saveexec_b32 s10, s10
	v_dual_mov_b32 v16, v12 :: v_dual_mov_b32 v15, v11
	s_wait_alu 0xfffe
	s_xor_b32 exec_lo, exec_lo, s10
	s_cbranch_execz .LBB148_18
; %bb.17:                               ;   in Loop: Header=BB148_2 Depth=1
	s_wait_dscnt 0x0
	v_lshlrev_b32_e32 v13, 3, v17
	ds_load_b64 v[15:16], v13 offset:8
	v_dual_mov_b32 v14, v10 :: v_dual_mov_b32 v13, v9
.LBB148_18:                             ;   in Loop: Header=BB148_2 Depth=1
	s_or_b32 exec_lo, exec_lo, s10
	v_add_nc_u32_e32 v19, 1, v18
	v_add_nc_u32_e32 v20, 1, v17
	s_wait_dscnt 0x0
	v_cmp_lt_i64_e64 s10, v[15:16], v[13:14]
	s_delay_alu instid0(VALU_DEP_3) | instskip(NEXT) | instid1(VALU_DEP_3)
	v_cndmask_b32_e64 v22, v19, v18, s9
	v_cndmask_b32_e64 v21, v17, v20, s9
                                        ; implicit-def: $vgpr17_vgpr18
	s_delay_alu instid0(VALU_DEP_2) | instskip(NEXT) | instid1(VALU_DEP_2)
	v_cmp_ge_i32_e64 s11, v22, v38
	v_cmp_lt_i32_e64 s12, v21, v39
	s_or_b32 s10, s11, s10
	s_wait_alu 0xfffe
	s_and_b32 s10, s12, s10
	s_wait_alu 0xfffe
	s_xor_b32 s11, s10, -1
	s_wait_alu 0xfffe
	s_and_saveexec_b32 s12, s11
	s_wait_alu 0xfffe
	s_xor_b32 s11, exec_lo, s12
; %bb.19:                               ;   in Loop: Header=BB148_2 Depth=1
	v_lshlrev_b32_e32 v17, 3, v22
	ds_load_b64 v[17:18], v17 offset:8
; %bb.20:                               ;   in Loop: Header=BB148_2 Depth=1
	s_wait_alu 0xfffe
	s_or_saveexec_b32 s11, s11
	v_dual_mov_b32 v20, v16 :: v_dual_mov_b32 v19, v15
	s_wait_alu 0xfffe
	s_xor_b32 exec_lo, exec_lo, s11
	s_cbranch_execz .LBB148_22
; %bb.21:                               ;   in Loop: Header=BB148_2 Depth=1
	s_wait_dscnt 0x0
	v_lshlrev_b32_e32 v17, 3, v21
	ds_load_b64 v[19:20], v17 offset:8
	v_dual_mov_b32 v18, v14 :: v_dual_mov_b32 v17, v13
.LBB148_22:                             ;   in Loop: Header=BB148_2 Depth=1
	s_or_b32 exec_lo, exec_lo, s11
	v_add_nc_u32_e32 v23, 1, v22
	v_add_nc_u32_e32 v24, 1, v21
	s_wait_dscnt 0x0
	v_cmp_lt_i64_e64 s11, v[19:20], v[17:18]
	s_delay_alu instid0(VALU_DEP_3) | instskip(NEXT) | instid1(VALU_DEP_3)
	v_cndmask_b32_e64 v26, v23, v22, s10
	v_cndmask_b32_e64 v25, v21, v24, s10
                                        ; implicit-def: $vgpr21_vgpr22
	s_delay_alu instid0(VALU_DEP_2) | instskip(NEXT) | instid1(VALU_DEP_2)
	v_cmp_ge_i32_e64 s12, v26, v38
	v_cmp_lt_i32_e64 s13, v25, v39
	s_or_b32 s11, s12, s11
	s_wait_alu 0xfffe
	s_and_b32 s11, s13, s11
	s_wait_alu 0xfffe
	s_xor_b32 s12, s11, -1
	s_wait_alu 0xfffe
	s_and_saveexec_b32 s13, s12
	s_wait_alu 0xfffe
	s_xor_b32 s12, exec_lo, s13
; %bb.23:                               ;   in Loop: Header=BB148_2 Depth=1
	v_lshlrev_b32_e32 v21, 3, v26
	ds_load_b64 v[21:22], v21 offset:8
; %bb.24:                               ;   in Loop: Header=BB148_2 Depth=1
	s_wait_alu 0xfffe
	s_or_saveexec_b32 s12, s12
	v_dual_mov_b32 v24, v20 :: v_dual_mov_b32 v23, v19
	s_wait_alu 0xfffe
	s_xor_b32 exec_lo, exec_lo, s12
	s_cbranch_execz .LBB148_26
; %bb.25:                               ;   in Loop: Header=BB148_2 Depth=1
	s_wait_dscnt 0x0
	v_lshlrev_b32_e32 v21, 3, v25
	ds_load_b64 v[23:24], v21 offset:8
	v_dual_mov_b32 v22, v18 :: v_dual_mov_b32 v21, v17
.LBB148_26:                             ;   in Loop: Header=BB148_2 Depth=1
	s_or_b32 exec_lo, exec_lo, s12
	v_add_nc_u32_e32 v27, 1, v26
	v_add_nc_u32_e32 v28, 1, v25
	s_wait_dscnt 0x0
	v_cmp_lt_i64_e64 s12, v[23:24], v[21:22]
	s_delay_alu instid0(VALU_DEP_3) | instskip(NEXT) | instid1(VALU_DEP_3)
	v_cndmask_b32_e64 v30, v27, v26, s11
	v_cndmask_b32_e64 v29, v25, v28, s11
                                        ; implicit-def: $vgpr25_vgpr26
	s_delay_alu instid0(VALU_DEP_2) | instskip(NEXT) | instid1(VALU_DEP_2)
	v_cmp_ge_i32_e64 s13, v30, v38
	v_cmp_lt_i32_e64 s14, v29, v39
	s_or_b32 s12, s13, s12
	s_wait_alu 0xfffe
	s_and_b32 s12, s14, s12
	s_wait_alu 0xfffe
	s_xor_b32 s13, s12, -1
	s_wait_alu 0xfffe
	s_and_saveexec_b32 s14, s13
	s_delay_alu instid0(SALU_CYCLE_1)
	s_xor_b32 s13, exec_lo, s14
; %bb.27:                               ;   in Loop: Header=BB148_2 Depth=1
	v_lshlrev_b32_e32 v25, 3, v30
	ds_load_b64 v[25:26], v25 offset:8
; %bb.28:                               ;   in Loop: Header=BB148_2 Depth=1
	s_wait_alu 0xfffe
	s_or_saveexec_b32 s13, s13
	v_dual_mov_b32 v28, v24 :: v_dual_mov_b32 v27, v23
	s_wait_alu 0xfffe
	s_xor_b32 exec_lo, exec_lo, s13
	s_cbranch_execz .LBB148_30
; %bb.29:                               ;   in Loop: Header=BB148_2 Depth=1
	s_wait_dscnt 0x0
	v_lshlrev_b32_e32 v25, 3, v29
	ds_load_b64 v[27:28], v25 offset:8
	v_dual_mov_b32 v26, v22 :: v_dual_mov_b32 v25, v21
.LBB148_30:                             ;   in Loop: Header=BB148_2 Depth=1
	s_or_b32 exec_lo, exec_lo, s13
	v_add_nc_u32_e32 v31, 1, v30
	v_add_nc_u32_e32 v32, 1, v29
	s_wait_dscnt 0x0
	v_cmp_lt_i64_e64 s13, v[27:28], v[25:26]
	s_delay_alu instid0(VALU_DEP_3) | instskip(NEXT) | instid1(VALU_DEP_3)
	v_cndmask_b32_e64 v33, v31, v30, s12
	v_cndmask_b32_e64 v34, v29, v32, s12
                                        ; implicit-def: $vgpr29_vgpr30
	s_delay_alu instid0(VALU_DEP_2) | instskip(NEXT) | instid1(VALU_DEP_2)
	v_cmp_ge_i32_e64 s14, v33, v38
	v_cmp_lt_i32_e64 s15, v34, v39
	s_or_b32 s13, s14, s13
	s_wait_alu 0xfffe
	s_and_b32 s13, s15, s13
	s_wait_alu 0xfffe
	s_xor_b32 s14, s13, -1
	s_delay_alu instid0(SALU_CYCLE_1) | instskip(NEXT) | instid1(SALU_CYCLE_1)
	s_and_saveexec_b32 s15, s14
	s_xor_b32 s14, exec_lo, s15
; %bb.31:                               ;   in Loop: Header=BB148_2 Depth=1
	v_lshlrev_b32_e32 v29, 3, v33
	ds_load_b64 v[29:30], v29 offset:8
; %bb.32:                               ;   in Loop: Header=BB148_2 Depth=1
	s_or_saveexec_b32 s14, s14
	v_dual_mov_b32 v32, v28 :: v_dual_mov_b32 v31, v27
	s_xor_b32 exec_lo, exec_lo, s14
	s_cbranch_execz .LBB148_34
; %bb.33:                               ;   in Loop: Header=BB148_2 Depth=1
	s_wait_dscnt 0x0
	v_lshlrev_b32_e32 v29, 3, v34
	ds_load_b64 v[31:32], v29 offset:8
	v_dual_mov_b32 v30, v26 :: v_dual_mov_b32 v29, v25
.LBB148_34:                             ;   in Loop: Header=BB148_2 Depth=1
	s_or_b32 exec_lo, exec_lo, s14
	v_add_nc_u32_e32 v36, 1, v33
	v_add_nc_u32_e32 v35, 1, v34
	v_cndmask_b32_e64 v26, v26, v28, s13
	v_cndmask_b32_e64 v25, v25, v27, s13
	;; [unrolled: 1-line block ×6, first 2 shown]
	s_wait_dscnt 0x0
	v_cmp_lt_i64_e64 s9, v[31:32], v[29:30]
	v_cndmask_b32_e64 v14, v14, v16, s10
	v_cndmask_b32_e64 v13, v13, v15, s10
	v_cmp_ge_i32_e64 s10, v28, v38
	v_cndmask_b32_e64 v18, v18, v20, s11
	v_cndmask_b32_e64 v17, v17, v19, s11
	v_cmp_lt_i32_e64 s11, v27, v39
	v_cndmask_b32_e64 v6, v6, v8, s8
	v_cndmask_b32_e64 v5, v5, v7, s8
	s_or_b32 s8, s10, s9
	v_cndmask_b32_e64 v2, v2, v4, s7
	v_cndmask_b32_e64 v1, v1, v3, s7
	s_wait_alu 0xfffe
	s_and_b32 s7, s11, s8
	v_cndmask_b32_e64 v22, v22, v24, s12
	v_cndmask_b32_e64 v21, v21, v23, s12
	s_wait_alu 0xfffe
	v_cndmask_b32_e64 v4, v30, v32, s7
	v_cndmask_b32_e64 v3, v29, v31, s7
	s_wait_loadcnt 0x0
	s_barrier_signal -1
	s_barrier_wait -1
	global_inv scope:SCOPE_SE
	ds_store_2addr_b64 v41, v[1:2], v[5:6] offset1:1
	ds_store_2addr_b64 v41, v[9:10], v[13:14] offset0:2 offset1:3
	ds_store_2addr_b64 v41, v[17:18], v[21:22] offset0:4 offset1:5
	;; [unrolled: 1-line block ×3, first 2 shown]
	v_mov_b32_e32 v5, v51
	s_wait_loadcnt_dscnt 0x0
	s_barrier_signal -1
	s_barrier_wait -1
	global_inv scope:SCOPE_SE
	s_and_saveexec_b32 s8, s0
	s_cbranch_execz .LBB148_38
; %bb.35:                               ;   in Loop: Header=BB148_2 Depth=1
	v_mov_b32_e32 v5, v51
	v_mov_b32_e32 v1, v52
	s_mov_b32 s9, 0
.LBB148_36:                             ;   Parent Loop BB148_2 Depth=1
                                        ; =>  This Inner Loop Header: Depth=2
	s_delay_alu instid0(VALU_DEP_1) | instskip(NEXT) | instid1(VALU_DEP_1)
	v_sub_nc_u32_e32 v2, v1, v5
	v_lshrrev_b32_e32 v2, 1, v2
	s_delay_alu instid0(VALU_DEP_1) | instskip(NEXT) | instid1(VALU_DEP_1)
	v_add_nc_u32_e32 v4, v2, v5
	v_not_b32_e32 v2, v4
	v_lshl_add_u32 v3, v4, 3, v53
	s_delay_alu instid0(VALU_DEP_2)
	v_lshl_add_u32 v6, v2, 3, v91
	ds_load_b64 v[2:3], v3
	ds_load_b64 v[6:7], v6
	s_wait_dscnt 0x0
	v_cmp_lt_i64_e64 s7, v[6:7], v[2:3]
	v_add_nc_u32_e32 v2, 1, v4
	s_wait_alu 0xf1ff
	s_delay_alu instid0(VALU_DEP_2) | instskip(NEXT) | instid1(VALU_DEP_2)
	v_cndmask_b32_e64 v1, v1, v4, s7
	v_cndmask_b32_e64 v5, v2, v5, s7
	s_delay_alu instid0(VALU_DEP_1)
	v_cmp_ge_i32_e64 s7, v5, v1
	s_wait_alu 0xfffe
	s_or_b32 s9, s7, s9
	s_wait_alu 0xfffe
	s_and_not1_b32 exec_lo, exec_lo, s9
	s_cbranch_execnz .LBB148_36
; %bb.37:                               ;   in Loop: Header=BB148_2 Depth=1
	s_or_b32 exec_lo, exec_lo, s9
.LBB148_38:                             ;   in Loop: Header=BB148_2 Depth=1
	s_wait_alu 0xfffe
	s_or_b32 exec_lo, exec_lo, s8
	v_sub_nc_u32_e32 v9, v55, v5
	v_lshl_add_u32 v7, v5, 3, v53
	v_add_nc_u32_e32 v10, v5, v40
                                        ; implicit-def: $vgpr5_vgpr6
	s_delay_alu instid0(VALU_DEP_3) | instskip(SKIP_1) | instid1(VALU_DEP_3)
	v_lshlrev_b32_e32 v11, 3, v9
	v_cmp_gt_i32_e64 s9, v43, v9
	v_cmp_le_i32_e64 s8, v42, v10
	ds_load_b64 v[1:2], v7
	ds_load_b64 v[3:4], v11
	s_wait_dscnt 0x0
	v_cmp_lt_i64_e64 s7, v[3:4], v[1:2]
	s_or_b32 s7, s8, s7
	s_wait_alu 0xfffe
	s_and_b32 s7, s9, s7
	s_wait_alu 0xfffe
	s_xor_b32 s8, s7, -1
	s_wait_alu 0xfffe
	s_and_saveexec_b32 s9, s8
	s_wait_alu 0xfffe
	s_xor_b32 s8, exec_lo, s9
; %bb.39:                               ;   in Loop: Header=BB148_2 Depth=1
	ds_load_b64 v[5:6], v7 offset:8
                                        ; implicit-def: $vgpr11
; %bb.40:                               ;   in Loop: Header=BB148_2 Depth=1
	s_wait_alu 0xfffe
	s_or_saveexec_b32 s8, s8
	v_dual_mov_b32 v8, v4 :: v_dual_mov_b32 v7, v3
	s_wait_alu 0xfffe
	s_xor_b32 exec_lo, exec_lo, s8
	s_cbranch_execz .LBB148_42
; %bb.41:                               ;   in Loop: Header=BB148_2 Depth=1
	ds_load_b64 v[7:8], v11 offset:8
	s_wait_dscnt 0x1
	v_dual_mov_b32 v6, v2 :: v_dual_mov_b32 v5, v1
.LBB148_42:                             ;   in Loop: Header=BB148_2 Depth=1
	s_or_b32 exec_lo, exec_lo, s8
	v_add_nc_u32_e32 v11, 1, v10
	v_add_nc_u32_e32 v12, 1, v9
	s_wait_dscnt 0x0
	v_cmp_lt_i64_e64 s8, v[7:8], v[5:6]
	s_delay_alu instid0(VALU_DEP_3) | instskip(NEXT) | instid1(VALU_DEP_3)
	v_cndmask_b32_e64 v14, v11, v10, s7
	v_cndmask_b32_e64 v13, v9, v12, s7
                                        ; implicit-def: $vgpr9_vgpr10
	s_delay_alu instid0(VALU_DEP_2) | instskip(NEXT) | instid1(VALU_DEP_2)
	v_cmp_ge_i32_e64 s9, v14, v42
	v_cmp_lt_i32_e64 s10, v13, v43
	s_or_b32 s8, s9, s8
	s_wait_alu 0xfffe
	s_and_b32 s8, s10, s8
	s_wait_alu 0xfffe
	s_xor_b32 s9, s8, -1
	s_wait_alu 0xfffe
	s_and_saveexec_b32 s10, s9
	s_wait_alu 0xfffe
	s_xor_b32 s9, exec_lo, s10
; %bb.43:                               ;   in Loop: Header=BB148_2 Depth=1
	v_lshlrev_b32_e32 v9, 3, v14
	ds_load_b64 v[9:10], v9 offset:8
; %bb.44:                               ;   in Loop: Header=BB148_2 Depth=1
	s_wait_alu 0xfffe
	s_or_saveexec_b32 s9, s9
	v_dual_mov_b32 v12, v8 :: v_dual_mov_b32 v11, v7
	s_wait_alu 0xfffe
	s_xor_b32 exec_lo, exec_lo, s9
	s_cbranch_execz .LBB148_46
; %bb.45:                               ;   in Loop: Header=BB148_2 Depth=1
	s_wait_dscnt 0x0
	v_lshlrev_b32_e32 v9, 3, v13
	ds_load_b64 v[11:12], v9 offset:8
	v_dual_mov_b32 v10, v6 :: v_dual_mov_b32 v9, v5
.LBB148_46:                             ;   in Loop: Header=BB148_2 Depth=1
	s_or_b32 exec_lo, exec_lo, s9
	v_add_nc_u32_e32 v15, 1, v14
	v_add_nc_u32_e32 v16, 1, v13
	s_wait_dscnt 0x0
	v_cmp_lt_i64_e64 s9, v[11:12], v[9:10]
	s_delay_alu instid0(VALU_DEP_3) | instskip(NEXT) | instid1(VALU_DEP_3)
	v_cndmask_b32_e64 v18, v15, v14, s8
	v_cndmask_b32_e64 v17, v13, v16, s8
                                        ; implicit-def: $vgpr13_vgpr14
	s_delay_alu instid0(VALU_DEP_2) | instskip(NEXT) | instid1(VALU_DEP_2)
	v_cmp_ge_i32_e64 s10, v18, v42
	v_cmp_lt_i32_e64 s11, v17, v43
	s_or_b32 s9, s10, s9
	s_wait_alu 0xfffe
	s_and_b32 s9, s11, s9
	s_wait_alu 0xfffe
	s_xor_b32 s10, s9, -1
	s_wait_alu 0xfffe
	s_and_saveexec_b32 s11, s10
	s_wait_alu 0xfffe
	s_xor_b32 s10, exec_lo, s11
; %bb.47:                               ;   in Loop: Header=BB148_2 Depth=1
	v_lshlrev_b32_e32 v13, 3, v18
	ds_load_b64 v[13:14], v13 offset:8
; %bb.48:                               ;   in Loop: Header=BB148_2 Depth=1
	s_wait_alu 0xfffe
	s_or_saveexec_b32 s10, s10
	v_dual_mov_b32 v16, v12 :: v_dual_mov_b32 v15, v11
	s_wait_alu 0xfffe
	s_xor_b32 exec_lo, exec_lo, s10
	s_cbranch_execz .LBB148_50
; %bb.49:                               ;   in Loop: Header=BB148_2 Depth=1
	s_wait_dscnt 0x0
	v_lshlrev_b32_e32 v13, 3, v17
	ds_load_b64 v[15:16], v13 offset:8
	v_dual_mov_b32 v14, v10 :: v_dual_mov_b32 v13, v9
.LBB148_50:                             ;   in Loop: Header=BB148_2 Depth=1
	s_or_b32 exec_lo, exec_lo, s10
	v_add_nc_u32_e32 v19, 1, v18
	v_add_nc_u32_e32 v20, 1, v17
	s_wait_dscnt 0x0
	v_cmp_lt_i64_e64 s10, v[15:16], v[13:14]
	s_delay_alu instid0(VALU_DEP_3) | instskip(NEXT) | instid1(VALU_DEP_3)
	v_cndmask_b32_e64 v22, v19, v18, s9
	v_cndmask_b32_e64 v21, v17, v20, s9
                                        ; implicit-def: $vgpr17_vgpr18
	s_delay_alu instid0(VALU_DEP_2) | instskip(NEXT) | instid1(VALU_DEP_2)
	v_cmp_ge_i32_e64 s11, v22, v42
	v_cmp_lt_i32_e64 s12, v21, v43
	s_or_b32 s10, s11, s10
	s_wait_alu 0xfffe
	s_and_b32 s10, s12, s10
	s_wait_alu 0xfffe
	s_xor_b32 s11, s10, -1
	s_wait_alu 0xfffe
	s_and_saveexec_b32 s12, s11
	s_wait_alu 0xfffe
	s_xor_b32 s11, exec_lo, s12
; %bb.51:                               ;   in Loop: Header=BB148_2 Depth=1
	v_lshlrev_b32_e32 v17, 3, v22
	ds_load_b64 v[17:18], v17 offset:8
; %bb.52:                               ;   in Loop: Header=BB148_2 Depth=1
	s_wait_alu 0xfffe
	s_or_saveexec_b32 s11, s11
	v_dual_mov_b32 v20, v16 :: v_dual_mov_b32 v19, v15
	s_wait_alu 0xfffe
	s_xor_b32 exec_lo, exec_lo, s11
	s_cbranch_execz .LBB148_54
; %bb.53:                               ;   in Loop: Header=BB148_2 Depth=1
	s_wait_dscnt 0x0
	v_lshlrev_b32_e32 v17, 3, v21
	ds_load_b64 v[19:20], v17 offset:8
	v_dual_mov_b32 v18, v14 :: v_dual_mov_b32 v17, v13
.LBB148_54:                             ;   in Loop: Header=BB148_2 Depth=1
	s_or_b32 exec_lo, exec_lo, s11
	v_add_nc_u32_e32 v23, 1, v22
	v_add_nc_u32_e32 v24, 1, v21
	s_wait_dscnt 0x0
	v_cmp_lt_i64_e64 s11, v[19:20], v[17:18]
	s_delay_alu instid0(VALU_DEP_3) | instskip(NEXT) | instid1(VALU_DEP_3)
	v_cndmask_b32_e64 v26, v23, v22, s10
	v_cndmask_b32_e64 v25, v21, v24, s10
                                        ; implicit-def: $vgpr21_vgpr22
	s_delay_alu instid0(VALU_DEP_2) | instskip(NEXT) | instid1(VALU_DEP_2)
	v_cmp_ge_i32_e64 s12, v26, v42
	v_cmp_lt_i32_e64 s13, v25, v43
	s_or_b32 s11, s12, s11
	s_wait_alu 0xfffe
	s_and_b32 s11, s13, s11
	s_wait_alu 0xfffe
	s_xor_b32 s12, s11, -1
	s_wait_alu 0xfffe
	s_and_saveexec_b32 s13, s12
	s_wait_alu 0xfffe
	s_xor_b32 s12, exec_lo, s13
; %bb.55:                               ;   in Loop: Header=BB148_2 Depth=1
	v_lshlrev_b32_e32 v21, 3, v26
	ds_load_b64 v[21:22], v21 offset:8
; %bb.56:                               ;   in Loop: Header=BB148_2 Depth=1
	s_wait_alu 0xfffe
	s_or_saveexec_b32 s12, s12
	v_dual_mov_b32 v24, v20 :: v_dual_mov_b32 v23, v19
	s_wait_alu 0xfffe
	s_xor_b32 exec_lo, exec_lo, s12
	s_cbranch_execz .LBB148_58
; %bb.57:                               ;   in Loop: Header=BB148_2 Depth=1
	s_wait_dscnt 0x0
	v_lshlrev_b32_e32 v21, 3, v25
	ds_load_b64 v[23:24], v21 offset:8
	v_dual_mov_b32 v22, v18 :: v_dual_mov_b32 v21, v17
.LBB148_58:                             ;   in Loop: Header=BB148_2 Depth=1
	s_or_b32 exec_lo, exec_lo, s12
	v_add_nc_u32_e32 v27, 1, v26
	v_add_nc_u32_e32 v28, 1, v25
	s_wait_dscnt 0x0
	v_cmp_lt_i64_e64 s12, v[23:24], v[21:22]
	s_delay_alu instid0(VALU_DEP_3) | instskip(NEXT) | instid1(VALU_DEP_3)
	v_cndmask_b32_e64 v30, v27, v26, s11
	v_cndmask_b32_e64 v29, v25, v28, s11
                                        ; implicit-def: $vgpr25_vgpr26
	s_delay_alu instid0(VALU_DEP_2) | instskip(NEXT) | instid1(VALU_DEP_2)
	v_cmp_ge_i32_e64 s13, v30, v42
	v_cmp_lt_i32_e64 s14, v29, v43
	s_or_b32 s12, s13, s12
	s_wait_alu 0xfffe
	s_and_b32 s12, s14, s12
	s_wait_alu 0xfffe
	s_xor_b32 s13, s12, -1
	s_wait_alu 0xfffe
	s_and_saveexec_b32 s14, s13
	s_delay_alu instid0(SALU_CYCLE_1)
	s_xor_b32 s13, exec_lo, s14
; %bb.59:                               ;   in Loop: Header=BB148_2 Depth=1
	v_lshlrev_b32_e32 v25, 3, v30
	ds_load_b64 v[25:26], v25 offset:8
; %bb.60:                               ;   in Loop: Header=BB148_2 Depth=1
	s_wait_alu 0xfffe
	s_or_saveexec_b32 s13, s13
	v_dual_mov_b32 v28, v24 :: v_dual_mov_b32 v27, v23
	s_wait_alu 0xfffe
	s_xor_b32 exec_lo, exec_lo, s13
	s_cbranch_execz .LBB148_62
; %bb.61:                               ;   in Loop: Header=BB148_2 Depth=1
	s_wait_dscnt 0x0
	v_lshlrev_b32_e32 v25, 3, v29
	ds_load_b64 v[27:28], v25 offset:8
	v_dual_mov_b32 v26, v22 :: v_dual_mov_b32 v25, v21
.LBB148_62:                             ;   in Loop: Header=BB148_2 Depth=1
	s_or_b32 exec_lo, exec_lo, s13
	v_add_nc_u32_e32 v31, 1, v30
	v_add_nc_u32_e32 v32, 1, v29
	s_wait_dscnt 0x0
	v_cmp_lt_i64_e64 s13, v[27:28], v[25:26]
	s_delay_alu instid0(VALU_DEP_3) | instskip(NEXT) | instid1(VALU_DEP_3)
	v_cndmask_b32_e64 v33, v31, v30, s12
	v_cndmask_b32_e64 v34, v29, v32, s12
                                        ; implicit-def: $vgpr29_vgpr30
	s_delay_alu instid0(VALU_DEP_2) | instskip(NEXT) | instid1(VALU_DEP_2)
	v_cmp_ge_i32_e64 s14, v33, v42
	v_cmp_lt_i32_e64 s15, v34, v43
	s_or_b32 s13, s14, s13
	s_wait_alu 0xfffe
	s_and_b32 s13, s15, s13
	s_wait_alu 0xfffe
	s_xor_b32 s14, s13, -1
	s_delay_alu instid0(SALU_CYCLE_1) | instskip(NEXT) | instid1(SALU_CYCLE_1)
	s_and_saveexec_b32 s15, s14
	s_xor_b32 s14, exec_lo, s15
; %bb.63:                               ;   in Loop: Header=BB148_2 Depth=1
	v_lshlrev_b32_e32 v29, 3, v33
	ds_load_b64 v[29:30], v29 offset:8
; %bb.64:                               ;   in Loop: Header=BB148_2 Depth=1
	s_or_saveexec_b32 s14, s14
	v_dual_mov_b32 v32, v28 :: v_dual_mov_b32 v31, v27
	s_xor_b32 exec_lo, exec_lo, s14
	s_cbranch_execz .LBB148_66
; %bb.65:                               ;   in Loop: Header=BB148_2 Depth=1
	s_wait_dscnt 0x0
	v_lshlrev_b32_e32 v29, 3, v34
	ds_load_b64 v[31:32], v29 offset:8
	v_dual_mov_b32 v30, v26 :: v_dual_mov_b32 v29, v25
.LBB148_66:                             ;   in Loop: Header=BB148_2 Depth=1
	s_or_b32 exec_lo, exec_lo, s14
	v_add_nc_u32_e32 v36, 1, v33
	v_add_nc_u32_e32 v35, 1, v34
	v_cndmask_b32_e64 v26, v26, v28, s13
	v_cndmask_b32_e64 v25, v25, v27, s13
	;; [unrolled: 1-line block ×6, first 2 shown]
	s_wait_dscnt 0x0
	v_cmp_lt_i64_e64 s9, v[31:32], v[29:30]
	v_cndmask_b32_e64 v14, v14, v16, s10
	v_cndmask_b32_e64 v13, v13, v15, s10
	v_cmp_ge_i32_e64 s10, v28, v42
	v_cndmask_b32_e64 v18, v18, v20, s11
	v_cndmask_b32_e64 v17, v17, v19, s11
	v_cmp_lt_i32_e64 s11, v27, v43
	v_cndmask_b32_e64 v6, v6, v8, s8
	v_cndmask_b32_e64 v5, v5, v7, s8
	s_or_b32 s8, s10, s9
	v_cndmask_b32_e64 v2, v2, v4, s7
	v_cndmask_b32_e64 v1, v1, v3, s7
	s_wait_alu 0xfffe
	s_and_b32 s7, s11, s8
	v_cndmask_b32_e64 v22, v22, v24, s12
	v_cndmask_b32_e64 v21, v21, v23, s12
	s_wait_alu 0xfffe
	v_cndmask_b32_e64 v4, v30, v32, s7
	v_cndmask_b32_e64 v3, v29, v31, s7
	s_wait_loadcnt 0x0
	s_barrier_signal -1
	s_barrier_wait -1
	global_inv scope:SCOPE_SE
	ds_store_2addr_b64 v41, v[1:2], v[5:6] offset1:1
	ds_store_2addr_b64 v41, v[9:10], v[13:14] offset0:2 offset1:3
	ds_store_2addr_b64 v41, v[17:18], v[21:22] offset0:4 offset1:5
	;; [unrolled: 1-line block ×3, first 2 shown]
	v_mov_b32_e32 v5, v58
	s_wait_loadcnt_dscnt 0x0
	s_barrier_signal -1
	s_barrier_wait -1
	global_inv scope:SCOPE_SE
	s_and_saveexec_b32 s8, s1
	s_cbranch_execz .LBB148_70
; %bb.67:                               ;   in Loop: Header=BB148_2 Depth=1
	v_mov_b32_e32 v5, v58
	v_mov_b32_e32 v1, v59
	s_mov_b32 s9, 0
.LBB148_68:                             ;   Parent Loop BB148_2 Depth=1
                                        ; =>  This Inner Loop Header: Depth=2
	s_delay_alu instid0(VALU_DEP_1) | instskip(NEXT) | instid1(VALU_DEP_1)
	v_sub_nc_u32_e32 v2, v1, v5
	v_lshrrev_b32_e32 v2, 1, v2
	s_delay_alu instid0(VALU_DEP_1) | instskip(NEXT) | instid1(VALU_DEP_1)
	v_add_nc_u32_e32 v4, v2, v5
	v_not_b32_e32 v2, v4
	v_lshl_add_u32 v3, v4, 3, v60
	s_delay_alu instid0(VALU_DEP_2)
	v_lshl_add_u32 v6, v2, 3, v92
	ds_load_b64 v[2:3], v3
	ds_load_b64 v[6:7], v6
	s_wait_dscnt 0x0
	v_cmp_lt_i64_e64 s7, v[6:7], v[2:3]
	v_add_nc_u32_e32 v2, 1, v4
	s_wait_alu 0xf1ff
	s_delay_alu instid0(VALU_DEP_2) | instskip(NEXT) | instid1(VALU_DEP_2)
	v_cndmask_b32_e64 v1, v1, v4, s7
	v_cndmask_b32_e64 v5, v2, v5, s7
	s_delay_alu instid0(VALU_DEP_1)
	v_cmp_ge_i32_e64 s7, v5, v1
	s_wait_alu 0xfffe
	s_or_b32 s9, s7, s9
	s_wait_alu 0xfffe
	s_and_not1_b32 exec_lo, exec_lo, s9
	s_cbranch_execnz .LBB148_68
; %bb.69:                               ;   in Loop: Header=BB148_2 Depth=1
	s_or_b32 exec_lo, exec_lo, s9
.LBB148_70:                             ;   in Loop: Header=BB148_2 Depth=1
	s_wait_alu 0xfffe
	s_or_b32 exec_lo, exec_lo, s8
	v_sub_nc_u32_e32 v9, v62, v5
	v_lshl_add_u32 v7, v5, 3, v60
	v_add_nc_u32_e32 v10, v5, v47
                                        ; implicit-def: $vgpr5_vgpr6
	s_delay_alu instid0(VALU_DEP_3) | instskip(SKIP_1) | instid1(VALU_DEP_3)
	v_lshlrev_b32_e32 v11, 3, v9
	v_cmp_gt_i32_e64 s9, v50, v9
	v_cmp_le_i32_e64 s8, v49, v10
	ds_load_b64 v[1:2], v7
	ds_load_b64 v[3:4], v11
	s_wait_dscnt 0x0
	v_cmp_lt_i64_e64 s7, v[3:4], v[1:2]
	s_or_b32 s7, s8, s7
	s_wait_alu 0xfffe
	s_and_b32 s7, s9, s7
	s_wait_alu 0xfffe
	s_xor_b32 s8, s7, -1
	s_wait_alu 0xfffe
	s_and_saveexec_b32 s9, s8
	s_wait_alu 0xfffe
	s_xor_b32 s8, exec_lo, s9
; %bb.71:                               ;   in Loop: Header=BB148_2 Depth=1
	ds_load_b64 v[5:6], v7 offset:8
                                        ; implicit-def: $vgpr11
; %bb.72:                               ;   in Loop: Header=BB148_2 Depth=1
	s_wait_alu 0xfffe
	s_or_saveexec_b32 s8, s8
	v_dual_mov_b32 v8, v4 :: v_dual_mov_b32 v7, v3
	s_wait_alu 0xfffe
	s_xor_b32 exec_lo, exec_lo, s8
	s_cbranch_execz .LBB148_74
; %bb.73:                               ;   in Loop: Header=BB148_2 Depth=1
	ds_load_b64 v[7:8], v11 offset:8
	s_wait_dscnt 0x1
	v_dual_mov_b32 v6, v2 :: v_dual_mov_b32 v5, v1
.LBB148_74:                             ;   in Loop: Header=BB148_2 Depth=1
	s_or_b32 exec_lo, exec_lo, s8
	v_add_nc_u32_e32 v11, 1, v10
	v_add_nc_u32_e32 v12, 1, v9
	s_wait_dscnt 0x0
	v_cmp_lt_i64_e64 s8, v[7:8], v[5:6]
	s_delay_alu instid0(VALU_DEP_3) | instskip(NEXT) | instid1(VALU_DEP_3)
	v_cndmask_b32_e64 v14, v11, v10, s7
	v_cndmask_b32_e64 v13, v9, v12, s7
                                        ; implicit-def: $vgpr9_vgpr10
	s_delay_alu instid0(VALU_DEP_2) | instskip(NEXT) | instid1(VALU_DEP_2)
	v_cmp_ge_i32_e64 s9, v14, v49
	v_cmp_lt_i32_e64 s10, v13, v50
	s_or_b32 s8, s9, s8
	s_wait_alu 0xfffe
	s_and_b32 s8, s10, s8
	s_wait_alu 0xfffe
	s_xor_b32 s9, s8, -1
	s_wait_alu 0xfffe
	s_and_saveexec_b32 s10, s9
	s_wait_alu 0xfffe
	s_xor_b32 s9, exec_lo, s10
; %bb.75:                               ;   in Loop: Header=BB148_2 Depth=1
	v_lshlrev_b32_e32 v9, 3, v14
	ds_load_b64 v[9:10], v9 offset:8
; %bb.76:                               ;   in Loop: Header=BB148_2 Depth=1
	s_wait_alu 0xfffe
	s_or_saveexec_b32 s9, s9
	v_dual_mov_b32 v12, v8 :: v_dual_mov_b32 v11, v7
	s_wait_alu 0xfffe
	s_xor_b32 exec_lo, exec_lo, s9
	s_cbranch_execz .LBB148_78
; %bb.77:                               ;   in Loop: Header=BB148_2 Depth=1
	s_wait_dscnt 0x0
	v_lshlrev_b32_e32 v9, 3, v13
	ds_load_b64 v[11:12], v9 offset:8
	v_dual_mov_b32 v10, v6 :: v_dual_mov_b32 v9, v5
.LBB148_78:                             ;   in Loop: Header=BB148_2 Depth=1
	s_or_b32 exec_lo, exec_lo, s9
	v_add_nc_u32_e32 v15, 1, v14
	v_add_nc_u32_e32 v16, 1, v13
	s_wait_dscnt 0x0
	v_cmp_lt_i64_e64 s9, v[11:12], v[9:10]
	s_delay_alu instid0(VALU_DEP_3) | instskip(NEXT) | instid1(VALU_DEP_3)
	v_cndmask_b32_e64 v18, v15, v14, s8
	v_cndmask_b32_e64 v17, v13, v16, s8
                                        ; implicit-def: $vgpr13_vgpr14
	s_delay_alu instid0(VALU_DEP_2) | instskip(NEXT) | instid1(VALU_DEP_2)
	v_cmp_ge_i32_e64 s10, v18, v49
	v_cmp_lt_i32_e64 s11, v17, v50
	s_or_b32 s9, s10, s9
	s_wait_alu 0xfffe
	s_and_b32 s9, s11, s9
	s_wait_alu 0xfffe
	s_xor_b32 s10, s9, -1
	s_wait_alu 0xfffe
	s_and_saveexec_b32 s11, s10
	s_wait_alu 0xfffe
	s_xor_b32 s10, exec_lo, s11
; %bb.79:                               ;   in Loop: Header=BB148_2 Depth=1
	v_lshlrev_b32_e32 v13, 3, v18
	ds_load_b64 v[13:14], v13 offset:8
; %bb.80:                               ;   in Loop: Header=BB148_2 Depth=1
	s_wait_alu 0xfffe
	s_or_saveexec_b32 s10, s10
	v_dual_mov_b32 v16, v12 :: v_dual_mov_b32 v15, v11
	s_wait_alu 0xfffe
	s_xor_b32 exec_lo, exec_lo, s10
	s_cbranch_execz .LBB148_82
; %bb.81:                               ;   in Loop: Header=BB148_2 Depth=1
	s_wait_dscnt 0x0
	v_lshlrev_b32_e32 v13, 3, v17
	ds_load_b64 v[15:16], v13 offset:8
	v_dual_mov_b32 v14, v10 :: v_dual_mov_b32 v13, v9
.LBB148_82:                             ;   in Loop: Header=BB148_2 Depth=1
	s_or_b32 exec_lo, exec_lo, s10
	v_add_nc_u32_e32 v19, 1, v18
	v_add_nc_u32_e32 v20, 1, v17
	s_wait_dscnt 0x0
	v_cmp_lt_i64_e64 s10, v[15:16], v[13:14]
	s_delay_alu instid0(VALU_DEP_3) | instskip(NEXT) | instid1(VALU_DEP_3)
	v_cndmask_b32_e64 v22, v19, v18, s9
	v_cndmask_b32_e64 v21, v17, v20, s9
                                        ; implicit-def: $vgpr17_vgpr18
	s_delay_alu instid0(VALU_DEP_2) | instskip(NEXT) | instid1(VALU_DEP_2)
	v_cmp_ge_i32_e64 s11, v22, v49
	v_cmp_lt_i32_e64 s12, v21, v50
	s_or_b32 s10, s11, s10
	s_wait_alu 0xfffe
	s_and_b32 s10, s12, s10
	s_wait_alu 0xfffe
	s_xor_b32 s11, s10, -1
	s_wait_alu 0xfffe
	s_and_saveexec_b32 s12, s11
	s_wait_alu 0xfffe
	s_xor_b32 s11, exec_lo, s12
; %bb.83:                               ;   in Loop: Header=BB148_2 Depth=1
	v_lshlrev_b32_e32 v17, 3, v22
	ds_load_b64 v[17:18], v17 offset:8
; %bb.84:                               ;   in Loop: Header=BB148_2 Depth=1
	s_wait_alu 0xfffe
	s_or_saveexec_b32 s11, s11
	v_dual_mov_b32 v20, v16 :: v_dual_mov_b32 v19, v15
	s_wait_alu 0xfffe
	s_xor_b32 exec_lo, exec_lo, s11
	s_cbranch_execz .LBB148_86
; %bb.85:                               ;   in Loop: Header=BB148_2 Depth=1
	s_wait_dscnt 0x0
	v_lshlrev_b32_e32 v17, 3, v21
	ds_load_b64 v[19:20], v17 offset:8
	v_dual_mov_b32 v18, v14 :: v_dual_mov_b32 v17, v13
.LBB148_86:                             ;   in Loop: Header=BB148_2 Depth=1
	s_or_b32 exec_lo, exec_lo, s11
	v_add_nc_u32_e32 v23, 1, v22
	v_add_nc_u32_e32 v24, 1, v21
	s_wait_dscnt 0x0
	v_cmp_lt_i64_e64 s11, v[19:20], v[17:18]
	s_delay_alu instid0(VALU_DEP_3) | instskip(NEXT) | instid1(VALU_DEP_3)
	v_cndmask_b32_e64 v26, v23, v22, s10
	v_cndmask_b32_e64 v25, v21, v24, s10
                                        ; implicit-def: $vgpr21_vgpr22
	s_delay_alu instid0(VALU_DEP_2) | instskip(NEXT) | instid1(VALU_DEP_2)
	v_cmp_ge_i32_e64 s12, v26, v49
	v_cmp_lt_i32_e64 s13, v25, v50
	s_or_b32 s11, s12, s11
	s_wait_alu 0xfffe
	s_and_b32 s11, s13, s11
	s_wait_alu 0xfffe
	s_xor_b32 s12, s11, -1
	s_wait_alu 0xfffe
	s_and_saveexec_b32 s13, s12
	s_wait_alu 0xfffe
	s_xor_b32 s12, exec_lo, s13
; %bb.87:                               ;   in Loop: Header=BB148_2 Depth=1
	v_lshlrev_b32_e32 v21, 3, v26
	ds_load_b64 v[21:22], v21 offset:8
; %bb.88:                               ;   in Loop: Header=BB148_2 Depth=1
	s_wait_alu 0xfffe
	s_or_saveexec_b32 s12, s12
	v_dual_mov_b32 v24, v20 :: v_dual_mov_b32 v23, v19
	s_wait_alu 0xfffe
	s_xor_b32 exec_lo, exec_lo, s12
	s_cbranch_execz .LBB148_90
; %bb.89:                               ;   in Loop: Header=BB148_2 Depth=1
	s_wait_dscnt 0x0
	v_lshlrev_b32_e32 v21, 3, v25
	ds_load_b64 v[23:24], v21 offset:8
	v_dual_mov_b32 v22, v18 :: v_dual_mov_b32 v21, v17
.LBB148_90:                             ;   in Loop: Header=BB148_2 Depth=1
	s_or_b32 exec_lo, exec_lo, s12
	v_add_nc_u32_e32 v27, 1, v26
	v_add_nc_u32_e32 v28, 1, v25
	s_wait_dscnt 0x0
	v_cmp_lt_i64_e64 s12, v[23:24], v[21:22]
	s_delay_alu instid0(VALU_DEP_3) | instskip(NEXT) | instid1(VALU_DEP_3)
	v_cndmask_b32_e64 v30, v27, v26, s11
	v_cndmask_b32_e64 v29, v25, v28, s11
                                        ; implicit-def: $vgpr25_vgpr26
	s_delay_alu instid0(VALU_DEP_2) | instskip(NEXT) | instid1(VALU_DEP_2)
	v_cmp_ge_i32_e64 s13, v30, v49
	v_cmp_lt_i32_e64 s14, v29, v50
	s_or_b32 s12, s13, s12
	s_wait_alu 0xfffe
	s_and_b32 s12, s14, s12
	s_wait_alu 0xfffe
	s_xor_b32 s13, s12, -1
	s_wait_alu 0xfffe
	s_and_saveexec_b32 s14, s13
	s_delay_alu instid0(SALU_CYCLE_1)
	s_xor_b32 s13, exec_lo, s14
; %bb.91:                               ;   in Loop: Header=BB148_2 Depth=1
	v_lshlrev_b32_e32 v25, 3, v30
	ds_load_b64 v[25:26], v25 offset:8
; %bb.92:                               ;   in Loop: Header=BB148_2 Depth=1
	s_wait_alu 0xfffe
	s_or_saveexec_b32 s13, s13
	v_dual_mov_b32 v28, v24 :: v_dual_mov_b32 v27, v23
	s_wait_alu 0xfffe
	s_xor_b32 exec_lo, exec_lo, s13
	s_cbranch_execz .LBB148_94
; %bb.93:                               ;   in Loop: Header=BB148_2 Depth=1
	s_wait_dscnt 0x0
	v_lshlrev_b32_e32 v25, 3, v29
	ds_load_b64 v[27:28], v25 offset:8
	v_dual_mov_b32 v26, v22 :: v_dual_mov_b32 v25, v21
.LBB148_94:                             ;   in Loop: Header=BB148_2 Depth=1
	s_or_b32 exec_lo, exec_lo, s13
	v_add_nc_u32_e32 v31, 1, v30
	v_add_nc_u32_e32 v32, 1, v29
	s_wait_dscnt 0x0
	v_cmp_lt_i64_e64 s13, v[27:28], v[25:26]
	s_delay_alu instid0(VALU_DEP_3) | instskip(NEXT) | instid1(VALU_DEP_3)
	v_cndmask_b32_e64 v33, v31, v30, s12
	v_cndmask_b32_e64 v34, v29, v32, s12
                                        ; implicit-def: $vgpr29_vgpr30
	s_delay_alu instid0(VALU_DEP_2) | instskip(NEXT) | instid1(VALU_DEP_2)
	v_cmp_ge_i32_e64 s14, v33, v49
	v_cmp_lt_i32_e64 s15, v34, v50
	s_or_b32 s13, s14, s13
	s_wait_alu 0xfffe
	s_and_b32 s13, s15, s13
	s_wait_alu 0xfffe
	s_xor_b32 s14, s13, -1
	s_delay_alu instid0(SALU_CYCLE_1) | instskip(NEXT) | instid1(SALU_CYCLE_1)
	s_and_saveexec_b32 s15, s14
	s_xor_b32 s14, exec_lo, s15
; %bb.95:                               ;   in Loop: Header=BB148_2 Depth=1
	v_lshlrev_b32_e32 v29, 3, v33
	ds_load_b64 v[29:30], v29 offset:8
; %bb.96:                               ;   in Loop: Header=BB148_2 Depth=1
	s_or_saveexec_b32 s14, s14
	v_dual_mov_b32 v32, v28 :: v_dual_mov_b32 v31, v27
	s_xor_b32 exec_lo, exec_lo, s14
	s_cbranch_execz .LBB148_98
; %bb.97:                               ;   in Loop: Header=BB148_2 Depth=1
	s_wait_dscnt 0x0
	v_lshlrev_b32_e32 v29, 3, v34
	ds_load_b64 v[31:32], v29 offset:8
	v_dual_mov_b32 v30, v26 :: v_dual_mov_b32 v29, v25
.LBB148_98:                             ;   in Loop: Header=BB148_2 Depth=1
	s_or_b32 exec_lo, exec_lo, s14
	v_add_nc_u32_e32 v36, 1, v33
	v_add_nc_u32_e32 v35, 1, v34
	v_cndmask_b32_e64 v26, v26, v28, s13
	v_cndmask_b32_e64 v25, v25, v27, s13
	;; [unrolled: 1-line block ×6, first 2 shown]
	s_wait_dscnt 0x0
	v_cmp_lt_i64_e64 s9, v[31:32], v[29:30]
	v_cndmask_b32_e64 v14, v14, v16, s10
	v_cndmask_b32_e64 v13, v13, v15, s10
	v_cmp_ge_i32_e64 s10, v28, v49
	v_cndmask_b32_e64 v18, v18, v20, s11
	v_cndmask_b32_e64 v17, v17, v19, s11
	v_cmp_lt_i32_e64 s11, v27, v50
	v_cndmask_b32_e64 v6, v6, v8, s8
	v_cndmask_b32_e64 v5, v5, v7, s8
	s_or_b32 s8, s10, s9
	v_cndmask_b32_e64 v2, v2, v4, s7
	v_cndmask_b32_e64 v1, v1, v3, s7
	s_wait_alu 0xfffe
	s_and_b32 s7, s11, s8
	v_cndmask_b32_e64 v22, v22, v24, s12
	v_cndmask_b32_e64 v21, v21, v23, s12
	s_wait_alu 0xfffe
	v_cndmask_b32_e64 v4, v30, v32, s7
	v_cndmask_b32_e64 v3, v29, v31, s7
	s_wait_loadcnt 0x0
	s_barrier_signal -1
	s_barrier_wait -1
	global_inv scope:SCOPE_SE
	ds_store_2addr_b64 v41, v[1:2], v[5:6] offset1:1
	ds_store_2addr_b64 v41, v[9:10], v[13:14] offset0:2 offset1:3
	ds_store_2addr_b64 v41, v[17:18], v[21:22] offset0:4 offset1:5
	;; [unrolled: 1-line block ×3, first 2 shown]
	v_mov_b32_e32 v5, v65
	s_wait_loadcnt_dscnt 0x0
	s_barrier_signal -1
	s_barrier_wait -1
	global_inv scope:SCOPE_SE
	s_and_saveexec_b32 s8, s2
	s_cbranch_execz .LBB148_102
; %bb.99:                               ;   in Loop: Header=BB148_2 Depth=1
	v_mov_b32_e32 v5, v65
	v_mov_b32_e32 v1, v66
	s_mov_b32 s9, 0
.LBB148_100:                            ;   Parent Loop BB148_2 Depth=1
                                        ; =>  This Inner Loop Header: Depth=2
	s_delay_alu instid0(VALU_DEP_1) | instskip(NEXT) | instid1(VALU_DEP_1)
	v_sub_nc_u32_e32 v2, v1, v5
	v_lshrrev_b32_e32 v2, 1, v2
	s_delay_alu instid0(VALU_DEP_1) | instskip(NEXT) | instid1(VALU_DEP_1)
	v_add_nc_u32_e32 v4, v2, v5
	v_not_b32_e32 v2, v4
	v_lshl_add_u32 v3, v4, 3, v67
	s_delay_alu instid0(VALU_DEP_2)
	v_lshl_add_u32 v6, v2, 3, v93
	ds_load_b64 v[2:3], v3
	ds_load_b64 v[6:7], v6
	s_wait_dscnt 0x0
	v_cmp_lt_i64_e64 s7, v[6:7], v[2:3]
	v_add_nc_u32_e32 v2, 1, v4
	s_wait_alu 0xf1ff
	s_delay_alu instid0(VALU_DEP_2) | instskip(NEXT) | instid1(VALU_DEP_2)
	v_cndmask_b32_e64 v1, v1, v4, s7
	v_cndmask_b32_e64 v5, v2, v5, s7
	s_delay_alu instid0(VALU_DEP_1)
	v_cmp_ge_i32_e64 s7, v5, v1
	s_wait_alu 0xfffe
	s_or_b32 s9, s7, s9
	s_wait_alu 0xfffe
	s_and_not1_b32 exec_lo, exec_lo, s9
	s_cbranch_execnz .LBB148_100
; %bb.101:                              ;   in Loop: Header=BB148_2 Depth=1
	s_or_b32 exec_lo, exec_lo, s9
.LBB148_102:                            ;   in Loop: Header=BB148_2 Depth=1
	s_wait_alu 0xfffe
	s_or_b32 exec_lo, exec_lo, s8
	v_sub_nc_u32_e32 v9, v69, v5
	v_lshl_add_u32 v7, v5, 3, v67
	v_add_nc_u32_e32 v10, v5, v54
                                        ; implicit-def: $vgpr5_vgpr6
	s_delay_alu instid0(VALU_DEP_3) | instskip(SKIP_1) | instid1(VALU_DEP_3)
	v_lshlrev_b32_e32 v11, 3, v9
	v_cmp_gt_i32_e64 s9, v57, v9
	v_cmp_le_i32_e64 s8, v56, v10
	ds_load_b64 v[1:2], v7
	ds_load_b64 v[3:4], v11
	s_wait_dscnt 0x0
	v_cmp_lt_i64_e64 s7, v[3:4], v[1:2]
	s_or_b32 s7, s8, s7
	s_wait_alu 0xfffe
	s_and_b32 s7, s9, s7
	s_wait_alu 0xfffe
	s_xor_b32 s8, s7, -1
	s_wait_alu 0xfffe
	s_and_saveexec_b32 s9, s8
	s_wait_alu 0xfffe
	s_xor_b32 s8, exec_lo, s9
; %bb.103:                              ;   in Loop: Header=BB148_2 Depth=1
	ds_load_b64 v[5:6], v7 offset:8
                                        ; implicit-def: $vgpr11
; %bb.104:                              ;   in Loop: Header=BB148_2 Depth=1
	s_wait_alu 0xfffe
	s_or_saveexec_b32 s8, s8
	v_dual_mov_b32 v8, v4 :: v_dual_mov_b32 v7, v3
	s_wait_alu 0xfffe
	s_xor_b32 exec_lo, exec_lo, s8
	s_cbranch_execz .LBB148_106
; %bb.105:                              ;   in Loop: Header=BB148_2 Depth=1
	ds_load_b64 v[7:8], v11 offset:8
	s_wait_dscnt 0x1
	v_dual_mov_b32 v6, v2 :: v_dual_mov_b32 v5, v1
.LBB148_106:                            ;   in Loop: Header=BB148_2 Depth=1
	s_or_b32 exec_lo, exec_lo, s8
	v_add_nc_u32_e32 v11, 1, v10
	v_add_nc_u32_e32 v12, 1, v9
	s_wait_dscnt 0x0
	v_cmp_lt_i64_e64 s8, v[7:8], v[5:6]
	s_delay_alu instid0(VALU_DEP_3) | instskip(NEXT) | instid1(VALU_DEP_3)
	v_cndmask_b32_e64 v14, v11, v10, s7
	v_cndmask_b32_e64 v13, v9, v12, s7
                                        ; implicit-def: $vgpr9_vgpr10
	s_delay_alu instid0(VALU_DEP_2) | instskip(NEXT) | instid1(VALU_DEP_2)
	v_cmp_ge_i32_e64 s9, v14, v56
	v_cmp_lt_i32_e64 s10, v13, v57
	s_or_b32 s8, s9, s8
	s_wait_alu 0xfffe
	s_and_b32 s8, s10, s8
	s_wait_alu 0xfffe
	s_xor_b32 s9, s8, -1
	s_wait_alu 0xfffe
	s_and_saveexec_b32 s10, s9
	s_wait_alu 0xfffe
	s_xor_b32 s9, exec_lo, s10
; %bb.107:                              ;   in Loop: Header=BB148_2 Depth=1
	v_lshlrev_b32_e32 v9, 3, v14
	ds_load_b64 v[9:10], v9 offset:8
; %bb.108:                              ;   in Loop: Header=BB148_2 Depth=1
	s_wait_alu 0xfffe
	s_or_saveexec_b32 s9, s9
	v_dual_mov_b32 v12, v8 :: v_dual_mov_b32 v11, v7
	s_wait_alu 0xfffe
	s_xor_b32 exec_lo, exec_lo, s9
	s_cbranch_execz .LBB148_110
; %bb.109:                              ;   in Loop: Header=BB148_2 Depth=1
	s_wait_dscnt 0x0
	v_lshlrev_b32_e32 v9, 3, v13
	ds_load_b64 v[11:12], v9 offset:8
	v_dual_mov_b32 v10, v6 :: v_dual_mov_b32 v9, v5
.LBB148_110:                            ;   in Loop: Header=BB148_2 Depth=1
	s_or_b32 exec_lo, exec_lo, s9
	v_add_nc_u32_e32 v15, 1, v14
	v_add_nc_u32_e32 v16, 1, v13
	s_wait_dscnt 0x0
	v_cmp_lt_i64_e64 s9, v[11:12], v[9:10]
	s_delay_alu instid0(VALU_DEP_3) | instskip(NEXT) | instid1(VALU_DEP_3)
	v_cndmask_b32_e64 v18, v15, v14, s8
	v_cndmask_b32_e64 v17, v13, v16, s8
                                        ; implicit-def: $vgpr13_vgpr14
	s_delay_alu instid0(VALU_DEP_2) | instskip(NEXT) | instid1(VALU_DEP_2)
	v_cmp_ge_i32_e64 s10, v18, v56
	v_cmp_lt_i32_e64 s11, v17, v57
	s_or_b32 s9, s10, s9
	s_wait_alu 0xfffe
	s_and_b32 s9, s11, s9
	s_wait_alu 0xfffe
	s_xor_b32 s10, s9, -1
	s_wait_alu 0xfffe
	s_and_saveexec_b32 s11, s10
	s_wait_alu 0xfffe
	s_xor_b32 s10, exec_lo, s11
; %bb.111:                              ;   in Loop: Header=BB148_2 Depth=1
	v_lshlrev_b32_e32 v13, 3, v18
	ds_load_b64 v[13:14], v13 offset:8
; %bb.112:                              ;   in Loop: Header=BB148_2 Depth=1
	s_wait_alu 0xfffe
	s_or_saveexec_b32 s10, s10
	v_dual_mov_b32 v16, v12 :: v_dual_mov_b32 v15, v11
	s_wait_alu 0xfffe
	s_xor_b32 exec_lo, exec_lo, s10
	s_cbranch_execz .LBB148_114
; %bb.113:                              ;   in Loop: Header=BB148_2 Depth=1
	s_wait_dscnt 0x0
	v_lshlrev_b32_e32 v13, 3, v17
	ds_load_b64 v[15:16], v13 offset:8
	v_dual_mov_b32 v14, v10 :: v_dual_mov_b32 v13, v9
.LBB148_114:                            ;   in Loop: Header=BB148_2 Depth=1
	s_or_b32 exec_lo, exec_lo, s10
	v_add_nc_u32_e32 v19, 1, v18
	v_add_nc_u32_e32 v20, 1, v17
	s_wait_dscnt 0x0
	v_cmp_lt_i64_e64 s10, v[15:16], v[13:14]
	s_delay_alu instid0(VALU_DEP_3) | instskip(NEXT) | instid1(VALU_DEP_3)
	v_cndmask_b32_e64 v22, v19, v18, s9
	v_cndmask_b32_e64 v21, v17, v20, s9
                                        ; implicit-def: $vgpr17_vgpr18
	s_delay_alu instid0(VALU_DEP_2) | instskip(NEXT) | instid1(VALU_DEP_2)
	v_cmp_ge_i32_e64 s11, v22, v56
	v_cmp_lt_i32_e64 s12, v21, v57
	s_or_b32 s10, s11, s10
	s_wait_alu 0xfffe
	s_and_b32 s10, s12, s10
	s_wait_alu 0xfffe
	s_xor_b32 s11, s10, -1
	s_wait_alu 0xfffe
	s_and_saveexec_b32 s12, s11
	s_wait_alu 0xfffe
	s_xor_b32 s11, exec_lo, s12
; %bb.115:                              ;   in Loop: Header=BB148_2 Depth=1
	v_lshlrev_b32_e32 v17, 3, v22
	ds_load_b64 v[17:18], v17 offset:8
; %bb.116:                              ;   in Loop: Header=BB148_2 Depth=1
	s_wait_alu 0xfffe
	s_or_saveexec_b32 s11, s11
	v_dual_mov_b32 v20, v16 :: v_dual_mov_b32 v19, v15
	s_wait_alu 0xfffe
	s_xor_b32 exec_lo, exec_lo, s11
	s_cbranch_execz .LBB148_118
; %bb.117:                              ;   in Loop: Header=BB148_2 Depth=1
	s_wait_dscnt 0x0
	v_lshlrev_b32_e32 v17, 3, v21
	ds_load_b64 v[19:20], v17 offset:8
	v_dual_mov_b32 v18, v14 :: v_dual_mov_b32 v17, v13
.LBB148_118:                            ;   in Loop: Header=BB148_2 Depth=1
	s_or_b32 exec_lo, exec_lo, s11
	v_add_nc_u32_e32 v23, 1, v22
	v_add_nc_u32_e32 v24, 1, v21
	s_wait_dscnt 0x0
	v_cmp_lt_i64_e64 s11, v[19:20], v[17:18]
	s_delay_alu instid0(VALU_DEP_3) | instskip(NEXT) | instid1(VALU_DEP_3)
	v_cndmask_b32_e64 v26, v23, v22, s10
	v_cndmask_b32_e64 v25, v21, v24, s10
                                        ; implicit-def: $vgpr21_vgpr22
	s_delay_alu instid0(VALU_DEP_2) | instskip(NEXT) | instid1(VALU_DEP_2)
	v_cmp_ge_i32_e64 s12, v26, v56
	v_cmp_lt_i32_e64 s13, v25, v57
	s_or_b32 s11, s12, s11
	s_wait_alu 0xfffe
	s_and_b32 s11, s13, s11
	s_wait_alu 0xfffe
	s_xor_b32 s12, s11, -1
	s_wait_alu 0xfffe
	s_and_saveexec_b32 s13, s12
	s_wait_alu 0xfffe
	s_xor_b32 s12, exec_lo, s13
; %bb.119:                              ;   in Loop: Header=BB148_2 Depth=1
	v_lshlrev_b32_e32 v21, 3, v26
	ds_load_b64 v[21:22], v21 offset:8
; %bb.120:                              ;   in Loop: Header=BB148_2 Depth=1
	s_wait_alu 0xfffe
	s_or_saveexec_b32 s12, s12
	v_dual_mov_b32 v24, v20 :: v_dual_mov_b32 v23, v19
	s_wait_alu 0xfffe
	s_xor_b32 exec_lo, exec_lo, s12
	s_cbranch_execz .LBB148_122
; %bb.121:                              ;   in Loop: Header=BB148_2 Depth=1
	s_wait_dscnt 0x0
	v_lshlrev_b32_e32 v21, 3, v25
	ds_load_b64 v[23:24], v21 offset:8
	v_dual_mov_b32 v22, v18 :: v_dual_mov_b32 v21, v17
.LBB148_122:                            ;   in Loop: Header=BB148_2 Depth=1
	s_or_b32 exec_lo, exec_lo, s12
	v_add_nc_u32_e32 v27, 1, v26
	v_add_nc_u32_e32 v28, 1, v25
	s_wait_dscnt 0x0
	v_cmp_lt_i64_e64 s12, v[23:24], v[21:22]
	s_delay_alu instid0(VALU_DEP_3) | instskip(NEXT) | instid1(VALU_DEP_3)
	v_cndmask_b32_e64 v30, v27, v26, s11
	v_cndmask_b32_e64 v29, v25, v28, s11
                                        ; implicit-def: $vgpr25_vgpr26
	s_delay_alu instid0(VALU_DEP_2) | instskip(NEXT) | instid1(VALU_DEP_2)
	v_cmp_ge_i32_e64 s13, v30, v56
	v_cmp_lt_i32_e64 s14, v29, v57
	s_or_b32 s12, s13, s12
	s_wait_alu 0xfffe
	s_and_b32 s12, s14, s12
	s_wait_alu 0xfffe
	s_xor_b32 s13, s12, -1
	s_wait_alu 0xfffe
	s_and_saveexec_b32 s14, s13
	s_delay_alu instid0(SALU_CYCLE_1)
	s_xor_b32 s13, exec_lo, s14
; %bb.123:                              ;   in Loop: Header=BB148_2 Depth=1
	v_lshlrev_b32_e32 v25, 3, v30
	ds_load_b64 v[25:26], v25 offset:8
; %bb.124:                              ;   in Loop: Header=BB148_2 Depth=1
	s_wait_alu 0xfffe
	s_or_saveexec_b32 s13, s13
	v_dual_mov_b32 v28, v24 :: v_dual_mov_b32 v27, v23
	s_wait_alu 0xfffe
	s_xor_b32 exec_lo, exec_lo, s13
	s_cbranch_execz .LBB148_126
; %bb.125:                              ;   in Loop: Header=BB148_2 Depth=1
	s_wait_dscnt 0x0
	v_lshlrev_b32_e32 v25, 3, v29
	ds_load_b64 v[27:28], v25 offset:8
	v_dual_mov_b32 v26, v22 :: v_dual_mov_b32 v25, v21
.LBB148_126:                            ;   in Loop: Header=BB148_2 Depth=1
	s_or_b32 exec_lo, exec_lo, s13
	v_add_nc_u32_e32 v31, 1, v30
	v_add_nc_u32_e32 v32, 1, v29
	s_wait_dscnt 0x0
	v_cmp_lt_i64_e64 s13, v[27:28], v[25:26]
	s_delay_alu instid0(VALU_DEP_3) | instskip(NEXT) | instid1(VALU_DEP_3)
	v_cndmask_b32_e64 v33, v31, v30, s12
	v_cndmask_b32_e64 v34, v29, v32, s12
                                        ; implicit-def: $vgpr29_vgpr30
	s_delay_alu instid0(VALU_DEP_2) | instskip(NEXT) | instid1(VALU_DEP_2)
	v_cmp_ge_i32_e64 s14, v33, v56
	v_cmp_lt_i32_e64 s15, v34, v57
	s_or_b32 s13, s14, s13
	s_wait_alu 0xfffe
	s_and_b32 s13, s15, s13
	s_wait_alu 0xfffe
	s_xor_b32 s14, s13, -1
	s_delay_alu instid0(SALU_CYCLE_1) | instskip(NEXT) | instid1(SALU_CYCLE_1)
	s_and_saveexec_b32 s15, s14
	s_xor_b32 s14, exec_lo, s15
; %bb.127:                              ;   in Loop: Header=BB148_2 Depth=1
	v_lshlrev_b32_e32 v29, 3, v33
	ds_load_b64 v[29:30], v29 offset:8
; %bb.128:                              ;   in Loop: Header=BB148_2 Depth=1
	s_or_saveexec_b32 s14, s14
	v_dual_mov_b32 v32, v28 :: v_dual_mov_b32 v31, v27
	s_xor_b32 exec_lo, exec_lo, s14
	s_cbranch_execz .LBB148_130
; %bb.129:                              ;   in Loop: Header=BB148_2 Depth=1
	s_wait_dscnt 0x0
	v_lshlrev_b32_e32 v29, 3, v34
	ds_load_b64 v[31:32], v29 offset:8
	v_dual_mov_b32 v30, v26 :: v_dual_mov_b32 v29, v25
.LBB148_130:                            ;   in Loop: Header=BB148_2 Depth=1
	s_or_b32 exec_lo, exec_lo, s14
	v_add_nc_u32_e32 v36, 1, v33
	v_add_nc_u32_e32 v35, 1, v34
	v_cndmask_b32_e64 v26, v26, v28, s13
	v_cndmask_b32_e64 v25, v25, v27, s13
	;; [unrolled: 1-line block ×6, first 2 shown]
	s_wait_dscnt 0x0
	v_cmp_lt_i64_e64 s9, v[31:32], v[29:30]
	v_cndmask_b32_e64 v14, v14, v16, s10
	v_cndmask_b32_e64 v13, v13, v15, s10
	v_cmp_ge_i32_e64 s10, v28, v56
	v_cndmask_b32_e64 v18, v18, v20, s11
	v_cndmask_b32_e64 v17, v17, v19, s11
	v_cmp_lt_i32_e64 s11, v27, v57
	v_cndmask_b32_e64 v6, v6, v8, s8
	v_cndmask_b32_e64 v5, v5, v7, s8
	s_or_b32 s8, s10, s9
	v_cndmask_b32_e64 v2, v2, v4, s7
	v_cndmask_b32_e64 v1, v1, v3, s7
	s_wait_alu 0xfffe
	s_and_b32 s7, s11, s8
	v_cndmask_b32_e64 v22, v22, v24, s12
	v_cndmask_b32_e64 v21, v21, v23, s12
	s_wait_alu 0xfffe
	v_cndmask_b32_e64 v4, v30, v32, s7
	v_cndmask_b32_e64 v3, v29, v31, s7
	s_wait_loadcnt 0x0
	s_barrier_signal -1
	s_barrier_wait -1
	global_inv scope:SCOPE_SE
	ds_store_2addr_b64 v41, v[1:2], v[5:6] offset1:1
	ds_store_2addr_b64 v41, v[9:10], v[13:14] offset0:2 offset1:3
	ds_store_2addr_b64 v41, v[17:18], v[21:22] offset0:4 offset1:5
	;; [unrolled: 1-line block ×3, first 2 shown]
	v_mov_b32_e32 v5, v72
	s_wait_loadcnt_dscnt 0x0
	s_barrier_signal -1
	s_barrier_wait -1
	global_inv scope:SCOPE_SE
	s_and_saveexec_b32 s8, s3
	s_cbranch_execz .LBB148_134
; %bb.131:                              ;   in Loop: Header=BB148_2 Depth=1
	v_mov_b32_e32 v5, v72
	v_mov_b32_e32 v1, v74
	s_mov_b32 s9, 0
.LBB148_132:                            ;   Parent Loop BB148_2 Depth=1
                                        ; =>  This Inner Loop Header: Depth=2
	s_delay_alu instid0(VALU_DEP_1) | instskip(NEXT) | instid1(VALU_DEP_1)
	v_sub_nc_u32_e32 v2, v1, v5
	v_lshrrev_b32_e32 v2, 1, v2
	s_delay_alu instid0(VALU_DEP_1) | instskip(NEXT) | instid1(VALU_DEP_1)
	v_add_nc_u32_e32 v4, v2, v5
	v_not_b32_e32 v2, v4
	v_lshl_add_u32 v3, v4, 3, v75
	s_delay_alu instid0(VALU_DEP_2)
	v_lshl_add_u32 v6, v2, 3, v94
	ds_load_b64 v[2:3], v3
	ds_load_b64 v[6:7], v6
	s_wait_dscnt 0x0
	v_cmp_lt_i64_e64 s7, v[6:7], v[2:3]
	v_add_nc_u32_e32 v2, 1, v4
	s_wait_alu 0xf1ff
	s_delay_alu instid0(VALU_DEP_2) | instskip(NEXT) | instid1(VALU_DEP_2)
	v_cndmask_b32_e64 v1, v1, v4, s7
	v_cndmask_b32_e64 v5, v2, v5, s7
	s_delay_alu instid0(VALU_DEP_1)
	v_cmp_ge_i32_e64 s7, v5, v1
	s_wait_alu 0xfffe
	s_or_b32 s9, s7, s9
	s_wait_alu 0xfffe
	s_and_not1_b32 exec_lo, exec_lo, s9
	s_cbranch_execnz .LBB148_132
; %bb.133:                              ;   in Loop: Header=BB148_2 Depth=1
	s_or_b32 exec_lo, exec_lo, s9
.LBB148_134:                            ;   in Loop: Header=BB148_2 Depth=1
	s_wait_alu 0xfffe
	s_or_b32 exec_lo, exec_lo, s8
	v_sub_nc_u32_e32 v9, v80, v5
	v_lshl_add_u32 v7, v5, 3, v75
	v_add_nc_u32_e32 v10, v5, v61
                                        ; implicit-def: $vgpr5_vgpr6
	s_delay_alu instid0(VALU_DEP_3) | instskip(SKIP_1) | instid1(VALU_DEP_3)
	v_lshlrev_b32_e32 v11, 3, v9
	v_cmp_gt_i32_e64 s9, v64, v9
	v_cmp_le_i32_e64 s8, v63, v10
	ds_load_b64 v[1:2], v7
	ds_load_b64 v[3:4], v11
	s_wait_dscnt 0x0
	v_cmp_lt_i64_e64 s7, v[3:4], v[1:2]
	s_or_b32 s7, s8, s7
	s_wait_alu 0xfffe
	s_and_b32 s7, s9, s7
	s_wait_alu 0xfffe
	s_xor_b32 s8, s7, -1
	s_wait_alu 0xfffe
	s_and_saveexec_b32 s9, s8
	s_wait_alu 0xfffe
	s_xor_b32 s8, exec_lo, s9
; %bb.135:                              ;   in Loop: Header=BB148_2 Depth=1
	ds_load_b64 v[5:6], v7 offset:8
                                        ; implicit-def: $vgpr11
; %bb.136:                              ;   in Loop: Header=BB148_2 Depth=1
	s_wait_alu 0xfffe
	s_or_saveexec_b32 s8, s8
	v_dual_mov_b32 v8, v4 :: v_dual_mov_b32 v7, v3
	s_wait_alu 0xfffe
	s_xor_b32 exec_lo, exec_lo, s8
	s_cbranch_execz .LBB148_138
; %bb.137:                              ;   in Loop: Header=BB148_2 Depth=1
	ds_load_b64 v[7:8], v11 offset:8
	s_wait_dscnt 0x1
	v_dual_mov_b32 v6, v2 :: v_dual_mov_b32 v5, v1
.LBB148_138:                            ;   in Loop: Header=BB148_2 Depth=1
	s_or_b32 exec_lo, exec_lo, s8
	v_add_nc_u32_e32 v11, 1, v10
	v_add_nc_u32_e32 v12, 1, v9
	s_wait_dscnt 0x0
	v_cmp_lt_i64_e64 s8, v[7:8], v[5:6]
	s_delay_alu instid0(VALU_DEP_3) | instskip(NEXT) | instid1(VALU_DEP_3)
	v_cndmask_b32_e64 v14, v11, v10, s7
	v_cndmask_b32_e64 v13, v9, v12, s7
                                        ; implicit-def: $vgpr9_vgpr10
	s_delay_alu instid0(VALU_DEP_2) | instskip(NEXT) | instid1(VALU_DEP_2)
	v_cmp_ge_i32_e64 s9, v14, v63
	v_cmp_lt_i32_e64 s10, v13, v64
	s_or_b32 s8, s9, s8
	s_wait_alu 0xfffe
	s_and_b32 s8, s10, s8
	s_wait_alu 0xfffe
	s_xor_b32 s9, s8, -1
	s_wait_alu 0xfffe
	s_and_saveexec_b32 s10, s9
	s_wait_alu 0xfffe
	s_xor_b32 s9, exec_lo, s10
; %bb.139:                              ;   in Loop: Header=BB148_2 Depth=1
	v_lshlrev_b32_e32 v9, 3, v14
	ds_load_b64 v[9:10], v9 offset:8
; %bb.140:                              ;   in Loop: Header=BB148_2 Depth=1
	s_wait_alu 0xfffe
	s_or_saveexec_b32 s9, s9
	v_dual_mov_b32 v12, v8 :: v_dual_mov_b32 v11, v7
	s_wait_alu 0xfffe
	s_xor_b32 exec_lo, exec_lo, s9
	s_cbranch_execz .LBB148_142
; %bb.141:                              ;   in Loop: Header=BB148_2 Depth=1
	s_wait_dscnt 0x0
	v_lshlrev_b32_e32 v9, 3, v13
	ds_load_b64 v[11:12], v9 offset:8
	v_dual_mov_b32 v10, v6 :: v_dual_mov_b32 v9, v5
.LBB148_142:                            ;   in Loop: Header=BB148_2 Depth=1
	s_or_b32 exec_lo, exec_lo, s9
	v_add_nc_u32_e32 v15, 1, v14
	v_add_nc_u32_e32 v16, 1, v13
	s_wait_dscnt 0x0
	v_cmp_lt_i64_e64 s9, v[11:12], v[9:10]
	s_delay_alu instid0(VALU_DEP_3) | instskip(NEXT) | instid1(VALU_DEP_3)
	v_cndmask_b32_e64 v18, v15, v14, s8
	v_cndmask_b32_e64 v17, v13, v16, s8
                                        ; implicit-def: $vgpr13_vgpr14
	s_delay_alu instid0(VALU_DEP_2) | instskip(NEXT) | instid1(VALU_DEP_2)
	v_cmp_ge_i32_e64 s10, v18, v63
	v_cmp_lt_i32_e64 s11, v17, v64
	s_or_b32 s9, s10, s9
	s_wait_alu 0xfffe
	s_and_b32 s9, s11, s9
	s_wait_alu 0xfffe
	s_xor_b32 s10, s9, -1
	s_wait_alu 0xfffe
	s_and_saveexec_b32 s11, s10
	s_wait_alu 0xfffe
	s_xor_b32 s10, exec_lo, s11
; %bb.143:                              ;   in Loop: Header=BB148_2 Depth=1
	v_lshlrev_b32_e32 v13, 3, v18
	ds_load_b64 v[13:14], v13 offset:8
; %bb.144:                              ;   in Loop: Header=BB148_2 Depth=1
	s_wait_alu 0xfffe
	s_or_saveexec_b32 s10, s10
	v_dual_mov_b32 v16, v12 :: v_dual_mov_b32 v15, v11
	s_wait_alu 0xfffe
	s_xor_b32 exec_lo, exec_lo, s10
	s_cbranch_execz .LBB148_146
; %bb.145:                              ;   in Loop: Header=BB148_2 Depth=1
	s_wait_dscnt 0x0
	v_lshlrev_b32_e32 v13, 3, v17
	ds_load_b64 v[15:16], v13 offset:8
	v_dual_mov_b32 v14, v10 :: v_dual_mov_b32 v13, v9
.LBB148_146:                            ;   in Loop: Header=BB148_2 Depth=1
	s_or_b32 exec_lo, exec_lo, s10
	v_add_nc_u32_e32 v19, 1, v18
	v_add_nc_u32_e32 v20, 1, v17
	s_wait_dscnt 0x0
	v_cmp_lt_i64_e64 s10, v[15:16], v[13:14]
	s_delay_alu instid0(VALU_DEP_3) | instskip(NEXT) | instid1(VALU_DEP_3)
	v_cndmask_b32_e64 v22, v19, v18, s9
	v_cndmask_b32_e64 v21, v17, v20, s9
                                        ; implicit-def: $vgpr17_vgpr18
	s_delay_alu instid0(VALU_DEP_2) | instskip(NEXT) | instid1(VALU_DEP_2)
	v_cmp_ge_i32_e64 s11, v22, v63
	v_cmp_lt_i32_e64 s12, v21, v64
	s_or_b32 s10, s11, s10
	s_wait_alu 0xfffe
	s_and_b32 s10, s12, s10
	s_wait_alu 0xfffe
	s_xor_b32 s11, s10, -1
	s_wait_alu 0xfffe
	s_and_saveexec_b32 s12, s11
	s_wait_alu 0xfffe
	s_xor_b32 s11, exec_lo, s12
; %bb.147:                              ;   in Loop: Header=BB148_2 Depth=1
	v_lshlrev_b32_e32 v17, 3, v22
	ds_load_b64 v[17:18], v17 offset:8
; %bb.148:                              ;   in Loop: Header=BB148_2 Depth=1
	s_wait_alu 0xfffe
	s_or_saveexec_b32 s11, s11
	v_dual_mov_b32 v20, v16 :: v_dual_mov_b32 v19, v15
	s_wait_alu 0xfffe
	s_xor_b32 exec_lo, exec_lo, s11
	s_cbranch_execz .LBB148_150
; %bb.149:                              ;   in Loop: Header=BB148_2 Depth=1
	s_wait_dscnt 0x0
	v_lshlrev_b32_e32 v17, 3, v21
	ds_load_b64 v[19:20], v17 offset:8
	v_dual_mov_b32 v18, v14 :: v_dual_mov_b32 v17, v13
.LBB148_150:                            ;   in Loop: Header=BB148_2 Depth=1
	s_or_b32 exec_lo, exec_lo, s11
	v_add_nc_u32_e32 v23, 1, v22
	v_add_nc_u32_e32 v24, 1, v21
	s_wait_dscnt 0x0
	v_cmp_lt_i64_e64 s11, v[19:20], v[17:18]
	s_delay_alu instid0(VALU_DEP_3) | instskip(NEXT) | instid1(VALU_DEP_3)
	v_cndmask_b32_e64 v26, v23, v22, s10
	v_cndmask_b32_e64 v25, v21, v24, s10
                                        ; implicit-def: $vgpr21_vgpr22
	s_delay_alu instid0(VALU_DEP_2) | instskip(NEXT) | instid1(VALU_DEP_2)
	v_cmp_ge_i32_e64 s12, v26, v63
	v_cmp_lt_i32_e64 s13, v25, v64
	s_or_b32 s11, s12, s11
	s_wait_alu 0xfffe
	s_and_b32 s11, s13, s11
	s_wait_alu 0xfffe
	s_xor_b32 s12, s11, -1
	s_wait_alu 0xfffe
	s_and_saveexec_b32 s13, s12
	s_wait_alu 0xfffe
	s_xor_b32 s12, exec_lo, s13
; %bb.151:                              ;   in Loop: Header=BB148_2 Depth=1
	v_lshlrev_b32_e32 v21, 3, v26
	ds_load_b64 v[21:22], v21 offset:8
; %bb.152:                              ;   in Loop: Header=BB148_2 Depth=1
	s_wait_alu 0xfffe
	s_or_saveexec_b32 s12, s12
	v_dual_mov_b32 v24, v20 :: v_dual_mov_b32 v23, v19
	s_wait_alu 0xfffe
	s_xor_b32 exec_lo, exec_lo, s12
	s_cbranch_execz .LBB148_154
; %bb.153:                              ;   in Loop: Header=BB148_2 Depth=1
	s_wait_dscnt 0x0
	v_lshlrev_b32_e32 v21, 3, v25
	ds_load_b64 v[23:24], v21 offset:8
	v_dual_mov_b32 v22, v18 :: v_dual_mov_b32 v21, v17
.LBB148_154:                            ;   in Loop: Header=BB148_2 Depth=1
	s_or_b32 exec_lo, exec_lo, s12
	v_add_nc_u32_e32 v27, 1, v26
	v_add_nc_u32_e32 v28, 1, v25
	s_wait_dscnt 0x0
	v_cmp_lt_i64_e64 s12, v[23:24], v[21:22]
	s_delay_alu instid0(VALU_DEP_3) | instskip(NEXT) | instid1(VALU_DEP_3)
	v_cndmask_b32_e64 v30, v27, v26, s11
	v_cndmask_b32_e64 v29, v25, v28, s11
                                        ; implicit-def: $vgpr25_vgpr26
	s_delay_alu instid0(VALU_DEP_2) | instskip(NEXT) | instid1(VALU_DEP_2)
	v_cmp_ge_i32_e64 s13, v30, v63
	v_cmp_lt_i32_e64 s14, v29, v64
	s_or_b32 s12, s13, s12
	s_wait_alu 0xfffe
	s_and_b32 s12, s14, s12
	s_wait_alu 0xfffe
	s_xor_b32 s13, s12, -1
	s_wait_alu 0xfffe
	s_and_saveexec_b32 s14, s13
	s_delay_alu instid0(SALU_CYCLE_1)
	s_xor_b32 s13, exec_lo, s14
; %bb.155:                              ;   in Loop: Header=BB148_2 Depth=1
	v_lshlrev_b32_e32 v25, 3, v30
	ds_load_b64 v[25:26], v25 offset:8
; %bb.156:                              ;   in Loop: Header=BB148_2 Depth=1
	s_wait_alu 0xfffe
	s_or_saveexec_b32 s13, s13
	v_dual_mov_b32 v28, v24 :: v_dual_mov_b32 v27, v23
	s_wait_alu 0xfffe
	s_xor_b32 exec_lo, exec_lo, s13
	s_cbranch_execz .LBB148_158
; %bb.157:                              ;   in Loop: Header=BB148_2 Depth=1
	s_wait_dscnt 0x0
	v_lshlrev_b32_e32 v25, 3, v29
	ds_load_b64 v[27:28], v25 offset:8
	v_dual_mov_b32 v26, v22 :: v_dual_mov_b32 v25, v21
.LBB148_158:                            ;   in Loop: Header=BB148_2 Depth=1
	s_or_b32 exec_lo, exec_lo, s13
	v_add_nc_u32_e32 v31, 1, v30
	v_add_nc_u32_e32 v32, 1, v29
	s_wait_dscnt 0x0
	v_cmp_lt_i64_e64 s13, v[27:28], v[25:26]
	s_delay_alu instid0(VALU_DEP_3) | instskip(NEXT) | instid1(VALU_DEP_3)
	v_cndmask_b32_e64 v33, v31, v30, s12
	v_cndmask_b32_e64 v34, v29, v32, s12
                                        ; implicit-def: $vgpr29_vgpr30
	s_delay_alu instid0(VALU_DEP_2) | instskip(NEXT) | instid1(VALU_DEP_2)
	v_cmp_ge_i32_e64 s14, v33, v63
	v_cmp_lt_i32_e64 s15, v34, v64
	s_or_b32 s13, s14, s13
	s_wait_alu 0xfffe
	s_and_b32 s13, s15, s13
	s_wait_alu 0xfffe
	s_xor_b32 s14, s13, -1
	s_delay_alu instid0(SALU_CYCLE_1) | instskip(NEXT) | instid1(SALU_CYCLE_1)
	s_and_saveexec_b32 s15, s14
	s_xor_b32 s14, exec_lo, s15
; %bb.159:                              ;   in Loop: Header=BB148_2 Depth=1
	v_lshlrev_b32_e32 v29, 3, v33
	ds_load_b64 v[29:30], v29 offset:8
; %bb.160:                              ;   in Loop: Header=BB148_2 Depth=1
	s_or_saveexec_b32 s14, s14
	v_dual_mov_b32 v32, v28 :: v_dual_mov_b32 v31, v27
	s_xor_b32 exec_lo, exec_lo, s14
	s_cbranch_execz .LBB148_162
; %bb.161:                              ;   in Loop: Header=BB148_2 Depth=1
	s_wait_dscnt 0x0
	v_lshlrev_b32_e32 v29, 3, v34
	ds_load_b64 v[31:32], v29 offset:8
	v_dual_mov_b32 v30, v26 :: v_dual_mov_b32 v29, v25
.LBB148_162:                            ;   in Loop: Header=BB148_2 Depth=1
	s_or_b32 exec_lo, exec_lo, s14
	v_add_nc_u32_e32 v36, 1, v33
	v_add_nc_u32_e32 v35, 1, v34
	v_cndmask_b32_e64 v26, v26, v28, s13
	v_cndmask_b32_e64 v25, v25, v27, s13
	;; [unrolled: 1-line block ×6, first 2 shown]
	s_wait_dscnt 0x0
	v_cmp_lt_i64_e64 s9, v[31:32], v[29:30]
	v_cndmask_b32_e64 v14, v14, v16, s10
	v_cndmask_b32_e64 v13, v13, v15, s10
	v_cmp_ge_i32_e64 s10, v28, v63
	v_cndmask_b32_e64 v18, v18, v20, s11
	v_cndmask_b32_e64 v17, v17, v19, s11
	v_cmp_lt_i32_e64 s11, v27, v64
	v_cndmask_b32_e64 v6, v6, v8, s8
	v_cndmask_b32_e64 v5, v5, v7, s8
	s_or_b32 s8, s10, s9
	v_cndmask_b32_e64 v2, v2, v4, s7
	v_cndmask_b32_e64 v1, v1, v3, s7
	s_wait_alu 0xfffe
	s_and_b32 s7, s11, s8
	v_cndmask_b32_e64 v22, v22, v24, s12
	v_cndmask_b32_e64 v21, v21, v23, s12
	s_wait_alu 0xfffe
	v_cndmask_b32_e64 v4, v30, v32, s7
	v_cndmask_b32_e64 v3, v29, v31, s7
	s_wait_loadcnt 0x0
	s_barrier_signal -1
	s_barrier_wait -1
	global_inv scope:SCOPE_SE
	ds_store_2addr_b64 v41, v[1:2], v[5:6] offset1:1
	ds_store_2addr_b64 v41, v[9:10], v[13:14] offset0:2 offset1:3
	ds_store_2addr_b64 v41, v[17:18], v[21:22] offset0:4 offset1:5
	;; [unrolled: 1-line block ×3, first 2 shown]
	v_mov_b32_e32 v5, v78
	s_wait_loadcnt_dscnt 0x0
	s_barrier_signal -1
	s_barrier_wait -1
	global_inv scope:SCOPE_SE
	s_and_saveexec_b32 s8, s4
	s_cbranch_execz .LBB148_166
; %bb.163:                              ;   in Loop: Header=BB148_2 Depth=1
	v_mov_b32_e32 v5, v78
	v_mov_b32_e32 v1, v79
	s_mov_b32 s9, 0
.LBB148_164:                            ;   Parent Loop BB148_2 Depth=1
                                        ; =>  This Inner Loop Header: Depth=2
	s_delay_alu instid0(VALU_DEP_1) | instskip(NEXT) | instid1(VALU_DEP_1)
	v_sub_nc_u32_e32 v2, v1, v5
	v_lshrrev_b32_e32 v2, 1, v2
	s_delay_alu instid0(VALU_DEP_1) | instskip(NEXT) | instid1(VALU_DEP_1)
	v_add_nc_u32_e32 v4, v2, v5
	v_not_b32_e32 v2, v4
	v_lshl_add_u32 v3, v4, 3, v81
	s_delay_alu instid0(VALU_DEP_2)
	v_lshl_add_u32 v6, v2, 3, v95
	ds_load_b64 v[2:3], v3
	ds_load_b64 v[6:7], v6
	s_wait_dscnt 0x0
	v_cmp_lt_i64_e64 s7, v[6:7], v[2:3]
	v_add_nc_u32_e32 v2, 1, v4
	s_wait_alu 0xf1ff
	s_delay_alu instid0(VALU_DEP_2) | instskip(NEXT) | instid1(VALU_DEP_2)
	v_cndmask_b32_e64 v1, v1, v4, s7
	v_cndmask_b32_e64 v5, v2, v5, s7
	s_delay_alu instid0(VALU_DEP_1)
	v_cmp_ge_i32_e64 s7, v5, v1
	s_wait_alu 0xfffe
	s_or_b32 s9, s7, s9
	s_wait_alu 0xfffe
	s_and_not1_b32 exec_lo, exec_lo, s9
	s_cbranch_execnz .LBB148_164
; %bb.165:                              ;   in Loop: Header=BB148_2 Depth=1
	s_or_b32 exec_lo, exec_lo, s9
.LBB148_166:                            ;   in Loop: Header=BB148_2 Depth=1
	s_wait_alu 0xfffe
	s_or_b32 exec_lo, exec_lo, s8
	v_sub_nc_u32_e32 v9, v84, v5
	v_lshl_add_u32 v7, v5, 3, v81
	v_add_nc_u32_e32 v10, v5, v68
                                        ; implicit-def: $vgpr5_vgpr6
	s_delay_alu instid0(VALU_DEP_3) | instskip(SKIP_1) | instid1(VALU_DEP_3)
	v_lshlrev_b32_e32 v11, 3, v9
	v_cmp_gt_i32_e64 s9, v71, v9
	v_cmp_le_i32_e64 s8, v70, v10
	ds_load_b64 v[1:2], v7
	ds_load_b64 v[3:4], v11
	s_wait_dscnt 0x0
	v_cmp_lt_i64_e64 s7, v[3:4], v[1:2]
	s_or_b32 s7, s8, s7
	s_wait_alu 0xfffe
	s_and_b32 s7, s9, s7
	s_wait_alu 0xfffe
	s_xor_b32 s8, s7, -1
	s_wait_alu 0xfffe
	s_and_saveexec_b32 s9, s8
	s_wait_alu 0xfffe
	s_xor_b32 s8, exec_lo, s9
; %bb.167:                              ;   in Loop: Header=BB148_2 Depth=1
	ds_load_b64 v[5:6], v7 offset:8
                                        ; implicit-def: $vgpr11
; %bb.168:                              ;   in Loop: Header=BB148_2 Depth=1
	s_wait_alu 0xfffe
	s_or_saveexec_b32 s8, s8
	v_dual_mov_b32 v8, v4 :: v_dual_mov_b32 v7, v3
	s_wait_alu 0xfffe
	s_xor_b32 exec_lo, exec_lo, s8
	s_cbranch_execz .LBB148_170
; %bb.169:                              ;   in Loop: Header=BB148_2 Depth=1
	ds_load_b64 v[7:8], v11 offset:8
	s_wait_dscnt 0x1
	v_dual_mov_b32 v6, v2 :: v_dual_mov_b32 v5, v1
.LBB148_170:                            ;   in Loop: Header=BB148_2 Depth=1
	s_or_b32 exec_lo, exec_lo, s8
	v_add_nc_u32_e32 v11, 1, v10
	v_add_nc_u32_e32 v12, 1, v9
	s_wait_dscnt 0x0
	v_cmp_lt_i64_e64 s8, v[7:8], v[5:6]
	s_delay_alu instid0(VALU_DEP_3) | instskip(NEXT) | instid1(VALU_DEP_3)
	v_cndmask_b32_e64 v14, v11, v10, s7
	v_cndmask_b32_e64 v13, v9, v12, s7
                                        ; implicit-def: $vgpr9_vgpr10
	s_delay_alu instid0(VALU_DEP_2) | instskip(NEXT) | instid1(VALU_DEP_2)
	v_cmp_ge_i32_e64 s9, v14, v70
	v_cmp_lt_i32_e64 s10, v13, v71
	s_or_b32 s8, s9, s8
	s_wait_alu 0xfffe
	s_and_b32 s8, s10, s8
	s_wait_alu 0xfffe
	s_xor_b32 s9, s8, -1
	s_wait_alu 0xfffe
	s_and_saveexec_b32 s10, s9
	s_wait_alu 0xfffe
	s_xor_b32 s9, exec_lo, s10
; %bb.171:                              ;   in Loop: Header=BB148_2 Depth=1
	v_lshlrev_b32_e32 v9, 3, v14
	ds_load_b64 v[9:10], v9 offset:8
; %bb.172:                              ;   in Loop: Header=BB148_2 Depth=1
	s_wait_alu 0xfffe
	s_or_saveexec_b32 s9, s9
	v_dual_mov_b32 v12, v8 :: v_dual_mov_b32 v11, v7
	s_wait_alu 0xfffe
	s_xor_b32 exec_lo, exec_lo, s9
	s_cbranch_execz .LBB148_174
; %bb.173:                              ;   in Loop: Header=BB148_2 Depth=1
	s_wait_dscnt 0x0
	v_lshlrev_b32_e32 v9, 3, v13
	ds_load_b64 v[11:12], v9 offset:8
	v_dual_mov_b32 v10, v6 :: v_dual_mov_b32 v9, v5
.LBB148_174:                            ;   in Loop: Header=BB148_2 Depth=1
	s_or_b32 exec_lo, exec_lo, s9
	v_add_nc_u32_e32 v15, 1, v14
	v_add_nc_u32_e32 v16, 1, v13
	s_wait_dscnt 0x0
	v_cmp_lt_i64_e64 s9, v[11:12], v[9:10]
	s_delay_alu instid0(VALU_DEP_3) | instskip(NEXT) | instid1(VALU_DEP_3)
	v_cndmask_b32_e64 v18, v15, v14, s8
	v_cndmask_b32_e64 v17, v13, v16, s8
                                        ; implicit-def: $vgpr13_vgpr14
	s_delay_alu instid0(VALU_DEP_2) | instskip(NEXT) | instid1(VALU_DEP_2)
	v_cmp_ge_i32_e64 s10, v18, v70
	v_cmp_lt_i32_e64 s11, v17, v71
	s_or_b32 s9, s10, s9
	s_wait_alu 0xfffe
	s_and_b32 s9, s11, s9
	s_wait_alu 0xfffe
	s_xor_b32 s10, s9, -1
	s_wait_alu 0xfffe
	s_and_saveexec_b32 s11, s10
	s_wait_alu 0xfffe
	s_xor_b32 s10, exec_lo, s11
; %bb.175:                              ;   in Loop: Header=BB148_2 Depth=1
	v_lshlrev_b32_e32 v13, 3, v18
	ds_load_b64 v[13:14], v13 offset:8
; %bb.176:                              ;   in Loop: Header=BB148_2 Depth=1
	s_wait_alu 0xfffe
	s_or_saveexec_b32 s10, s10
	v_dual_mov_b32 v16, v12 :: v_dual_mov_b32 v15, v11
	s_wait_alu 0xfffe
	s_xor_b32 exec_lo, exec_lo, s10
	s_cbranch_execz .LBB148_178
; %bb.177:                              ;   in Loop: Header=BB148_2 Depth=1
	s_wait_dscnt 0x0
	v_lshlrev_b32_e32 v13, 3, v17
	ds_load_b64 v[15:16], v13 offset:8
	v_dual_mov_b32 v14, v10 :: v_dual_mov_b32 v13, v9
.LBB148_178:                            ;   in Loop: Header=BB148_2 Depth=1
	s_or_b32 exec_lo, exec_lo, s10
	v_add_nc_u32_e32 v19, 1, v18
	v_add_nc_u32_e32 v20, 1, v17
	s_wait_dscnt 0x0
	v_cmp_lt_i64_e64 s10, v[15:16], v[13:14]
	s_delay_alu instid0(VALU_DEP_3) | instskip(NEXT) | instid1(VALU_DEP_3)
	v_cndmask_b32_e64 v22, v19, v18, s9
	v_cndmask_b32_e64 v21, v17, v20, s9
                                        ; implicit-def: $vgpr17_vgpr18
	s_delay_alu instid0(VALU_DEP_2) | instskip(NEXT) | instid1(VALU_DEP_2)
	v_cmp_ge_i32_e64 s11, v22, v70
	v_cmp_lt_i32_e64 s12, v21, v71
	s_or_b32 s10, s11, s10
	s_wait_alu 0xfffe
	s_and_b32 s10, s12, s10
	s_wait_alu 0xfffe
	s_xor_b32 s11, s10, -1
	s_wait_alu 0xfffe
	s_and_saveexec_b32 s12, s11
	s_wait_alu 0xfffe
	s_xor_b32 s11, exec_lo, s12
; %bb.179:                              ;   in Loop: Header=BB148_2 Depth=1
	v_lshlrev_b32_e32 v17, 3, v22
	ds_load_b64 v[17:18], v17 offset:8
; %bb.180:                              ;   in Loop: Header=BB148_2 Depth=1
	s_wait_alu 0xfffe
	s_or_saveexec_b32 s11, s11
	v_dual_mov_b32 v20, v16 :: v_dual_mov_b32 v19, v15
	s_wait_alu 0xfffe
	s_xor_b32 exec_lo, exec_lo, s11
	s_cbranch_execz .LBB148_182
; %bb.181:                              ;   in Loop: Header=BB148_2 Depth=1
	s_wait_dscnt 0x0
	v_lshlrev_b32_e32 v17, 3, v21
	ds_load_b64 v[19:20], v17 offset:8
	v_dual_mov_b32 v18, v14 :: v_dual_mov_b32 v17, v13
.LBB148_182:                            ;   in Loop: Header=BB148_2 Depth=1
	s_or_b32 exec_lo, exec_lo, s11
	v_add_nc_u32_e32 v23, 1, v22
	v_add_nc_u32_e32 v24, 1, v21
	s_wait_dscnt 0x0
	v_cmp_lt_i64_e64 s11, v[19:20], v[17:18]
	s_delay_alu instid0(VALU_DEP_3) | instskip(NEXT) | instid1(VALU_DEP_3)
	v_cndmask_b32_e64 v26, v23, v22, s10
	v_cndmask_b32_e64 v25, v21, v24, s10
                                        ; implicit-def: $vgpr21_vgpr22
	s_delay_alu instid0(VALU_DEP_2) | instskip(NEXT) | instid1(VALU_DEP_2)
	v_cmp_ge_i32_e64 s12, v26, v70
	v_cmp_lt_i32_e64 s13, v25, v71
	s_or_b32 s11, s12, s11
	s_wait_alu 0xfffe
	s_and_b32 s11, s13, s11
	s_wait_alu 0xfffe
	s_xor_b32 s12, s11, -1
	s_wait_alu 0xfffe
	s_and_saveexec_b32 s13, s12
	s_wait_alu 0xfffe
	s_xor_b32 s12, exec_lo, s13
; %bb.183:                              ;   in Loop: Header=BB148_2 Depth=1
	v_lshlrev_b32_e32 v21, 3, v26
	ds_load_b64 v[21:22], v21 offset:8
; %bb.184:                              ;   in Loop: Header=BB148_2 Depth=1
	s_wait_alu 0xfffe
	s_or_saveexec_b32 s12, s12
	v_dual_mov_b32 v24, v20 :: v_dual_mov_b32 v23, v19
	s_wait_alu 0xfffe
	s_xor_b32 exec_lo, exec_lo, s12
	s_cbranch_execz .LBB148_186
; %bb.185:                              ;   in Loop: Header=BB148_2 Depth=1
	s_wait_dscnt 0x0
	v_lshlrev_b32_e32 v21, 3, v25
	ds_load_b64 v[23:24], v21 offset:8
	v_dual_mov_b32 v22, v18 :: v_dual_mov_b32 v21, v17
.LBB148_186:                            ;   in Loop: Header=BB148_2 Depth=1
	s_or_b32 exec_lo, exec_lo, s12
	v_add_nc_u32_e32 v27, 1, v26
	v_add_nc_u32_e32 v28, 1, v25
	s_wait_dscnt 0x0
	v_cmp_lt_i64_e64 s12, v[23:24], v[21:22]
	s_delay_alu instid0(VALU_DEP_3) | instskip(NEXT) | instid1(VALU_DEP_3)
	v_cndmask_b32_e64 v30, v27, v26, s11
	v_cndmask_b32_e64 v29, v25, v28, s11
                                        ; implicit-def: $vgpr25_vgpr26
	s_delay_alu instid0(VALU_DEP_2) | instskip(NEXT) | instid1(VALU_DEP_2)
	v_cmp_ge_i32_e64 s13, v30, v70
	v_cmp_lt_i32_e64 s14, v29, v71
	s_or_b32 s12, s13, s12
	s_wait_alu 0xfffe
	s_and_b32 s12, s14, s12
	s_wait_alu 0xfffe
	s_xor_b32 s13, s12, -1
	s_wait_alu 0xfffe
	s_and_saveexec_b32 s14, s13
	s_delay_alu instid0(SALU_CYCLE_1)
	s_xor_b32 s13, exec_lo, s14
; %bb.187:                              ;   in Loop: Header=BB148_2 Depth=1
	v_lshlrev_b32_e32 v25, 3, v30
	ds_load_b64 v[25:26], v25 offset:8
; %bb.188:                              ;   in Loop: Header=BB148_2 Depth=1
	s_wait_alu 0xfffe
	s_or_saveexec_b32 s13, s13
	v_dual_mov_b32 v28, v24 :: v_dual_mov_b32 v27, v23
	s_wait_alu 0xfffe
	s_xor_b32 exec_lo, exec_lo, s13
	s_cbranch_execz .LBB148_190
; %bb.189:                              ;   in Loop: Header=BB148_2 Depth=1
	s_wait_dscnt 0x0
	v_lshlrev_b32_e32 v25, 3, v29
	ds_load_b64 v[27:28], v25 offset:8
	v_dual_mov_b32 v26, v22 :: v_dual_mov_b32 v25, v21
.LBB148_190:                            ;   in Loop: Header=BB148_2 Depth=1
	s_or_b32 exec_lo, exec_lo, s13
	v_add_nc_u32_e32 v31, 1, v30
	v_add_nc_u32_e32 v32, 1, v29
	s_wait_dscnt 0x0
	v_cmp_lt_i64_e64 s13, v[27:28], v[25:26]
	s_delay_alu instid0(VALU_DEP_3) | instskip(NEXT) | instid1(VALU_DEP_3)
	v_cndmask_b32_e64 v33, v31, v30, s12
	v_cndmask_b32_e64 v34, v29, v32, s12
                                        ; implicit-def: $vgpr29_vgpr30
	s_delay_alu instid0(VALU_DEP_2) | instskip(NEXT) | instid1(VALU_DEP_2)
	v_cmp_ge_i32_e64 s14, v33, v70
	v_cmp_lt_i32_e64 s15, v34, v71
	s_or_b32 s13, s14, s13
	s_wait_alu 0xfffe
	s_and_b32 s13, s15, s13
	s_wait_alu 0xfffe
	s_xor_b32 s14, s13, -1
	s_delay_alu instid0(SALU_CYCLE_1) | instskip(NEXT) | instid1(SALU_CYCLE_1)
	s_and_saveexec_b32 s15, s14
	s_xor_b32 s14, exec_lo, s15
; %bb.191:                              ;   in Loop: Header=BB148_2 Depth=1
	v_lshlrev_b32_e32 v29, 3, v33
	ds_load_b64 v[29:30], v29 offset:8
; %bb.192:                              ;   in Loop: Header=BB148_2 Depth=1
	s_or_saveexec_b32 s14, s14
	v_dual_mov_b32 v32, v28 :: v_dual_mov_b32 v31, v27
	s_xor_b32 exec_lo, exec_lo, s14
	s_cbranch_execz .LBB148_194
; %bb.193:                              ;   in Loop: Header=BB148_2 Depth=1
	s_wait_dscnt 0x0
	v_lshlrev_b32_e32 v29, 3, v34
	ds_load_b64 v[31:32], v29 offset:8
	v_dual_mov_b32 v30, v26 :: v_dual_mov_b32 v29, v25
.LBB148_194:                            ;   in Loop: Header=BB148_2 Depth=1
	s_or_b32 exec_lo, exec_lo, s14
	v_add_nc_u32_e32 v36, 1, v33
	v_add_nc_u32_e32 v35, 1, v34
	v_cndmask_b32_e64 v26, v26, v28, s13
	v_cndmask_b32_e64 v25, v25, v27, s13
	;; [unrolled: 1-line block ×6, first 2 shown]
	s_wait_dscnt 0x0
	v_cmp_lt_i64_e64 s9, v[31:32], v[29:30]
	v_cndmask_b32_e64 v14, v14, v16, s10
	v_cndmask_b32_e64 v13, v13, v15, s10
	v_cmp_ge_i32_e64 s10, v28, v70
	v_cndmask_b32_e64 v18, v18, v20, s11
	v_cndmask_b32_e64 v17, v17, v19, s11
	v_cmp_lt_i32_e64 s11, v27, v71
	v_cndmask_b32_e64 v6, v6, v8, s8
	v_cndmask_b32_e64 v5, v5, v7, s8
	s_or_b32 s8, s10, s9
	v_cndmask_b32_e64 v2, v2, v4, s7
	v_cndmask_b32_e64 v1, v1, v3, s7
	s_wait_alu 0xfffe
	s_and_b32 s7, s11, s8
	v_cndmask_b32_e64 v22, v22, v24, s12
	v_cndmask_b32_e64 v21, v21, v23, s12
	s_wait_alu 0xfffe
	v_cndmask_b32_e64 v4, v30, v32, s7
	v_cndmask_b32_e64 v3, v29, v31, s7
	s_wait_loadcnt 0x0
	s_barrier_signal -1
	s_barrier_wait -1
	global_inv scope:SCOPE_SE
	ds_store_2addr_b64 v41, v[1:2], v[5:6] offset1:1
	ds_store_2addr_b64 v41, v[9:10], v[13:14] offset0:2 offset1:3
	ds_store_2addr_b64 v41, v[17:18], v[21:22] offset0:4 offset1:5
	;; [unrolled: 1-line block ×3, first 2 shown]
	v_mov_b32_e32 v5, v82
	s_wait_loadcnt_dscnt 0x0
	s_barrier_signal -1
	s_barrier_wait -1
	global_inv scope:SCOPE_SE
	s_and_saveexec_b32 s8, s5
	s_cbranch_execz .LBB148_198
; %bb.195:                              ;   in Loop: Header=BB148_2 Depth=1
	v_mov_b32_e32 v5, v82
	v_mov_b32_e32 v1, v83
	s_mov_b32 s9, 0
.LBB148_196:                            ;   Parent Loop BB148_2 Depth=1
                                        ; =>  This Inner Loop Header: Depth=2
	s_delay_alu instid0(VALU_DEP_1) | instskip(NEXT) | instid1(VALU_DEP_1)
	v_sub_nc_u32_e32 v2, v1, v5
	v_lshrrev_b32_e32 v2, 1, v2
	s_delay_alu instid0(VALU_DEP_1) | instskip(NEXT) | instid1(VALU_DEP_1)
	v_add_nc_u32_e32 v4, v2, v5
	v_not_b32_e32 v2, v4
	v_lshl_add_u32 v3, v4, 3, v85
	s_delay_alu instid0(VALU_DEP_2)
	v_lshl_add_u32 v6, v2, 3, v96
	ds_load_b64 v[2:3], v3
	ds_load_b64 v[6:7], v6
	s_wait_dscnt 0x0
	v_cmp_lt_i64_e64 s7, v[6:7], v[2:3]
	v_add_nc_u32_e32 v2, 1, v4
	s_wait_alu 0xf1ff
	s_delay_alu instid0(VALU_DEP_2) | instskip(NEXT) | instid1(VALU_DEP_2)
	v_cndmask_b32_e64 v1, v1, v4, s7
	v_cndmask_b32_e64 v5, v2, v5, s7
	s_delay_alu instid0(VALU_DEP_1)
	v_cmp_ge_i32_e64 s7, v5, v1
	s_wait_alu 0xfffe
	s_or_b32 s9, s7, s9
	s_wait_alu 0xfffe
	s_and_not1_b32 exec_lo, exec_lo, s9
	s_cbranch_execnz .LBB148_196
; %bb.197:                              ;   in Loop: Header=BB148_2 Depth=1
	s_or_b32 exec_lo, exec_lo, s9
.LBB148_198:                            ;   in Loop: Header=BB148_2 Depth=1
	s_wait_alu 0xfffe
	s_or_b32 exec_lo, exec_lo, s8
	v_sub_nc_u32_e32 v9, v88, v5
	v_lshl_add_u32 v7, v5, 3, v85
	v_add_nc_u32_e32 v10, v5, v73
                                        ; implicit-def: $vgpr5_vgpr6
	s_delay_alu instid0(VALU_DEP_3) | instskip(SKIP_1) | instid1(VALU_DEP_3)
	v_lshlrev_b32_e32 v11, 3, v9
	v_cmp_gt_i32_e64 s9, v77, v9
	v_cmp_le_i32_e64 s8, v76, v10
	ds_load_b64 v[1:2], v7
	ds_load_b64 v[3:4], v11
	s_wait_dscnt 0x0
	v_cmp_lt_i64_e64 s7, v[3:4], v[1:2]
	s_or_b32 s7, s8, s7
	s_wait_alu 0xfffe
	s_and_b32 s7, s9, s7
	s_wait_alu 0xfffe
	s_xor_b32 s8, s7, -1
	s_wait_alu 0xfffe
	s_and_saveexec_b32 s9, s8
	s_wait_alu 0xfffe
	s_xor_b32 s8, exec_lo, s9
; %bb.199:                              ;   in Loop: Header=BB148_2 Depth=1
	ds_load_b64 v[5:6], v7 offset:8
                                        ; implicit-def: $vgpr11
; %bb.200:                              ;   in Loop: Header=BB148_2 Depth=1
	s_wait_alu 0xfffe
	s_or_saveexec_b32 s8, s8
	v_dual_mov_b32 v8, v4 :: v_dual_mov_b32 v7, v3
	s_wait_alu 0xfffe
	s_xor_b32 exec_lo, exec_lo, s8
	s_cbranch_execz .LBB148_202
; %bb.201:                              ;   in Loop: Header=BB148_2 Depth=1
	ds_load_b64 v[7:8], v11 offset:8
	s_wait_dscnt 0x1
	v_dual_mov_b32 v6, v2 :: v_dual_mov_b32 v5, v1
.LBB148_202:                            ;   in Loop: Header=BB148_2 Depth=1
	s_or_b32 exec_lo, exec_lo, s8
	v_add_nc_u32_e32 v11, 1, v10
	v_add_nc_u32_e32 v12, 1, v9
	s_wait_dscnt 0x0
	v_cmp_lt_i64_e64 s8, v[7:8], v[5:6]
	s_delay_alu instid0(VALU_DEP_3) | instskip(NEXT) | instid1(VALU_DEP_3)
	v_cndmask_b32_e64 v14, v11, v10, s7
	v_cndmask_b32_e64 v13, v9, v12, s7
                                        ; implicit-def: $vgpr9_vgpr10
	s_delay_alu instid0(VALU_DEP_2) | instskip(NEXT) | instid1(VALU_DEP_2)
	v_cmp_ge_i32_e64 s9, v14, v76
	v_cmp_lt_i32_e64 s10, v13, v77
	s_or_b32 s8, s9, s8
	s_wait_alu 0xfffe
	s_and_b32 s8, s10, s8
	s_wait_alu 0xfffe
	s_xor_b32 s9, s8, -1
	s_wait_alu 0xfffe
	s_and_saveexec_b32 s10, s9
	s_wait_alu 0xfffe
	s_xor_b32 s9, exec_lo, s10
; %bb.203:                              ;   in Loop: Header=BB148_2 Depth=1
	v_lshlrev_b32_e32 v9, 3, v14
	ds_load_b64 v[9:10], v9 offset:8
; %bb.204:                              ;   in Loop: Header=BB148_2 Depth=1
	s_wait_alu 0xfffe
	s_or_saveexec_b32 s9, s9
	v_dual_mov_b32 v12, v8 :: v_dual_mov_b32 v11, v7
	s_wait_alu 0xfffe
	s_xor_b32 exec_lo, exec_lo, s9
	s_cbranch_execz .LBB148_206
; %bb.205:                              ;   in Loop: Header=BB148_2 Depth=1
	s_wait_dscnt 0x0
	v_lshlrev_b32_e32 v9, 3, v13
	ds_load_b64 v[11:12], v9 offset:8
	v_dual_mov_b32 v10, v6 :: v_dual_mov_b32 v9, v5
.LBB148_206:                            ;   in Loop: Header=BB148_2 Depth=1
	s_or_b32 exec_lo, exec_lo, s9
	v_add_nc_u32_e32 v15, 1, v14
	v_add_nc_u32_e32 v16, 1, v13
	s_wait_dscnt 0x0
	v_cmp_lt_i64_e64 s9, v[11:12], v[9:10]
	s_delay_alu instid0(VALU_DEP_3) | instskip(NEXT) | instid1(VALU_DEP_3)
	v_cndmask_b32_e64 v18, v15, v14, s8
	v_cndmask_b32_e64 v17, v13, v16, s8
                                        ; implicit-def: $vgpr13_vgpr14
	s_delay_alu instid0(VALU_DEP_2) | instskip(NEXT) | instid1(VALU_DEP_2)
	v_cmp_ge_i32_e64 s10, v18, v76
	v_cmp_lt_i32_e64 s11, v17, v77
	s_or_b32 s9, s10, s9
	s_wait_alu 0xfffe
	s_and_b32 s9, s11, s9
	s_wait_alu 0xfffe
	s_xor_b32 s10, s9, -1
	s_wait_alu 0xfffe
	s_and_saveexec_b32 s11, s10
	s_wait_alu 0xfffe
	s_xor_b32 s10, exec_lo, s11
; %bb.207:                              ;   in Loop: Header=BB148_2 Depth=1
	v_lshlrev_b32_e32 v13, 3, v18
	ds_load_b64 v[13:14], v13 offset:8
; %bb.208:                              ;   in Loop: Header=BB148_2 Depth=1
	s_wait_alu 0xfffe
	s_or_saveexec_b32 s10, s10
	v_dual_mov_b32 v16, v12 :: v_dual_mov_b32 v15, v11
	s_wait_alu 0xfffe
	s_xor_b32 exec_lo, exec_lo, s10
	s_cbranch_execz .LBB148_210
; %bb.209:                              ;   in Loop: Header=BB148_2 Depth=1
	s_wait_dscnt 0x0
	v_lshlrev_b32_e32 v13, 3, v17
	ds_load_b64 v[15:16], v13 offset:8
	v_dual_mov_b32 v14, v10 :: v_dual_mov_b32 v13, v9
.LBB148_210:                            ;   in Loop: Header=BB148_2 Depth=1
	s_or_b32 exec_lo, exec_lo, s10
	v_add_nc_u32_e32 v19, 1, v18
	v_add_nc_u32_e32 v20, 1, v17
	s_wait_dscnt 0x0
	v_cmp_lt_i64_e64 s10, v[15:16], v[13:14]
	s_delay_alu instid0(VALU_DEP_3) | instskip(NEXT) | instid1(VALU_DEP_3)
	v_cndmask_b32_e64 v22, v19, v18, s9
	v_cndmask_b32_e64 v21, v17, v20, s9
                                        ; implicit-def: $vgpr17_vgpr18
	s_delay_alu instid0(VALU_DEP_2) | instskip(NEXT) | instid1(VALU_DEP_2)
	v_cmp_ge_i32_e64 s11, v22, v76
	v_cmp_lt_i32_e64 s12, v21, v77
	s_or_b32 s10, s11, s10
	s_wait_alu 0xfffe
	s_and_b32 s10, s12, s10
	s_wait_alu 0xfffe
	s_xor_b32 s11, s10, -1
	s_wait_alu 0xfffe
	s_and_saveexec_b32 s12, s11
	s_wait_alu 0xfffe
	s_xor_b32 s11, exec_lo, s12
; %bb.211:                              ;   in Loop: Header=BB148_2 Depth=1
	v_lshlrev_b32_e32 v17, 3, v22
	ds_load_b64 v[17:18], v17 offset:8
; %bb.212:                              ;   in Loop: Header=BB148_2 Depth=1
	s_wait_alu 0xfffe
	s_or_saveexec_b32 s11, s11
	v_dual_mov_b32 v20, v16 :: v_dual_mov_b32 v19, v15
	s_wait_alu 0xfffe
	s_xor_b32 exec_lo, exec_lo, s11
	s_cbranch_execz .LBB148_214
; %bb.213:                              ;   in Loop: Header=BB148_2 Depth=1
	s_wait_dscnt 0x0
	v_lshlrev_b32_e32 v17, 3, v21
	ds_load_b64 v[19:20], v17 offset:8
	v_dual_mov_b32 v18, v14 :: v_dual_mov_b32 v17, v13
.LBB148_214:                            ;   in Loop: Header=BB148_2 Depth=1
	s_or_b32 exec_lo, exec_lo, s11
	v_add_nc_u32_e32 v23, 1, v22
	v_add_nc_u32_e32 v24, 1, v21
	s_wait_dscnt 0x0
	v_cmp_lt_i64_e64 s11, v[19:20], v[17:18]
	s_delay_alu instid0(VALU_DEP_3) | instskip(NEXT) | instid1(VALU_DEP_3)
	v_cndmask_b32_e64 v26, v23, v22, s10
	v_cndmask_b32_e64 v25, v21, v24, s10
                                        ; implicit-def: $vgpr21_vgpr22
	s_delay_alu instid0(VALU_DEP_2) | instskip(NEXT) | instid1(VALU_DEP_2)
	v_cmp_ge_i32_e64 s12, v26, v76
	v_cmp_lt_i32_e64 s13, v25, v77
	s_or_b32 s11, s12, s11
	s_wait_alu 0xfffe
	s_and_b32 s11, s13, s11
	s_wait_alu 0xfffe
	s_xor_b32 s12, s11, -1
	s_wait_alu 0xfffe
	s_and_saveexec_b32 s13, s12
	s_wait_alu 0xfffe
	s_xor_b32 s12, exec_lo, s13
; %bb.215:                              ;   in Loop: Header=BB148_2 Depth=1
	v_lshlrev_b32_e32 v21, 3, v26
	ds_load_b64 v[21:22], v21 offset:8
; %bb.216:                              ;   in Loop: Header=BB148_2 Depth=1
	s_wait_alu 0xfffe
	s_or_saveexec_b32 s12, s12
	v_dual_mov_b32 v24, v20 :: v_dual_mov_b32 v23, v19
	s_wait_alu 0xfffe
	s_xor_b32 exec_lo, exec_lo, s12
	s_cbranch_execz .LBB148_218
; %bb.217:                              ;   in Loop: Header=BB148_2 Depth=1
	s_wait_dscnt 0x0
	v_lshlrev_b32_e32 v21, 3, v25
	ds_load_b64 v[23:24], v21 offset:8
	v_dual_mov_b32 v22, v18 :: v_dual_mov_b32 v21, v17
.LBB148_218:                            ;   in Loop: Header=BB148_2 Depth=1
	s_or_b32 exec_lo, exec_lo, s12
	v_add_nc_u32_e32 v27, 1, v26
	v_add_nc_u32_e32 v28, 1, v25
	s_wait_dscnt 0x0
	v_cmp_lt_i64_e64 s12, v[23:24], v[21:22]
	s_delay_alu instid0(VALU_DEP_3) | instskip(NEXT) | instid1(VALU_DEP_3)
	v_cndmask_b32_e64 v30, v27, v26, s11
	v_cndmask_b32_e64 v29, v25, v28, s11
                                        ; implicit-def: $vgpr25_vgpr26
	s_delay_alu instid0(VALU_DEP_2) | instskip(NEXT) | instid1(VALU_DEP_2)
	v_cmp_ge_i32_e64 s13, v30, v76
	v_cmp_lt_i32_e64 s14, v29, v77
	s_or_b32 s12, s13, s12
	s_wait_alu 0xfffe
	s_and_b32 s12, s14, s12
	s_wait_alu 0xfffe
	s_xor_b32 s13, s12, -1
	s_wait_alu 0xfffe
	s_and_saveexec_b32 s14, s13
	s_delay_alu instid0(SALU_CYCLE_1)
	s_xor_b32 s13, exec_lo, s14
; %bb.219:                              ;   in Loop: Header=BB148_2 Depth=1
	v_lshlrev_b32_e32 v25, 3, v30
	ds_load_b64 v[25:26], v25 offset:8
; %bb.220:                              ;   in Loop: Header=BB148_2 Depth=1
	s_wait_alu 0xfffe
	s_or_saveexec_b32 s13, s13
	v_dual_mov_b32 v28, v24 :: v_dual_mov_b32 v27, v23
	s_wait_alu 0xfffe
	s_xor_b32 exec_lo, exec_lo, s13
	s_cbranch_execz .LBB148_222
; %bb.221:                              ;   in Loop: Header=BB148_2 Depth=1
	s_wait_dscnt 0x0
	v_lshlrev_b32_e32 v25, 3, v29
	ds_load_b64 v[27:28], v25 offset:8
	v_dual_mov_b32 v26, v22 :: v_dual_mov_b32 v25, v21
.LBB148_222:                            ;   in Loop: Header=BB148_2 Depth=1
	s_or_b32 exec_lo, exec_lo, s13
	v_add_nc_u32_e32 v31, 1, v30
	v_add_nc_u32_e32 v32, 1, v29
	s_wait_dscnt 0x0
	v_cmp_lt_i64_e64 s13, v[27:28], v[25:26]
	s_delay_alu instid0(VALU_DEP_3) | instskip(NEXT) | instid1(VALU_DEP_3)
	v_cndmask_b32_e64 v33, v31, v30, s12
	v_cndmask_b32_e64 v34, v29, v32, s12
                                        ; implicit-def: $vgpr29_vgpr30
	s_delay_alu instid0(VALU_DEP_2) | instskip(NEXT) | instid1(VALU_DEP_2)
	v_cmp_ge_i32_e64 s14, v33, v76
	v_cmp_lt_i32_e64 s15, v34, v77
	s_or_b32 s13, s14, s13
	s_wait_alu 0xfffe
	s_and_b32 s13, s15, s13
	s_wait_alu 0xfffe
	s_xor_b32 s14, s13, -1
	s_delay_alu instid0(SALU_CYCLE_1) | instskip(NEXT) | instid1(SALU_CYCLE_1)
	s_and_saveexec_b32 s15, s14
	s_xor_b32 s14, exec_lo, s15
; %bb.223:                              ;   in Loop: Header=BB148_2 Depth=1
	v_lshlrev_b32_e32 v29, 3, v33
	ds_load_b64 v[29:30], v29 offset:8
; %bb.224:                              ;   in Loop: Header=BB148_2 Depth=1
	s_or_saveexec_b32 s14, s14
	v_dual_mov_b32 v32, v28 :: v_dual_mov_b32 v31, v27
	s_xor_b32 exec_lo, exec_lo, s14
	s_cbranch_execz .LBB148_226
; %bb.225:                              ;   in Loop: Header=BB148_2 Depth=1
	s_wait_dscnt 0x0
	v_lshlrev_b32_e32 v29, 3, v34
	ds_load_b64 v[31:32], v29 offset:8
	v_dual_mov_b32 v30, v26 :: v_dual_mov_b32 v29, v25
.LBB148_226:                            ;   in Loop: Header=BB148_2 Depth=1
	s_or_b32 exec_lo, exec_lo, s14
	v_add_nc_u32_e32 v36, 1, v33
	v_add_nc_u32_e32 v35, 1, v34
	v_cndmask_b32_e64 v26, v26, v28, s13
	v_cndmask_b32_e64 v25, v25, v27, s13
	;; [unrolled: 1-line block ×6, first 2 shown]
	s_wait_dscnt 0x0
	v_cmp_lt_i64_e64 s9, v[31:32], v[29:30]
	v_cndmask_b32_e64 v14, v14, v16, s10
	v_cndmask_b32_e64 v13, v13, v15, s10
	v_cmp_ge_i32_e64 s10, v28, v76
	v_cndmask_b32_e64 v18, v18, v20, s11
	v_cndmask_b32_e64 v17, v17, v19, s11
	v_cmp_lt_i32_e64 s11, v27, v77
	v_cndmask_b32_e64 v6, v6, v8, s8
	v_cndmask_b32_e64 v5, v5, v7, s8
	s_or_b32 s8, s10, s9
	v_cndmask_b32_e64 v2, v2, v4, s7
	v_cndmask_b32_e64 v1, v1, v3, s7
	s_wait_alu 0xfffe
	s_and_b32 s7, s11, s8
	v_cndmask_b32_e64 v22, v22, v24, s12
	v_cndmask_b32_e64 v21, v21, v23, s12
	s_wait_alu 0xfffe
	v_cndmask_b32_e64 v4, v30, v32, s7
	v_cndmask_b32_e64 v3, v29, v31, s7
	s_wait_loadcnt 0x0
	s_barrier_signal -1
	s_barrier_wait -1
	global_inv scope:SCOPE_SE
	ds_store_2addr_b64 v41, v[1:2], v[5:6] offset1:1
	ds_store_2addr_b64 v41, v[9:10], v[13:14] offset0:2 offset1:3
	ds_store_2addr_b64 v41, v[17:18], v[21:22] offset0:4 offset1:5
	;; [unrolled: 1-line block ×3, first 2 shown]
	v_mov_b32_e32 v9, v86
	s_wait_loadcnt_dscnt 0x0
	s_barrier_signal -1
	s_barrier_wait -1
	global_inv scope:SCOPE_SE
	s_and_saveexec_b32 s8, s6
	s_cbranch_execz .LBB148_230
; %bb.227:                              ;   in Loop: Header=BB148_2 Depth=1
	v_mov_b32_e32 v9, v86
	v_mov_b32_e32 v1, v87
	s_mov_b32 s9, 0
.LBB148_228:                            ;   Parent Loop BB148_2 Depth=1
                                        ; =>  This Inner Loop Header: Depth=2
	s_delay_alu instid0(VALU_DEP_1) | instskip(NEXT) | instid1(VALU_DEP_1)
	v_sub_nc_u32_e32 v2, v1, v9
	v_lshrrev_b32_e32 v2, 1, v2
	s_delay_alu instid0(VALU_DEP_1) | instskip(NEXT) | instid1(VALU_DEP_1)
	v_add_nc_u32_e32 v6, v2, v9
	v_not_b32_e32 v2, v6
	v_lshlrev_b32_e32 v3, 3, v6
	s_delay_alu instid0(VALU_DEP_2)
	v_lshl_add_u32 v4, v2, 3, v97
	ds_load_b64 v[2:3], v3
	ds_load_b64 v[4:5], v4
	s_wait_dscnt 0x0
	v_cmp_lt_i64_e64 s7, v[4:5], v[2:3]
	v_add_nc_u32_e32 v2, 1, v6
	s_wait_alu 0xf1ff
	s_delay_alu instid0(VALU_DEP_2) | instskip(NEXT) | instid1(VALU_DEP_2)
	v_cndmask_b32_e64 v1, v1, v6, s7
	v_cndmask_b32_e64 v9, v2, v9, s7
	s_delay_alu instid0(VALU_DEP_1)
	v_cmp_ge_i32_e64 s7, v9, v1
	s_wait_alu 0xfffe
	s_or_b32 s9, s7, s9
	s_wait_alu 0xfffe
	s_and_not1_b32 exec_lo, exec_lo, s9
	s_cbranch_execnz .LBB148_228
; %bb.229:                              ;   in Loop: Header=BB148_2 Depth=1
	s_or_b32 exec_lo, exec_lo, s9
.LBB148_230:                            ;   in Loop: Header=BB148_2 Depth=1
	s_wait_alu 0xfffe
	s_or_b32 exec_lo, exec_lo, s8
	v_sub_nc_u32_e32 v10, v89, v9
	v_lshlrev_b32_e32 v7, 3, v9
	v_cmp_le_i32_e64 s8, 0x400, v9
                                        ; implicit-def: $vgpr5_vgpr6
	s_delay_alu instid0(VALU_DEP_3)
	v_lshlrev_b32_e32 v11, 3, v10
	v_cmp_gt_i32_e64 s9, 0x800, v10
	ds_load_b64 v[1:2], v7
	ds_load_b64 v[3:4], v11
	s_wait_dscnt 0x0
	v_cmp_lt_i64_e64 s7, v[3:4], v[1:2]
	s_or_b32 s7, s8, s7
	s_wait_alu 0xfffe
	s_and_b32 s7, s9, s7
	s_wait_alu 0xfffe
	s_xor_b32 s8, s7, -1
	s_wait_alu 0xfffe
	s_and_saveexec_b32 s9, s8
	s_wait_alu 0xfffe
	s_xor_b32 s8, exec_lo, s9
; %bb.231:                              ;   in Loop: Header=BB148_2 Depth=1
	ds_load_b64 v[5:6], v7 offset:8
                                        ; implicit-def: $vgpr11
; %bb.232:                              ;   in Loop: Header=BB148_2 Depth=1
	s_wait_alu 0xfffe
	s_or_saveexec_b32 s8, s8
	v_dual_mov_b32 v8, v4 :: v_dual_mov_b32 v7, v3
	s_wait_alu 0xfffe
	s_xor_b32 exec_lo, exec_lo, s8
	s_cbranch_execz .LBB148_234
; %bb.233:                              ;   in Loop: Header=BB148_2 Depth=1
	ds_load_b64 v[7:8], v11 offset:8
	s_wait_dscnt 0x1
	v_dual_mov_b32 v6, v2 :: v_dual_mov_b32 v5, v1
.LBB148_234:                            ;   in Loop: Header=BB148_2 Depth=1
	s_or_b32 exec_lo, exec_lo, s8
	v_add_nc_u32_e32 v11, 1, v9
	v_add_nc_u32_e32 v13, 1, v10
	s_wait_dscnt 0x0
	v_cmp_lt_i64_e64 s8, v[7:8], v[5:6]
	s_delay_alu instid0(VALU_DEP_3) | instskip(NEXT) | instid1(VALU_DEP_3)
	v_cndmask_b32_e64 v12, v11, v9, s7
	v_cndmask_b32_e64 v11, v10, v13, s7
                                        ; implicit-def: $vgpr9_vgpr10
	s_delay_alu instid0(VALU_DEP_2) | instskip(NEXT) | instid1(VALU_DEP_2)
	v_cmp_le_i32_e64 s9, 0x400, v12
	v_cmp_gt_i32_e64 s10, 0x800, v11
	s_or_b32 s8, s9, s8
	s_wait_alu 0xfffe
	s_and_b32 s8, s10, s8
	s_wait_alu 0xfffe
	s_xor_b32 s9, s8, -1
	s_wait_alu 0xfffe
	s_and_saveexec_b32 s10, s9
	s_wait_alu 0xfffe
	s_xor_b32 s9, exec_lo, s10
; %bb.235:                              ;   in Loop: Header=BB148_2 Depth=1
	v_lshlrev_b32_e32 v9, 3, v12
	ds_load_b64 v[9:10], v9 offset:8
; %bb.236:                              ;   in Loop: Header=BB148_2 Depth=1
	s_wait_alu 0xfffe
	s_or_saveexec_b32 s9, s9
	v_dual_mov_b32 v14, v8 :: v_dual_mov_b32 v13, v7
	s_wait_alu 0xfffe
	s_xor_b32 exec_lo, exec_lo, s9
	s_cbranch_execz .LBB148_238
; %bb.237:                              ;   in Loop: Header=BB148_2 Depth=1
	s_wait_dscnt 0x0
	v_lshlrev_b32_e32 v9, 3, v11
	ds_load_b64 v[13:14], v9 offset:8
	v_dual_mov_b32 v10, v6 :: v_dual_mov_b32 v9, v5
.LBB148_238:                            ;   in Loop: Header=BB148_2 Depth=1
	s_or_b32 exec_lo, exec_lo, s9
	v_add_nc_u32_e32 v15, 1, v12
	v_add_nc_u32_e32 v16, 1, v11
	s_wait_dscnt 0x0
	v_cmp_lt_i64_e64 s9, v[13:14], v[9:10]
                                        ; implicit-def: $vgpr17_vgpr18
	s_delay_alu instid0(VALU_DEP_3) | instskip(NEXT) | instid1(VALU_DEP_3)
	v_cndmask_b32_e64 v12, v15, v12, s8
	v_cndmask_b32_e64 v11, v11, v16, s8
	s_delay_alu instid0(VALU_DEP_2) | instskip(NEXT) | instid1(VALU_DEP_2)
	v_cmp_le_i32_e64 s10, 0x400, v12
	v_cmp_gt_i32_e64 s11, 0x800, v11
	s_or_b32 s9, s10, s9
	s_wait_alu 0xfffe
	s_and_b32 s9, s11, s9
	s_wait_alu 0xfffe
	s_xor_b32 s10, s9, -1
	s_wait_alu 0xfffe
	s_and_saveexec_b32 s11, s10
	s_wait_alu 0xfffe
	s_xor_b32 s10, exec_lo, s11
; %bb.239:                              ;   in Loop: Header=BB148_2 Depth=1
	v_lshlrev_b32_e32 v15, 3, v12
	ds_load_b64 v[17:18], v15 offset:8
; %bb.240:                              ;   in Loop: Header=BB148_2 Depth=1
	s_wait_alu 0xfffe
	s_or_saveexec_b32 s10, s10
	v_dual_mov_b32 v20, v14 :: v_dual_mov_b32 v19, v13
	s_wait_alu 0xfffe
	s_xor_b32 exec_lo, exec_lo, s10
	s_cbranch_execz .LBB148_242
; %bb.241:                              ;   in Loop: Header=BB148_2 Depth=1
	s_wait_dscnt 0x0
	v_dual_mov_b32 v18, v10 :: v_dual_lshlrev_b32 v15, 3, v11
	v_mov_b32_e32 v17, v9
	ds_load_b64 v[19:20], v15 offset:8
.LBB148_242:                            ;   in Loop: Header=BB148_2 Depth=1
	s_or_b32 exec_lo, exec_lo, s10
	v_add_nc_u32_e32 v15, 1, v12
	v_add_nc_u32_e32 v16, 1, v11
	s_wait_dscnt 0x0
	v_cmp_lt_i64_e64 s10, v[19:20], v[17:18]
                                        ; implicit-def: $vgpr21_vgpr22
	s_delay_alu instid0(VALU_DEP_3) | instskip(NEXT) | instid1(VALU_DEP_3)
	v_cndmask_b32_e64 v12, v15, v12, s9
	v_cndmask_b32_e64 v11, v11, v16, s9
	s_delay_alu instid0(VALU_DEP_2) | instskip(NEXT) | instid1(VALU_DEP_2)
	v_cmp_le_i32_e64 s11, 0x400, v12
	v_cmp_gt_i32_e64 s12, 0x800, v11
	s_or_b32 s10, s11, s10
	s_wait_alu 0xfffe
	s_and_b32 s10, s12, s10
	s_wait_alu 0xfffe
	s_xor_b32 s11, s10, -1
	s_wait_alu 0xfffe
	s_and_saveexec_b32 s12, s11
	s_wait_alu 0xfffe
	s_xor_b32 s11, exec_lo, s12
; %bb.243:                              ;   in Loop: Header=BB148_2 Depth=1
	v_lshlrev_b32_e32 v15, 3, v12
	ds_load_b64 v[21:22], v15 offset:8
; %bb.244:                              ;   in Loop: Header=BB148_2 Depth=1
	s_wait_alu 0xfffe
	s_or_saveexec_b32 s11, s11
	v_dual_mov_b32 v24, v20 :: v_dual_mov_b32 v23, v19
	s_wait_alu 0xfffe
	s_xor_b32 exec_lo, exec_lo, s11
	s_cbranch_execz .LBB148_246
; %bb.245:                              ;   in Loop: Header=BB148_2 Depth=1
	s_wait_dscnt 0x0
	v_dual_mov_b32 v22, v18 :: v_dual_lshlrev_b32 v15, 3, v11
	v_mov_b32_e32 v21, v17
	ds_load_b64 v[23:24], v15 offset:8
.LBB148_246:                            ;   in Loop: Header=BB148_2 Depth=1
	s_or_b32 exec_lo, exec_lo, s11
	v_add_nc_u32_e32 v15, 1, v12
	v_add_nc_u32_e32 v16, 1, v11
	s_wait_dscnt 0x0
	v_cmp_lt_i64_e64 s11, v[23:24], v[21:22]
                                        ; implicit-def: $vgpr25_vgpr26
	s_delay_alu instid0(VALU_DEP_3) | instskip(NEXT) | instid1(VALU_DEP_3)
	v_cndmask_b32_e64 v12, v15, v12, s10
	v_cndmask_b32_e64 v11, v11, v16, s10
	s_delay_alu instid0(VALU_DEP_2) | instskip(NEXT) | instid1(VALU_DEP_2)
	v_cmp_le_i32_e64 s12, 0x400, v12
	v_cmp_gt_i32_e64 s13, 0x800, v11
	s_or_b32 s11, s12, s11
	s_wait_alu 0xfffe
	s_and_b32 s11, s13, s11
	s_wait_alu 0xfffe
	s_xor_b32 s12, s11, -1
	s_wait_alu 0xfffe
	s_and_saveexec_b32 s13, s12
	s_wait_alu 0xfffe
	s_xor_b32 s12, exec_lo, s13
; %bb.247:                              ;   in Loop: Header=BB148_2 Depth=1
	v_lshlrev_b32_e32 v15, 3, v12
	ds_load_b64 v[25:26], v15 offset:8
; %bb.248:                              ;   in Loop: Header=BB148_2 Depth=1
	s_wait_alu 0xfffe
	s_or_saveexec_b32 s12, s12
	v_dual_mov_b32 v28, v24 :: v_dual_mov_b32 v27, v23
	s_wait_alu 0xfffe
	s_xor_b32 exec_lo, exec_lo, s12
	s_cbranch_execz .LBB148_250
; %bb.249:                              ;   in Loop: Header=BB148_2 Depth=1
	s_wait_dscnt 0x0
	v_dual_mov_b32 v26, v22 :: v_dual_lshlrev_b32 v15, 3, v11
	v_mov_b32_e32 v25, v21
	ds_load_b64 v[27:28], v15 offset:8
.LBB148_250:                            ;   in Loop: Header=BB148_2 Depth=1
	s_or_b32 exec_lo, exec_lo, s12
	v_add_nc_u32_e32 v15, 1, v12
	v_add_nc_u32_e32 v16, 1, v11
	s_wait_dscnt 0x0
	v_cmp_lt_i64_e64 s12, v[27:28], v[25:26]
                                        ; implicit-def: $vgpr29_vgpr30
	s_delay_alu instid0(VALU_DEP_3) | instskip(NEXT) | instid1(VALU_DEP_3)
	v_cndmask_b32_e64 v12, v15, v12, s11
	v_cndmask_b32_e64 v11, v11, v16, s11
	s_delay_alu instid0(VALU_DEP_2) | instskip(NEXT) | instid1(VALU_DEP_2)
	v_cmp_le_i32_e64 s13, 0x400, v12
	v_cmp_gt_i32_e64 s14, 0x800, v11
	s_or_b32 s12, s13, s12
	s_wait_alu 0xfffe
	s_and_b32 s12, s14, s12
	s_wait_alu 0xfffe
	s_xor_b32 s13, s12, -1
	s_wait_alu 0xfffe
	s_and_saveexec_b32 s14, s13
	s_delay_alu instid0(SALU_CYCLE_1)
	s_xor_b32 s13, exec_lo, s14
; %bb.251:                              ;   in Loop: Header=BB148_2 Depth=1
	v_lshlrev_b32_e32 v15, 3, v12
	ds_load_b64 v[29:30], v15 offset:8
; %bb.252:                              ;   in Loop: Header=BB148_2 Depth=1
	s_wait_alu 0xfffe
	s_or_saveexec_b32 s13, s13
	v_dual_mov_b32 v32, v28 :: v_dual_mov_b32 v31, v27
	s_wait_alu 0xfffe
	s_xor_b32 exec_lo, exec_lo, s13
	s_cbranch_execz .LBB148_254
; %bb.253:                              ;   in Loop: Header=BB148_2 Depth=1
	s_wait_dscnt 0x0
	v_dual_mov_b32 v30, v26 :: v_dual_lshlrev_b32 v15, 3, v11
	v_mov_b32_e32 v29, v25
	ds_load_b64 v[31:32], v15 offset:8
.LBB148_254:                            ;   in Loop: Header=BB148_2 Depth=1
	s_or_b32 exec_lo, exec_lo, s13
	v_add_nc_u32_e32 v15, 1, v12
	v_add_nc_u32_e32 v16, 1, v11
	s_wait_dscnt 0x0
	v_cmp_lt_i64_e64 s13, v[31:32], v[29:30]
                                        ; implicit-def: $vgpr33_vgpr34
                                        ; implicit-def: $vgpr99
	s_delay_alu instid0(VALU_DEP_3) | instskip(NEXT) | instid1(VALU_DEP_3)
	v_cndmask_b32_e64 v12, v15, v12, s12
	v_cndmask_b32_e64 v98, v11, v16, s12
	s_delay_alu instid0(VALU_DEP_2) | instskip(NEXT) | instid1(VALU_DEP_2)
	v_cmp_le_i32_e64 s14, 0x400, v12
	v_cmp_gt_i32_e64 s15, 0x800, v98
	s_or_b32 s13, s14, s13
	s_wait_alu 0xfffe
	s_and_b32 s13, s15, s13
	s_wait_alu 0xfffe
	s_xor_b32 s14, s13, -1
	s_delay_alu instid0(SALU_CYCLE_1) | instskip(NEXT) | instid1(SALU_CYCLE_1)
	s_and_saveexec_b32 s15, s14
	s_xor_b32 s14, exec_lo, s15
; %bb.255:                              ;   in Loop: Header=BB148_2 Depth=1
	v_lshlrev_b32_e32 v11, 3, v12
	v_add_nc_u32_e32 v99, 1, v12
                                        ; implicit-def: $vgpr12
	ds_load_b64 v[33:34], v11 offset:8
; %bb.256:                              ;   in Loop: Header=BB148_2 Depth=1
	s_or_saveexec_b32 s14, s14
	v_dual_mov_b32 v36, v32 :: v_dual_mov_b32 v35, v31
	s_xor_b32 exec_lo, exec_lo, s14
	s_cbranch_execz .LBB148_1
; %bb.257:                              ;   in Loop: Header=BB148_2 Depth=1
	s_wait_dscnt 0x0
	v_dual_mov_b32 v34, v30 :: v_dual_lshlrev_b32 v11, 3, v98
	v_dual_mov_b32 v99, v12 :: v_dual_add_nc_u32 v98, 1, v98
	v_mov_b32_e32 v33, v29
	ds_load_b64 v[35:36], v11 offset:8
	s_branch .LBB148_1
.LBB148_258:
	v_lshlrev_b32_e32 v0, 3, v0
	s_add_nc_u64 s[0:1], s[18:19], s[22:23]
	s_clause 0x7
	global_store_b64 v0, v[11:12], s[0:1]
	global_store_b64 v0, v[15:16], s[0:1] offset:2048
	global_store_b64 v0, v[5:6], s[0:1] offset:4096
	;; [unrolled: 1-line block ×7, first 2 shown]
	s_nop 0
	s_sendmsg sendmsg(MSG_DEALLOC_VGPRS)
	s_endpgm
	.section	.rodata,"a",@progbits
	.p2align	6, 0x0
	.amdhsa_kernel _Z16sort_keys_kernelIxLj256ELj8EN10test_utils4lessELj10EEvPKT_PS2_T2_
		.amdhsa_group_segment_fixed_size 16392
		.amdhsa_private_segment_fixed_size 0
		.amdhsa_kernarg_size 20
		.amdhsa_user_sgpr_count 2
		.amdhsa_user_sgpr_dispatch_ptr 0
		.amdhsa_user_sgpr_queue_ptr 0
		.amdhsa_user_sgpr_kernarg_segment_ptr 1
		.amdhsa_user_sgpr_dispatch_id 0
		.amdhsa_user_sgpr_private_segment_size 0
		.amdhsa_wavefront_size32 1
		.amdhsa_uses_dynamic_stack 0
		.amdhsa_enable_private_segment 0
		.amdhsa_system_sgpr_workgroup_id_x 1
		.amdhsa_system_sgpr_workgroup_id_y 0
		.amdhsa_system_sgpr_workgroup_id_z 0
		.amdhsa_system_sgpr_workgroup_info 0
		.amdhsa_system_vgpr_workitem_id 0
		.amdhsa_next_free_vgpr 100
		.amdhsa_next_free_sgpr 24
		.amdhsa_reserve_vcc 1
		.amdhsa_float_round_mode_32 0
		.amdhsa_float_round_mode_16_64 0
		.amdhsa_float_denorm_mode_32 3
		.amdhsa_float_denorm_mode_16_64 3
		.amdhsa_fp16_overflow 0
		.amdhsa_workgroup_processor_mode 1
		.amdhsa_memory_ordered 1
		.amdhsa_forward_progress 1
		.amdhsa_inst_pref_size 123
		.amdhsa_round_robin_scheduling 0
		.amdhsa_exception_fp_ieee_invalid_op 0
		.amdhsa_exception_fp_denorm_src 0
		.amdhsa_exception_fp_ieee_div_zero 0
		.amdhsa_exception_fp_ieee_overflow 0
		.amdhsa_exception_fp_ieee_underflow 0
		.amdhsa_exception_fp_ieee_inexact 0
		.amdhsa_exception_int_div_zero 0
	.end_amdhsa_kernel
	.section	.text._Z16sort_keys_kernelIxLj256ELj8EN10test_utils4lessELj10EEvPKT_PS2_T2_,"axG",@progbits,_Z16sort_keys_kernelIxLj256ELj8EN10test_utils4lessELj10EEvPKT_PS2_T2_,comdat
.Lfunc_end148:
	.size	_Z16sort_keys_kernelIxLj256ELj8EN10test_utils4lessELj10EEvPKT_PS2_T2_, .Lfunc_end148-_Z16sort_keys_kernelIxLj256ELj8EN10test_utils4lessELj10EEvPKT_PS2_T2_
                                        ; -- End function
	.set _Z16sort_keys_kernelIxLj256ELj8EN10test_utils4lessELj10EEvPKT_PS2_T2_.num_vgpr, 100
	.set _Z16sort_keys_kernelIxLj256ELj8EN10test_utils4lessELj10EEvPKT_PS2_T2_.num_agpr, 0
	.set _Z16sort_keys_kernelIxLj256ELj8EN10test_utils4lessELj10EEvPKT_PS2_T2_.numbered_sgpr, 24
	.set _Z16sort_keys_kernelIxLj256ELj8EN10test_utils4lessELj10EEvPKT_PS2_T2_.num_named_barrier, 0
	.set _Z16sort_keys_kernelIxLj256ELj8EN10test_utils4lessELj10EEvPKT_PS2_T2_.private_seg_size, 0
	.set _Z16sort_keys_kernelIxLj256ELj8EN10test_utils4lessELj10EEvPKT_PS2_T2_.uses_vcc, 1
	.set _Z16sort_keys_kernelIxLj256ELj8EN10test_utils4lessELj10EEvPKT_PS2_T2_.uses_flat_scratch, 0
	.set _Z16sort_keys_kernelIxLj256ELj8EN10test_utils4lessELj10EEvPKT_PS2_T2_.has_dyn_sized_stack, 0
	.set _Z16sort_keys_kernelIxLj256ELj8EN10test_utils4lessELj10EEvPKT_PS2_T2_.has_recursion, 0
	.set _Z16sort_keys_kernelIxLj256ELj8EN10test_utils4lessELj10EEvPKT_PS2_T2_.has_indirect_call, 0
	.section	.AMDGPU.csdata,"",@progbits
; Kernel info:
; codeLenInByte = 15676
; TotalNumSgprs: 26
; NumVgprs: 100
; ScratchSize: 0
; MemoryBound: 0
; FloatMode: 240
; IeeeMode: 1
; LDSByteSize: 16392 bytes/workgroup (compile time only)
; SGPRBlocks: 0
; VGPRBlocks: 12
; NumSGPRsForWavesPerEU: 26
; NumVGPRsForWavesPerEU: 100
; Occupancy: 12
; WaveLimiterHint : 1
; COMPUTE_PGM_RSRC2:SCRATCH_EN: 0
; COMPUTE_PGM_RSRC2:USER_SGPR: 2
; COMPUTE_PGM_RSRC2:TRAP_HANDLER: 0
; COMPUTE_PGM_RSRC2:TGID_X_EN: 1
; COMPUTE_PGM_RSRC2:TGID_Y_EN: 0
; COMPUTE_PGM_RSRC2:TGID_Z_EN: 0
; COMPUTE_PGM_RSRC2:TIDIG_COMP_CNT: 0
	.section	.text._Z17sort_pairs_kernelIxLj256ELj8EN10test_utils4lessELj10EEvPKT_PS2_T2_,"axG",@progbits,_Z17sort_pairs_kernelIxLj256ELj8EN10test_utils4lessELj10EEvPKT_PS2_T2_,comdat
	.protected	_Z17sort_pairs_kernelIxLj256ELj8EN10test_utils4lessELj10EEvPKT_PS2_T2_ ; -- Begin function _Z17sort_pairs_kernelIxLj256ELj8EN10test_utils4lessELj10EEvPKT_PS2_T2_
	.globl	_Z17sort_pairs_kernelIxLj256ELj8EN10test_utils4lessELj10EEvPKT_PS2_T2_
	.p2align	8
	.type	_Z17sort_pairs_kernelIxLj256ELj8EN10test_utils4lessELj10EEvPKT_PS2_T2_,@function
_Z17sort_pairs_kernelIxLj256ELj8EN10test_utils4lessELj10EEvPKT_PS2_T2_: ; @_Z17sort_pairs_kernelIxLj256ELj8EN10test_utils4lessELj10EEvPKT_PS2_T2_
; %bb.0:
	s_load_b128 s[44:47], s[0:1], 0x0
	s_lshl_b32 s50, ttmp9, 11
	s_mov_b32 s51, 0
	v_lshlrev_b32_e32 v1, 3, v0
	s_lshl_b64 s[48:49], s[50:51], 3
	v_lshlrev_b32_e32 v53, 6, v0
	s_delay_alu instid0(VALU_DEP_2)
	v_and_b32_e32 v54, 0x7f0, v1
	v_and_b32_e32 v2, 8, v1
	;; [unrolled: 1-line block ×5, first 2 shown]
	v_or_b32_e32 v64, 8, v54
	v_add_nc_u32_e32 v65, 16, v54
	v_and_b32_e32 v4, 56, v1
	v_and_b32_e32 v57, 0x780, v1
	;; [unrolled: 1-line block ×5, first 2 shown]
	s_wait_kmcnt 0x0
	s_add_nc_u64 s[0:1], s[44:45], s[48:49]
	v_and_b32_e32 v59, 0x600, v1
	s_clause 0x7
	global_load_b64 v[19:20], v1, s[0:1]
	global_load_b64 v[31:32], v1, s[0:1] offset:2048
	global_load_b64 v[29:30], v1, s[0:1] offset:4096
	;; [unrolled: 1-line block ×7, first 2 shown]
	v_and_b32_e32 v7, 0x1f8, v1
	v_and_b32_e32 v60, 0x400, v1
	v_and_b32_e32 v8, 0x3f8, v1
	v_subrev_nc_u32_e64 v61, 0x400, v1 clamp
	v_min_i32_e32 v62, 0x400, v1
	v_add_nc_u32_e32 v63, 0x400, v1
	v_or_b32_e32 v67, 16, v55
	v_add_nc_u32_e32 v68, 32, v55
	v_lshlrev_b32_e32 v1, 3, v2
	v_sub_nc_u32_e32 v16, v65, v64
	v_or_b32_e32 v70, 32, v56
	v_add_nc_u32_e32 v71, 64, v56
	v_lshlrev_b32_e32 v9, 3, v3
	v_sub_nc_u32_e32 v34, v68, v67
	v_lshl_add_u32 v92, v64, 3, v1
	v_sub_nc_u32_e32 v1, v2, v16
	v_cmp_ge_i32_e64 s0, v2, v16
	v_or_b32_e32 v73, 64, v57
	v_add_nc_u32_e32 v74, 0x80, v57
	v_lshlrev_b32_e32 v10, 3, v4
	v_sub_nc_u32_e32 v36, v71, v70
	v_lshl_add_u32 v93, v67, 3, v9
	v_sub_nc_u32_e32 v9, v3, v34
	v_cndmask_b32_e64 v106, 0, v1, s0
	v_cmp_ge_i32_e64 s0, v3, v34
	v_or_b32_e32 v76, 0x80, v58
	v_add_nc_u32_e32 v77, 0x100, v58
	v_lshlrev_b32_e32 v11, 3, v5
	v_sub_nc_u32_e32 v38, v74, v73
	v_lshl_add_u32 v94, v70, 3, v10
	v_sub_nc_u32_e32 v10, v4, v36
	s_wait_alu 0xf1ff
	v_cndmask_b32_e64 v107, 0, v9, s0
	v_cmp_ge_i32_e64 s0, v4, v36
	v_or_b32_e32 v79, 0x100, v59
	v_add_nc_u32_e32 v80, 0x200, v59
	v_lshlrev_b32_e32 v12, 3, v6
	v_sub_nc_u32_e32 v40, v77, v76
	v_lshl_add_u32 v95, v73, 3, v11
	v_sub_nc_u32_e32 v11, v5, v38
	s_wait_alu 0xf1ff
	;; [unrolled: 9-line block ×3, first 2 shown]
	v_cndmask_b32_e64 v109, 0, v11, s0
	v_cmp_ge_i32_e64 s0, v6, v40
	v_lshlrev_b32_e32 v14, 3, v8
	v_sub_nc_u32_e32 v44, v83, v82
	v_lshl_add_u32 v97, v79, 3, v13
	v_sub_nc_u32_e32 v13, v7, v42
	s_wait_alu 0xf1ff
	v_cndmask_b32_e64 v110, 0, v12, s0
	v_cmp_ge_i32_e64 s0, v7, v42
	v_sub_nc_u32_e32 v15, v64, v54
	v_lshl_add_u32 v98, v82, 3, v14
	v_sub_nc_u32_e32 v14, v8, v44
	v_sub_nc_u32_e32 v41, v79, v59
	s_wait_alu 0xf1ff
	v_cndmask_b32_e64 v111, 0, v13, s0
	v_cmp_ge_i32_e64 s0, v8, v44
	v_min_i32_e32 v99, v2, v15
	v_sub_nc_u32_e32 v37, v73, v57
	v_sub_nc_u32_e32 v43, v82, v60
	;; [unrolled: 1-line block ×3, first 2 shown]
	s_wait_alu 0xf1ff
	v_cndmask_b32_e64 v112, 0, v14, s0
	v_sub_nc_u32_e32 v35, v70, v56
	v_sub_nc_u32_e32 v39, v76, v58
	v_add_nc_u32_e32 v90, v79, v7
	v_min_i32_e32 v104, v7, v41
	v_add_nc_u32_e32 v88, v73, v5
	v_add_nc_u32_e32 v91, v82, v8
	v_min_i32_e32 v102, v5, v37
	v_min_i32_e32 v105, v8, v43
	;; [unrolled: 1-line block ×5, first 2 shown]
	v_add_nc_u32_e32 v86, v67, v3
	v_add_nc_u32_e32 v89, v76, v6
	v_add_nc_u32_e32 v87, v70, v4
	v_lshlrev_b32_e32 v66, 3, v54
	v_lshlrev_b32_e32 v69, 3, v55
	v_lshlrev_b32_e32 v72, 3, v56
	v_lshlrev_b32_e32 v75, 3, v57
	v_lshlrev_b32_e32 v78, 3, v58
	v_lshlrev_b32_e32 v81, 3, v59
	v_lshlrev_b32_e32 v84, 3, v60
	v_add_nc_u32_e32 v85, v64, v2
	v_cmp_lt_i32_e64 s0, v106, v99
	v_cmp_lt_i32_e64 s1, v107, v100
	;; [unrolled: 1-line block ×7, first 2 shown]
	v_add_nc_u32_e32 v113, 0x2000, v53
	v_cmp_lt_i32_e32 vcc_lo, v61, v62
	s_wait_loadcnt 0x7
	v_add_co_u32 v15, s7, v19, 1
	s_delay_alu instid0(VALU_DEP_1)
	v_add_co_ci_u32_e64 v16, null, 0, v20, s7
	s_wait_loadcnt 0x6
	v_add_co_u32 v13, s7, v31, 1
	s_wait_alu 0xf1ff
	v_add_co_ci_u32_e64 v14, null, 0, v32, s7
	s_wait_loadcnt 0x5
	v_add_co_u32 v11, s7, v29, 1
	s_wait_alu 0xf1ff
	;; [unrolled: 4-line block ×7, first 2 shown]
	v_add_co_ci_u32_e64 v2, null, 0, v18, s7
	s_branch .LBB149_2
.LBB149_1:                              ;   in Loop: Header=BB149_2 Depth=1
	s_or_b32 exec_lo, exec_lo, s14
	s_wait_dscnt 0x0
	s_delay_alu instid0(VALU_DEP_1)
	v_cmp_lt_i64_e64 s14, v[51:52], v[49:50]
	v_cmp_le_i32_e64 s15, 0x400, v124
	v_cmp_gt_i32_e64 s16, 0x800, v123
	v_cndmask_b32_e64 v29, v29, v30, s7
	v_cndmask_b32_e64 v31, v31, v32, s8
	;; [unrolled: 1-line block ×3, first 2 shown]
	s_or_b32 s14, s15, s14
	v_cndmask_b32_e64 v116, v116, v117, s10
	s_wait_alu 0xfffe
	s_and_b32 s14, s16, s14
	v_cndmask_b32_e64 v120, v120, v121, s12
	v_cndmask_b32_e64 v118, v118, v119, s11
	s_wait_alu 0xfffe
	v_cndmask_b32_e64 v30, v124, v123, s14
	s_wait_loadcnt 0x0
	s_barrier_signal -1
	s_barrier_wait -1
	global_inv scope:SCOPE_SE
	ds_store_2addr_b64 v53, v[13:14], v[15:16] offset1:1
	ds_store_2addr_b64 v53, v[9:10], v[11:12] offset0:2 offset1:3
	ds_store_2addr_b64 v53, v[5:6], v[7:8] offset0:4 offset1:5
	ds_store_2addr_b64 v53, v[1:2], v[3:4] offset0:6 offset1:7
	v_lshlrev_b32_e32 v1, 3, v29
	v_lshlrev_b32_e32 v2, 3, v31
	;; [unrolled: 1-line block ×6, first 2 shown]
	s_wait_loadcnt_dscnt 0x0
	s_barrier_signal -1
	s_barrier_wait -1
	global_inv scope:SCOPE_SE
	v_lshlrev_b32_e32 v29, 3, v122
	v_lshlrev_b32_e32 v30, 3, v30
	ds_load_b64 v[15:16], v1
	ds_load_b64 v[13:14], v2
	;; [unrolled: 1-line block ×8, first 2 shown]
	v_cndmask_b32_e64 v20, v18, v20, s7
	v_cndmask_b32_e64 v18, v50, v52, s14
	;; [unrolled: 1-line block ×16, first 2 shown]
	s_add_co_i32 s51, s51, 1
	s_delay_alu instid0(SALU_CYCLE_1)
	s_cmp_eq_u32 s51, 10
	s_cbranch_scc1 .LBB149_258
.LBB149_2:                              ; =>This Loop Header: Depth=1
                                        ;     Child Loop BB149_4 Depth 2
                                        ;     Child Loop BB149_36 Depth 2
	;; [unrolled: 1-line block ×8, first 2 shown]
	v_cmp_lt_i64_e64 s7, v[31:32], v[19:20]
	v_cmp_lt_i64_e64 s8, v[27:28], v[29:30]
	;; [unrolled: 1-line block ×4, first 2 shown]
	s_barrier_signal -1
	s_wait_alu 0xf1ff
	v_cndmask_b32_e64 v34, v20, v32, s7
	v_cndmask_b32_e64 v36, v28, v30, s8
	;; [unrolled: 1-line block ×16, first 2 shown]
	v_cmp_lt_i64_e64 s11, v[27:28], v[19:20]
	v_cmp_lt_i64_e64 s12, v[23:24], v[35:36]
	s_barrier_wait -1
	global_inv scope:SCOPE_SE
	v_cmp_lt_i64_e64 s13, v[17:18], v[29:30]
	s_wait_alu 0xf1ff
	v_cndmask_b32_e64 v22, v28, v20, s11
	v_cndmask_b32_e64 v21, v27, v19, s11
	;; [unrolled: 1-line block ×12, first 2 shown]
	v_cmp_lt_i64_e64 s14, v[19:20], v[33:34]
	v_cmp_lt_i64_e64 s15, v[23:24], v[21:22]
	v_cmp_lt_i64_e64 s17, v[25:26], v[31:32]
	s_delay_alu instid0(VALU_DEP_4) | instskip(SKIP_1) | instid1(VALU_DEP_4)
	v_cmp_lt_i64_e64 s16, v[17:18], v[27:28]
	s_wait_alu 0xf1ff
	v_cndmask_b32_e64 v30, v34, v20, s14
	v_cndmask_b32_e64 v29, v33, v19, s14
	;; [unrolled: 1-line block ×16, first 2 shown]
	v_cmp_lt_i64_e64 s18, v[21:22], v[19:20]
	v_cmp_lt_i64_e64 s19, v[17:18], v[33:34]
	s_delay_alu instid0(VALU_DEP_3) | instskip(SKIP_1) | instid1(VALU_DEP_3)
	v_cmp_lt_i64_e64 s20, v[25:26], v[23:24]
	s_wait_alu 0xf1ff
	v_cndmask_b32_e64 v32, v22, v20, s18
	v_cndmask_b32_e64 v31, v21, v19, s18
	;; [unrolled: 1-line block ×12, first 2 shown]
	v_cmp_lt_i64_e64 s21, v[19:20], v[29:30]
	v_cmp_lt_i64_e64 s22, v[17:18], v[31:32]
	;; [unrolled: 1-line block ×3, first 2 shown]
	s_delay_alu instid0(VALU_DEP_4) | instskip(SKIP_1) | instid1(VALU_DEP_4)
	v_cmp_lt_i64_e64 s23, v[23:24], v[21:22]
	s_wait_alu 0xf1ff
	v_cndmask_b32_e64 v26, v30, v20, s21
	v_cndmask_b32_e64 v25, v29, v19, s21
	;; [unrolled: 1-line block ×16, first 2 shown]
	v_cmp_lt_i64_e64 s25, v[17:18], v[19:20]
	v_cmp_lt_i64_e64 s26, v[21:22], v[29:30]
	s_delay_alu instid0(VALU_DEP_3) | instskip(SKIP_1) | instid1(VALU_DEP_3)
	v_cmp_lt_i64_e64 s27, v[27:28], v[31:32]
	s_wait_alu 0xf1ff
	v_cndmask_b32_e64 v34, v18, v20, s25
	v_cndmask_b32_e64 v33, v17, v19, s25
	;; [unrolled: 1-line block ×12, first 2 shown]
	v_cmp_lt_i64_e64 s28, v[17:18], v[25:26]
	v_cmp_lt_i64_e64 s29, v[21:22], v[33:34]
	;; [unrolled: 1-line block ×3, first 2 shown]
	s_delay_alu instid0(VALU_DEP_4) | instskip(SKIP_1) | instid1(VALU_DEP_4)
	v_cmp_lt_i64_e64 s30, v[27:28], v[19:20]
	s_wait_alu 0xf1ff
	v_cndmask_b32_e64 v32, v18, v26, s28
	v_cndmask_b32_e64 v31, v17, v25, s28
	;; [unrolled: 1-line block ×14, first 2 shown]
	v_cmp_lt_i64_e64 s34, v[21:22], v[31:32]
	v_cndmask_b32_e64 v24, v24, v30, s31
	v_cmp_lt_i64_e64 s35, v[19:20], v[25:26]
	v_cndmask_b32_e64 v23, v23, v29, s31
	v_cmp_lt_i64_e64 s33, v[27:28], v[33:34]
	s_wait_alu 0xf1ff
	v_cndmask_b32_e64 v30, v22, v32, s34
	v_cndmask_b32_e64 v29, v21, v31, s34
	;; [unrolled: 1-line block ×12, first 2 shown]
	ds_store_2addr_b64 v53, v[17:18], v[21:22] offset1:1
	ds_store_2addr_b64 v53, v[29:30], v[19:20] offset0:2 offset1:3
	ds_store_2addr_b64 v53, v[31:32], v[27:28] offset0:4 offset1:5
	ds_store_2addr_b64 v53, v[25:26], v[23:24] offset0:6 offset1:7
	v_mov_b32_e32 v21, v106
	s_wait_loadcnt_dscnt 0x0
	s_barrier_signal -1
	s_barrier_wait -1
	global_inv scope:SCOPE_SE
	s_and_saveexec_b32 s37, s0
	s_cbranch_execz .LBB149_6
; %bb.3:                                ;   in Loop: Header=BB149_2 Depth=1
	v_mov_b32_e32 v21, v106
	v_mov_b32_e32 v17, v99
	s_mov_b32 s38, 0
.LBB149_4:                              ;   Parent Loop BB149_2 Depth=1
                                        ; =>  This Inner Loop Header: Depth=2
	s_delay_alu instid0(VALU_DEP_1) | instskip(NEXT) | instid1(VALU_DEP_1)
	v_sub_nc_u32_e32 v18, v17, v21
	v_lshrrev_b32_e32 v18, 1, v18
	s_delay_alu instid0(VALU_DEP_1) | instskip(NEXT) | instid1(VALU_DEP_1)
	v_add_nc_u32_e32 v20, v18, v21
	v_not_b32_e32 v18, v20
	v_lshl_add_u32 v19, v20, 3, v66
	s_delay_alu instid0(VALU_DEP_2)
	v_lshl_add_u32 v22, v18, 3, v92
	ds_load_b64 v[18:19], v19
	ds_load_b64 v[22:23], v22
	s_wait_dscnt 0x0
	v_cmp_lt_i64_e64 s36, v[22:23], v[18:19]
	v_add_nc_u32_e32 v18, 1, v20
	s_wait_alu 0xf1ff
	s_delay_alu instid0(VALU_DEP_2) | instskip(NEXT) | instid1(VALU_DEP_2)
	v_cndmask_b32_e64 v17, v17, v20, s36
	v_cndmask_b32_e64 v21, v18, v21, s36
	s_delay_alu instid0(VALU_DEP_1)
	v_cmp_ge_i32_e64 s36, v21, v17
	s_wait_alu 0xfffe
	s_or_b32 s38, s36, s38
	s_wait_alu 0xfffe
	s_and_not1_b32 exec_lo, exec_lo, s38
	s_cbranch_execnz .LBB149_4
; %bb.5:                                ;   in Loop: Header=BB149_2 Depth=1
	s_or_b32 exec_lo, exec_lo, s38
.LBB149_6:                              ;   in Loop: Header=BB149_2 Depth=1
	s_wait_alu 0xfffe
	s_or_b32 exec_lo, exec_lo, s37
	v_sub_nc_u32_e32 v49, v85, v21
	v_lshl_add_u32 v23, v21, 3, v66
	v_add_nc_u32_e32 v50, v21, v54
                                        ; implicit-def: $vgpr21_vgpr22
	s_delay_alu instid0(VALU_DEP_3) | instskip(SKIP_1) | instid1(VALU_DEP_3)
	v_lshlrev_b32_e32 v25, 3, v49
	v_cmp_gt_i32_e64 s38, v65, v49
	v_cmp_le_i32_e64 s37, v64, v50
	ds_load_b64 v[17:18], v23
	ds_load_b64 v[19:20], v25
	s_wait_dscnt 0x0
	v_cmp_lt_i64_e64 s36, v[19:20], v[17:18]
	s_or_b32 s36, s37, s36
	s_wait_alu 0xfffe
	s_and_b32 s36, s38, s36
	s_wait_alu 0xfffe
	s_xor_b32 s37, s36, -1
	s_wait_alu 0xfffe
	s_and_saveexec_b32 s38, s37
	s_wait_alu 0xfffe
	s_xor_b32 s37, exec_lo, s38
; %bb.7:                                ;   in Loop: Header=BB149_2 Depth=1
	ds_load_b64 v[21:22], v23 offset:8
                                        ; implicit-def: $vgpr25
; %bb.8:                                ;   in Loop: Header=BB149_2 Depth=1
	s_wait_alu 0xfffe
	s_or_saveexec_b32 s37, s37
	v_dual_mov_b32 v24, v20 :: v_dual_mov_b32 v23, v19
	s_wait_alu 0xfffe
	s_xor_b32 exec_lo, exec_lo, s37
	s_cbranch_execz .LBB149_10
; %bb.9:                                ;   in Loop: Header=BB149_2 Depth=1
	ds_load_b64 v[23:24], v25 offset:8
	s_wait_dscnt 0x1
	v_dual_mov_b32 v22, v18 :: v_dual_mov_b32 v21, v17
.LBB149_10:                             ;   in Loop: Header=BB149_2 Depth=1
	s_or_b32 exec_lo, exec_lo, s37
	v_add_nc_u32_e32 v25, 1, v50
	v_add_nc_u32_e32 v26, 1, v49
	s_wait_dscnt 0x0
	v_cmp_lt_i64_e64 s37, v[23:24], v[21:22]
	s_delay_alu instid0(VALU_DEP_3) | instskip(NEXT) | instid1(VALU_DEP_3)
	v_cndmask_b32_e64 v51, v25, v50, s36
	v_cndmask_b32_e64 v52, v49, v26, s36
                                        ; implicit-def: $vgpr25_vgpr26
	s_delay_alu instid0(VALU_DEP_2) | instskip(NEXT) | instid1(VALU_DEP_2)
	v_cmp_ge_i32_e64 s38, v51, v64
	v_cmp_lt_i32_e64 s39, v52, v65
	s_or_b32 s37, s38, s37
	s_wait_alu 0xfffe
	s_and_b32 s37, s39, s37
	s_wait_alu 0xfffe
	s_xor_b32 s38, s37, -1
	s_wait_alu 0xfffe
	s_and_saveexec_b32 s39, s38
	s_wait_alu 0xfffe
	s_xor_b32 s38, exec_lo, s39
; %bb.11:                               ;   in Loop: Header=BB149_2 Depth=1
	v_lshlrev_b32_e32 v25, 3, v51
	ds_load_b64 v[25:26], v25 offset:8
; %bb.12:                               ;   in Loop: Header=BB149_2 Depth=1
	s_wait_alu 0xfffe
	s_or_saveexec_b32 s38, s38
	v_dual_mov_b32 v28, v24 :: v_dual_mov_b32 v27, v23
	s_wait_alu 0xfffe
	s_xor_b32 exec_lo, exec_lo, s38
	s_cbranch_execz .LBB149_14
; %bb.13:                               ;   in Loop: Header=BB149_2 Depth=1
	s_wait_dscnt 0x0
	v_lshlrev_b32_e32 v25, 3, v52
	ds_load_b64 v[27:28], v25 offset:8
	v_dual_mov_b32 v26, v22 :: v_dual_mov_b32 v25, v21
.LBB149_14:                             ;   in Loop: Header=BB149_2 Depth=1
	s_or_b32 exec_lo, exec_lo, s38
	v_add_nc_u32_e32 v29, 1, v51
	v_add_nc_u32_e32 v30, 1, v52
	s_wait_dscnt 0x0
	v_cmp_lt_i64_e64 s38, v[27:28], v[25:26]
                                        ; implicit-def: $vgpr33_vgpr34
	s_delay_alu instid0(VALU_DEP_3) | instskip(NEXT) | instid1(VALU_DEP_3)
	v_cndmask_b32_e64 v114, v29, v51, s37
	v_cndmask_b32_e64 v115, v52, v30, s37
	s_delay_alu instid0(VALU_DEP_2) | instskip(NEXT) | instid1(VALU_DEP_2)
	v_cmp_ge_i32_e64 s39, v114, v64
	v_cmp_lt_i32_e64 s40, v115, v65
	s_or_b32 s38, s39, s38
	s_wait_alu 0xfffe
	s_and_b32 s38, s40, s38
	s_wait_alu 0xfffe
	s_xor_b32 s39, s38, -1
	s_wait_alu 0xfffe
	s_and_saveexec_b32 s40, s39
	s_wait_alu 0xfffe
	s_xor_b32 s39, exec_lo, s40
; %bb.15:                               ;   in Loop: Header=BB149_2 Depth=1
	v_lshlrev_b32_e32 v29, 3, v114
	ds_load_b64 v[33:34], v29 offset:8
; %bb.16:                               ;   in Loop: Header=BB149_2 Depth=1
	s_wait_alu 0xfffe
	s_or_saveexec_b32 s39, s39
	v_dual_mov_b32 v36, v28 :: v_dual_mov_b32 v35, v27
	s_wait_alu 0xfffe
	s_xor_b32 exec_lo, exec_lo, s39
	s_cbranch_execz .LBB149_18
; %bb.17:                               ;   in Loop: Header=BB149_2 Depth=1
	s_wait_dscnt 0x0
	v_dual_mov_b32 v34, v26 :: v_dual_lshlrev_b32 v29, 3, v115
	v_mov_b32_e32 v33, v25
	ds_load_b64 v[35:36], v29 offset:8
.LBB149_18:                             ;   in Loop: Header=BB149_2 Depth=1
	s_or_b32 exec_lo, exec_lo, s39
	v_add_nc_u32_e32 v29, 1, v114
	v_add_nc_u32_e32 v30, 1, v115
	s_wait_dscnt 0x0
	v_cmp_lt_i64_e64 s39, v[35:36], v[33:34]
                                        ; implicit-def: $vgpr37_vgpr38
	s_delay_alu instid0(VALU_DEP_3) | instskip(NEXT) | instid1(VALU_DEP_3)
	v_cndmask_b32_e64 v116, v29, v114, s38
	v_cndmask_b32_e64 v117, v115, v30, s38
	s_delay_alu instid0(VALU_DEP_2) | instskip(NEXT) | instid1(VALU_DEP_2)
	v_cmp_ge_i32_e64 s40, v116, v64
	v_cmp_lt_i32_e64 s41, v117, v65
	s_or_b32 s39, s40, s39
	s_wait_alu 0xfffe
	s_and_b32 s39, s41, s39
	s_wait_alu 0xfffe
	s_xor_b32 s40, s39, -1
	s_wait_alu 0xfffe
	s_and_saveexec_b32 s41, s40
	s_wait_alu 0xfffe
	s_xor_b32 s40, exec_lo, s41
; %bb.19:                               ;   in Loop: Header=BB149_2 Depth=1
	v_lshlrev_b32_e32 v29, 3, v116
	ds_load_b64 v[37:38], v29 offset:8
; %bb.20:                               ;   in Loop: Header=BB149_2 Depth=1
	s_wait_alu 0xfffe
	s_or_saveexec_b32 s40, s40
	v_dual_mov_b32 v40, v36 :: v_dual_mov_b32 v39, v35
	s_wait_alu 0xfffe
	s_xor_b32 exec_lo, exec_lo, s40
	s_cbranch_execz .LBB149_22
; %bb.21:                               ;   in Loop: Header=BB149_2 Depth=1
	s_wait_dscnt 0x0
	v_dual_mov_b32 v38, v34 :: v_dual_lshlrev_b32 v29, 3, v117
	v_mov_b32_e32 v37, v33
	ds_load_b64 v[39:40], v29 offset:8
.LBB149_22:                             ;   in Loop: Header=BB149_2 Depth=1
	s_or_b32 exec_lo, exec_lo, s40
	v_add_nc_u32_e32 v29, 1, v116
	v_add_nc_u32_e32 v30, 1, v117
	s_wait_dscnt 0x0
	v_cmp_lt_i64_e64 s40, v[39:40], v[37:38]
                                        ; implicit-def: $vgpr41_vgpr42
	s_delay_alu instid0(VALU_DEP_3) | instskip(NEXT) | instid1(VALU_DEP_3)
	v_cndmask_b32_e64 v118, v29, v116, s39
	v_cndmask_b32_e64 v119, v117, v30, s39
	s_delay_alu instid0(VALU_DEP_2) | instskip(NEXT) | instid1(VALU_DEP_2)
	v_cmp_ge_i32_e64 s41, v118, v64
	v_cmp_lt_i32_e64 s42, v119, v65
	s_or_b32 s40, s41, s40
	s_wait_alu 0xfffe
	s_and_b32 s40, s42, s40
	s_wait_alu 0xfffe
	s_xor_b32 s41, s40, -1
	s_wait_alu 0xfffe
	s_and_saveexec_b32 s42, s41
	s_wait_alu 0xfffe
	s_xor_b32 s41, exec_lo, s42
; %bb.23:                               ;   in Loop: Header=BB149_2 Depth=1
	v_lshlrev_b32_e32 v29, 3, v118
	ds_load_b64 v[41:42], v29 offset:8
; %bb.24:                               ;   in Loop: Header=BB149_2 Depth=1
	s_wait_alu 0xfffe
	s_or_saveexec_b32 s41, s41
	v_dual_mov_b32 v44, v40 :: v_dual_mov_b32 v43, v39
	s_wait_alu 0xfffe
	s_xor_b32 exec_lo, exec_lo, s41
	s_cbranch_execz .LBB149_26
; %bb.25:                               ;   in Loop: Header=BB149_2 Depth=1
	s_wait_dscnt 0x0
	v_dual_mov_b32 v42, v38 :: v_dual_lshlrev_b32 v29, 3, v119
	v_mov_b32_e32 v41, v37
	ds_load_b64 v[43:44], v29 offset:8
.LBB149_26:                             ;   in Loop: Header=BB149_2 Depth=1
	s_or_b32 exec_lo, exec_lo, s41
	v_add_nc_u32_e32 v29, 1, v118
	v_add_nc_u32_e32 v30, 1, v119
	s_wait_dscnt 0x0
	v_cmp_lt_i64_e64 s41, v[43:44], v[41:42]
                                        ; implicit-def: $vgpr45_vgpr46
	s_delay_alu instid0(VALU_DEP_3) | instskip(NEXT) | instid1(VALU_DEP_3)
	v_cndmask_b32_e64 v120, v29, v118, s40
	v_cndmask_b32_e64 v121, v119, v30, s40
	s_delay_alu instid0(VALU_DEP_2) | instskip(NEXT) | instid1(VALU_DEP_2)
	v_cmp_ge_i32_e64 s42, v120, v64
	v_cmp_lt_i32_e64 s43, v121, v65
	s_or_b32 s41, s42, s41
	s_wait_alu 0xfffe
	s_and_b32 s41, s43, s41
	s_wait_alu 0xfffe
	s_xor_b32 s42, s41, -1
	s_wait_alu 0xfffe
	s_and_saveexec_b32 s43, s42
	s_wait_alu 0xfffe
	s_xor_b32 s42, exec_lo, s43
; %bb.27:                               ;   in Loop: Header=BB149_2 Depth=1
	v_lshlrev_b32_e32 v29, 3, v120
	ds_load_b64 v[45:46], v29 offset:8
; %bb.28:                               ;   in Loop: Header=BB149_2 Depth=1
	s_wait_alu 0xfffe
	s_or_saveexec_b32 s42, s42
	v_dual_mov_b32 v48, v44 :: v_dual_mov_b32 v47, v43
	s_wait_alu 0xfffe
	s_xor_b32 exec_lo, exec_lo, s42
	s_cbranch_execz .LBB149_30
; %bb.29:                               ;   in Loop: Header=BB149_2 Depth=1
	s_wait_dscnt 0x0
	v_dual_mov_b32 v46, v42 :: v_dual_lshlrev_b32 v29, 3, v121
	v_mov_b32_e32 v45, v41
	ds_load_b64 v[47:48], v29 offset:8
.LBB149_30:                             ;   in Loop: Header=BB149_2 Depth=1
	s_or_b32 exec_lo, exec_lo, s42
	v_add_nc_u32_e32 v29, 1, v120
	v_add_nc_u32_e32 v30, 1, v121
	s_wait_dscnt 0x0
	v_cmp_lt_i64_e64 s42, v[47:48], v[45:46]
	s_delay_alu instid0(VALU_DEP_3) | instskip(NEXT) | instid1(VALU_DEP_3)
	v_cndmask_b32_e64 v122, v29, v120, s41
	v_cndmask_b32_e64 v123, v121, v30, s41
                                        ; implicit-def: $vgpr29_vgpr30
	s_delay_alu instid0(VALU_DEP_2) | instskip(NEXT) | instid1(VALU_DEP_2)
	v_cmp_ge_i32_e64 s43, v122, v64
	v_cmp_lt_i32_e64 s44, v123, v65
	s_or_b32 s42, s43, s42
	s_wait_alu 0xfffe
	s_and_b32 s42, s44, s42
	s_wait_alu 0xfffe
	s_xor_b32 s43, s42, -1
	s_wait_alu 0xfffe
	s_and_saveexec_b32 s44, s43
	s_delay_alu instid0(SALU_CYCLE_1)
	s_xor_b32 s43, exec_lo, s44
; %bb.31:                               ;   in Loop: Header=BB149_2 Depth=1
	v_lshlrev_b32_e32 v29, 3, v122
	ds_load_b64 v[29:30], v29 offset:8
; %bb.32:                               ;   in Loop: Header=BB149_2 Depth=1
	s_wait_alu 0xfffe
	s_or_saveexec_b32 s43, s43
	v_dual_mov_b32 v31, v47 :: v_dual_mov_b32 v32, v48
	s_wait_alu 0xfffe
	s_xor_b32 exec_lo, exec_lo, s43
	s_cbranch_execz .LBB149_34
; %bb.33:                               ;   in Loop: Header=BB149_2 Depth=1
	s_wait_dscnt 0x0
	v_lshlrev_b32_e32 v29, 3, v123
	ds_load_b64 v[31:32], v29 offset:8
	v_dual_mov_b32 v29, v45 :: v_dual_mov_b32 v30, v46
.LBB149_34:                             ;   in Loop: Header=BB149_2 Depth=1
	s_or_b32 exec_lo, exec_lo, s43
	v_cndmask_b32_e64 v42, v42, v44, s41
	v_cndmask_b32_e64 v26, v26, v28, s38
	v_cndmask_b32_e64 v44, v50, v49, s36
	v_cndmask_b32_e64 v28, v15, v13, s7
	v_cndmask_b32_e64 v49, v16, v14, s7
	v_cndmask_b32_e64 v14, v14, v16, s7
	v_cndmask_b32_e64 v13, v13, v15, s7
	v_cndmask_b32_e64 v15, v9, v11, s8
	v_cndmask_b32_e64 v16, v10, v12, s8
	v_cndmask_b32_e64 v10, v12, v10, s8
	v_cndmask_b32_e64 v9, v11, v9, s8
	v_cndmask_b32_e64 v11, v6, v8, s9
	v_cndmask_b32_e64 v12, v5, v7, s9
	v_cndmask_b32_e64 v5, v7, v5, s9
	v_cndmask_b32_e64 v6, v8, v6, s9
	v_cndmask_b32_e64 v7, v1, v3, s10
	v_cndmask_b32_e64 v8, v2, v4, s10
	v_cndmask_b32_e64 v2, v4, v2, s10
	v_cndmask_b32_e64 v1, v3, v1, s10
	v_cndmask_b32_e64 v3, v9, v13, s11
	v_cndmask_b32_e64 v4, v10, v14, s11
	v_cndmask_b32_e64 v9, v13, v9, s11
	v_cndmask_b32_e64 v10, v14, v10, s11
	v_cndmask_b32_e64 v13, v6, v16, s12
	v_cndmask_b32_e64 v14, v5, v15, s12
	v_cndmask_b32_e64 v5, v15, v5, s12
	v_cndmask_b32_e64 v6, v16, v6, s12
	v_cndmask_b32_e64 v15, v1, v12, s13
	v_cndmask_b32_e64 v16, v2, v11, s13
	v_cndmask_b32_e64 v2, v11, v2, s13
	v_cndmask_b32_e64 v1, v12, v1, s13
	v_cndmask_b32_e64 v11, v49, v10, s14
	v_cndmask_b32_e64 v12, v28, v9, s14
	v_cndmask_b32_e64 v9, v9, v28, s14
	v_cndmask_b32_e64 v10, v10, v49, s14
	v_cndmask_b32_e64 v28, v6, v4, s15
	v_cndmask_b32_e64 v49, v5, v3, s15
	v_cndmask_b32_e64 v3, v3, v5, s15
	v_cndmask_b32_e64 v4, v4, v6, s15
	v_cndmask_b32_e64 v5, v1, v14, s16
	v_cndmask_b32_e64 v6, v2, v13, s16
	v_cndmask_b32_e64 v2, v13, v2, s16
	v_cndmask_b32_e64 v1, v14, v1, s16
	v_cndmask_b32_e64 v13, v8, v16, s17
	v_cndmask_b32_e64 v14, v7, v15, s17
	v_cndmask_b32_e64 v7, v15, v7, s17
	v_cndmask_b32_e64 v8, v16, v8, s17
	v_cndmask_b32_e64 v15, v4, v10, s18
	v_cndmask_b32_e64 v16, v3, v9, s18
	v_cndmask_b32_e64 v4, v10, v4, s18
	v_cndmask_b32_e64 v3, v9, v3, s18
	v_cndmask_b32_e64 v9, v1, v49, s19
	v_cndmask_b32_e64 v10, v2, v28, s19
	v_cndmask_b32_e64 v2, v28, v2, s19
	v_cndmask_b32_e64 v1, v49, v1, s19
	v_cndmask_b32_e64 v28, v8, v6, s20
	v_cndmask_b32_e64 v49, v7, v5, s20
	v_cndmask_b32_e64 v5, v5, v7, s20
	v_cndmask_b32_e64 v6, v6, v8, s20
	v_cndmask_b32_e64 v7, v12, v3, s21
	v_cndmask_b32_e64 v8, v11, v4, s21
	v_cndmask_b32_e64 v3, v3, v12, s21
	v_cndmask_b32_e64 v4, v4, v11, s21
	v_cndmask_b32_e64 v11, v1, v16, s22
	v_cndmask_b32_e64 v12, v2, v15, s22
	v_cndmask_b32_e64 v1, v16, v1, s22
	v_cndmask_b32_e64 v2, v15, v2, s22
	v_cndmask_b32_e64 v15, v6, v10, s23
	v_cndmask_b32_e64 v16, v5, v9, s23
	v_cndmask_b32_e64 v5, v9, v5, s23
	v_cndmask_b32_e64 v6, v10, v6, s23
	v_add_nc_u32_e32 v125, 1, v122
	v_cndmask_b32_e64 v9, v14, v49, s24
	v_cndmask_b32_e64 v10, v13, v28, s24
	;; [unrolled: 1-line block ×4, first 2 shown]
	v_add_nc_u32_e32 v124, 1, v123
	v_cndmask_b32_e64 v38, v38, v40, s40
	v_cndmask_b32_e64 v40, v51, v52, s37
	;; [unrolled: 1-line block ×26, first 2 shown]
	s_wait_dscnt 0x0
	v_cmp_lt_i64_e64 s7, v[31:32], v[29:30]
	v_cndmask_b32_e64 v34, v34, v36, s39
	v_cndmask_b32_e64 v36, v114, v115, s38
	;; [unrolled: 1-line block ×6, first 2 shown]
	v_cmp_ge_i32_e64 s8, v48, v64
	v_cndmask_b32_e64 v50, v11, v9, s31
	v_cndmask_b32_e64 v51, v12, v10, s31
	v_cmp_lt_i32_e64 s9, v47, v65
	v_cndmask_b32_e64 v6, v28, v8, s34
	v_cndmask_b32_e64 v5, v49, v7, s34
	;; [unrolled: 1-line block ×8, first 2 shown]
	s_or_b32 s7, s8, s7
	v_cndmask_b32_e64 v10, v13, v16, s35
	v_cndmask_b32_e64 v9, v14, v15, s35
	;; [unrolled: 1-line block ×8, first 2 shown]
	s_wait_alu 0xfffe
	s_and_b32 s7, s9, s7
	v_cndmask_b32_e64 v41, v41, v43, s41
	v_cndmask_b32_e64 v43, v120, v121, s41
	;; [unrolled: 1-line block ×5, first 2 shown]
	s_wait_alu 0xfffe
	v_cndmask_b32_e64 v28, v30, v32, s7
	v_cndmask_b32_e64 v30, v48, v47, s7
	s_wait_loadcnt 0x0
	s_barrier_signal -1
	s_barrier_wait -1
	global_inv scope:SCOPE_SE
	ds_store_2addr_b64 v53, v[1:2], v[7:8] offset1:1
	ds_store_2addr_b64 v53, v[5:6], v[11:12] offset0:2 offset1:3
	ds_store_2addr_b64 v53, v[9:10], v[15:16] offset0:4 offset1:5
	;; [unrolled: 1-line block ×3, first 2 shown]
	v_lshlrev_b32_e32 v1, 3, v44
	v_lshlrev_b32_e32 v2, 3, v40
	;; [unrolled: 1-line block ×6, first 2 shown]
	s_wait_loadcnt_dscnt 0x0
	s_barrier_signal -1
	s_barrier_wait -1
	global_inv scope:SCOPE_SE
	v_lshlrev_b32_e32 v32, 3, v122
	v_lshlrev_b32_e32 v30, 3, v30
	ds_load_b64 v[13:14], v1
	ds_load_b64 v[15:16], v2
	;; [unrolled: 1-line block ×8, first 2 shown]
	v_cndmask_b32_e64 v22, v22, v24, s37
	v_cndmask_b32_e64 v21, v21, v23, s37
	v_cndmask_b32_e64 v18, v18, v20, s36
	v_cndmask_b32_e64 v17, v17, v19, s36
	v_cndmask_b32_e64 v25, v25, v27, s38
	v_cndmask_b32_e64 v27, v29, v31, s7
	s_wait_loadcnt_dscnt 0x0
	s_barrier_signal -1
	s_barrier_wait -1
	global_inv scope:SCOPE_SE
	ds_store_2addr_b64 v53, v[17:18], v[21:22] offset1:1
	ds_store_2addr_b64 v53, v[25:26], v[33:34] offset0:2 offset1:3
	ds_store_2addr_b64 v53, v[37:38], v[41:42] offset0:4 offset1:5
	;; [unrolled: 1-line block ×3, first 2 shown]
	v_mov_b32_e32 v21, v107
	s_wait_loadcnt_dscnt 0x0
	s_barrier_signal -1
	s_barrier_wait -1
	global_inv scope:SCOPE_SE
	s_and_saveexec_b32 s8, s1
	s_cbranch_execz .LBB149_38
; %bb.35:                               ;   in Loop: Header=BB149_2 Depth=1
	v_mov_b32_e32 v21, v107
	v_mov_b32_e32 v17, v100
	s_mov_b32 s9, 0
.LBB149_36:                             ;   Parent Loop BB149_2 Depth=1
                                        ; =>  This Inner Loop Header: Depth=2
	s_delay_alu instid0(VALU_DEP_1) | instskip(NEXT) | instid1(VALU_DEP_1)
	v_sub_nc_u32_e32 v18, v17, v21
	v_lshrrev_b32_e32 v18, 1, v18
	s_delay_alu instid0(VALU_DEP_1) | instskip(NEXT) | instid1(VALU_DEP_1)
	v_add_nc_u32_e32 v20, v18, v21
	v_not_b32_e32 v18, v20
	v_lshl_add_u32 v19, v20, 3, v69
	s_delay_alu instid0(VALU_DEP_2)
	v_lshl_add_u32 v22, v18, 3, v93
	ds_load_b64 v[18:19], v19
	ds_load_b64 v[22:23], v22
	s_wait_dscnt 0x0
	v_cmp_lt_i64_e64 s7, v[22:23], v[18:19]
	v_add_nc_u32_e32 v18, 1, v20
	s_wait_alu 0xf1ff
	s_delay_alu instid0(VALU_DEP_2) | instskip(NEXT) | instid1(VALU_DEP_2)
	v_cndmask_b32_e64 v17, v17, v20, s7
	v_cndmask_b32_e64 v21, v18, v21, s7
	s_delay_alu instid0(VALU_DEP_1)
	v_cmp_ge_i32_e64 s7, v21, v17
	s_wait_alu 0xfffe
	s_or_b32 s9, s7, s9
	s_wait_alu 0xfffe
	s_and_not1_b32 exec_lo, exec_lo, s9
	s_cbranch_execnz .LBB149_36
; %bb.37:                               ;   in Loop: Header=BB149_2 Depth=1
	s_or_b32 exec_lo, exec_lo, s9
.LBB149_38:                             ;   in Loop: Header=BB149_2 Depth=1
	s_wait_alu 0xfffe
	s_or_b32 exec_lo, exec_lo, s8
	v_sub_nc_u32_e32 v49, v86, v21
	v_lshl_add_u32 v23, v21, 3, v69
	v_add_nc_u32_e32 v50, v21, v55
                                        ; implicit-def: $vgpr21_vgpr22
	s_delay_alu instid0(VALU_DEP_3) | instskip(SKIP_1) | instid1(VALU_DEP_3)
	v_lshlrev_b32_e32 v25, 3, v49
	v_cmp_gt_i32_e64 s9, v68, v49
	v_cmp_le_i32_e64 s8, v67, v50
	ds_load_b64 v[17:18], v23
	ds_load_b64 v[19:20], v25
	s_wait_dscnt 0x0
	v_cmp_lt_i64_e64 s7, v[19:20], v[17:18]
	s_or_b32 s7, s8, s7
	s_wait_alu 0xfffe
	s_and_b32 s7, s9, s7
	s_wait_alu 0xfffe
	s_xor_b32 s8, s7, -1
	s_wait_alu 0xfffe
	s_and_saveexec_b32 s9, s8
	s_wait_alu 0xfffe
	s_xor_b32 s8, exec_lo, s9
; %bb.39:                               ;   in Loop: Header=BB149_2 Depth=1
	ds_load_b64 v[21:22], v23 offset:8
                                        ; implicit-def: $vgpr25
; %bb.40:                               ;   in Loop: Header=BB149_2 Depth=1
	s_wait_alu 0xfffe
	s_or_saveexec_b32 s8, s8
	v_dual_mov_b32 v24, v20 :: v_dual_mov_b32 v23, v19
	s_wait_alu 0xfffe
	s_xor_b32 exec_lo, exec_lo, s8
	s_cbranch_execz .LBB149_42
; %bb.41:                               ;   in Loop: Header=BB149_2 Depth=1
	ds_load_b64 v[23:24], v25 offset:8
	s_wait_dscnt 0x1
	v_dual_mov_b32 v22, v18 :: v_dual_mov_b32 v21, v17
.LBB149_42:                             ;   in Loop: Header=BB149_2 Depth=1
	s_or_b32 exec_lo, exec_lo, s8
	v_add_nc_u32_e32 v25, 1, v50
	v_add_nc_u32_e32 v26, 1, v49
	s_wait_dscnt 0x0
	v_cmp_lt_i64_e64 s8, v[23:24], v[21:22]
	s_delay_alu instid0(VALU_DEP_3) | instskip(NEXT) | instid1(VALU_DEP_3)
	v_cndmask_b32_e64 v51, v25, v50, s7
	v_cndmask_b32_e64 v52, v49, v26, s7
                                        ; implicit-def: $vgpr25_vgpr26
	s_delay_alu instid0(VALU_DEP_2) | instskip(NEXT) | instid1(VALU_DEP_2)
	v_cmp_ge_i32_e64 s9, v51, v67
	v_cmp_lt_i32_e64 s10, v52, v68
	s_or_b32 s8, s9, s8
	s_wait_alu 0xfffe
	s_and_b32 s8, s10, s8
	s_wait_alu 0xfffe
	s_xor_b32 s9, s8, -1
	s_wait_alu 0xfffe
	s_and_saveexec_b32 s10, s9
	s_wait_alu 0xfffe
	s_xor_b32 s9, exec_lo, s10
; %bb.43:                               ;   in Loop: Header=BB149_2 Depth=1
	v_lshlrev_b32_e32 v25, 3, v51
	ds_load_b64 v[25:26], v25 offset:8
; %bb.44:                               ;   in Loop: Header=BB149_2 Depth=1
	s_wait_alu 0xfffe
	s_or_saveexec_b32 s9, s9
	v_dual_mov_b32 v28, v24 :: v_dual_mov_b32 v27, v23
	s_wait_alu 0xfffe
	s_xor_b32 exec_lo, exec_lo, s9
	s_cbranch_execz .LBB149_46
; %bb.45:                               ;   in Loop: Header=BB149_2 Depth=1
	s_wait_dscnt 0x0
	v_lshlrev_b32_e32 v25, 3, v52
	ds_load_b64 v[27:28], v25 offset:8
	v_dual_mov_b32 v26, v22 :: v_dual_mov_b32 v25, v21
.LBB149_46:                             ;   in Loop: Header=BB149_2 Depth=1
	s_or_b32 exec_lo, exec_lo, s9
	v_add_nc_u32_e32 v29, 1, v51
	v_add_nc_u32_e32 v30, 1, v52
	s_wait_dscnt 0x0
	v_cmp_lt_i64_e64 s9, v[27:28], v[25:26]
	s_delay_alu instid0(VALU_DEP_3) | instskip(NEXT) | instid1(VALU_DEP_3)
	v_cndmask_b32_e64 v114, v29, v51, s8
	v_cndmask_b32_e64 v115, v52, v30, s8
                                        ; implicit-def: $vgpr29_vgpr30
	s_delay_alu instid0(VALU_DEP_2) | instskip(NEXT) | instid1(VALU_DEP_2)
	v_cmp_ge_i32_e64 s10, v114, v67
	v_cmp_lt_i32_e64 s11, v115, v68
	s_or_b32 s9, s10, s9
	s_wait_alu 0xfffe
	s_and_b32 s9, s11, s9
	s_wait_alu 0xfffe
	s_xor_b32 s10, s9, -1
	s_wait_alu 0xfffe
	s_and_saveexec_b32 s11, s10
	s_wait_alu 0xfffe
	s_xor_b32 s10, exec_lo, s11
; %bb.47:                               ;   in Loop: Header=BB149_2 Depth=1
	v_lshlrev_b32_e32 v29, 3, v114
	ds_load_b64 v[29:30], v29 offset:8
; %bb.48:                               ;   in Loop: Header=BB149_2 Depth=1
	s_wait_alu 0xfffe
	s_or_saveexec_b32 s10, s10
	v_dual_mov_b32 v32, v28 :: v_dual_mov_b32 v31, v27
	s_wait_alu 0xfffe
	s_xor_b32 exec_lo, exec_lo, s10
	s_cbranch_execz .LBB149_50
; %bb.49:                               ;   in Loop: Header=BB149_2 Depth=1
	s_wait_dscnt 0x0
	v_lshlrev_b32_e32 v29, 3, v115
	ds_load_b64 v[31:32], v29 offset:8
	v_dual_mov_b32 v30, v26 :: v_dual_mov_b32 v29, v25
.LBB149_50:                             ;   in Loop: Header=BB149_2 Depth=1
	s_or_b32 exec_lo, exec_lo, s10
	v_add_nc_u32_e32 v33, 1, v114
	v_add_nc_u32_e32 v34, 1, v115
	s_wait_dscnt 0x0
	v_cmp_lt_i64_e64 s10, v[31:32], v[29:30]
	s_delay_alu instid0(VALU_DEP_3) | instskip(NEXT) | instid1(VALU_DEP_3)
	v_cndmask_b32_e64 v116, v33, v114, s9
	v_cndmask_b32_e64 v117, v115, v34, s9
                                        ; implicit-def: $vgpr33_vgpr34
	s_delay_alu instid0(VALU_DEP_2) | instskip(NEXT) | instid1(VALU_DEP_2)
	v_cmp_ge_i32_e64 s11, v116, v67
	v_cmp_lt_i32_e64 s12, v117, v68
	s_or_b32 s10, s11, s10
	s_wait_alu 0xfffe
	s_and_b32 s10, s12, s10
	s_wait_alu 0xfffe
	s_xor_b32 s11, s10, -1
	s_wait_alu 0xfffe
	s_and_saveexec_b32 s12, s11
	s_wait_alu 0xfffe
	s_xor_b32 s11, exec_lo, s12
; %bb.51:                               ;   in Loop: Header=BB149_2 Depth=1
	v_lshlrev_b32_e32 v33, 3, v116
	ds_load_b64 v[33:34], v33 offset:8
; %bb.52:                               ;   in Loop: Header=BB149_2 Depth=1
	s_wait_alu 0xfffe
	s_or_saveexec_b32 s11, s11
	v_dual_mov_b32 v36, v32 :: v_dual_mov_b32 v35, v31
	s_wait_alu 0xfffe
	s_xor_b32 exec_lo, exec_lo, s11
	s_cbranch_execz .LBB149_54
; %bb.53:                               ;   in Loop: Header=BB149_2 Depth=1
	s_wait_dscnt 0x0
	v_lshlrev_b32_e32 v33, 3, v117
	ds_load_b64 v[35:36], v33 offset:8
	v_dual_mov_b32 v34, v30 :: v_dual_mov_b32 v33, v29
.LBB149_54:                             ;   in Loop: Header=BB149_2 Depth=1
	s_or_b32 exec_lo, exec_lo, s11
	v_add_nc_u32_e32 v37, 1, v116
	v_add_nc_u32_e32 v38, 1, v117
	s_wait_dscnt 0x0
	v_cmp_lt_i64_e64 s11, v[35:36], v[33:34]
                                        ; implicit-def: $vgpr39_vgpr40
	s_delay_alu instid0(VALU_DEP_3) | instskip(NEXT) | instid1(VALU_DEP_3)
	v_cndmask_b32_e64 v118, v37, v116, s10
	v_cndmask_b32_e64 v119, v117, v38, s10
	s_delay_alu instid0(VALU_DEP_2) | instskip(NEXT) | instid1(VALU_DEP_2)
	v_cmp_ge_i32_e64 s12, v118, v67
	v_cmp_lt_i32_e64 s13, v119, v68
	s_or_b32 s11, s12, s11
	s_wait_alu 0xfffe
	s_and_b32 s11, s13, s11
	s_wait_alu 0xfffe
	s_xor_b32 s12, s11, -1
	s_wait_alu 0xfffe
	s_and_saveexec_b32 s13, s12
	s_wait_alu 0xfffe
	s_xor_b32 s12, exec_lo, s13
; %bb.55:                               ;   in Loop: Header=BB149_2 Depth=1
	v_lshlrev_b32_e32 v37, 3, v118
	ds_load_b64 v[39:40], v37 offset:8
; %bb.56:                               ;   in Loop: Header=BB149_2 Depth=1
	s_wait_alu 0xfffe
	s_or_saveexec_b32 s12, s12
	v_dual_mov_b32 v44, v36 :: v_dual_mov_b32 v43, v35
	s_wait_alu 0xfffe
	s_xor_b32 exec_lo, exec_lo, s12
	s_cbranch_execz .LBB149_58
; %bb.57:                               ;   in Loop: Header=BB149_2 Depth=1
	s_wait_dscnt 0x0
	v_dual_mov_b32 v40, v34 :: v_dual_lshlrev_b32 v37, 3, v119
	v_mov_b32_e32 v39, v33
	ds_load_b64 v[43:44], v37 offset:8
.LBB149_58:                             ;   in Loop: Header=BB149_2 Depth=1
	s_or_b32 exec_lo, exec_lo, s12
	v_add_nc_u32_e32 v37, 1, v118
	v_add_nc_u32_e32 v38, 1, v119
	s_wait_dscnt 0x0
	v_cmp_lt_i64_e64 s12, v[43:44], v[39:40]
                                        ; implicit-def: $vgpr45_vgpr46
	s_delay_alu instid0(VALU_DEP_3) | instskip(NEXT) | instid1(VALU_DEP_3)
	v_cndmask_b32_e64 v120, v37, v118, s11
	v_cndmask_b32_e64 v121, v119, v38, s11
	s_delay_alu instid0(VALU_DEP_2) | instskip(NEXT) | instid1(VALU_DEP_2)
	v_cmp_ge_i32_e64 s13, v120, v67
	v_cmp_lt_i32_e64 s14, v121, v68
	s_or_b32 s12, s13, s12
	s_wait_alu 0xfffe
	s_and_b32 s12, s14, s12
	s_wait_alu 0xfffe
	s_xor_b32 s13, s12, -1
	s_wait_alu 0xfffe
	s_and_saveexec_b32 s14, s13
	s_wait_alu 0xfffe
	s_xor_b32 s13, exec_lo, s14
; %bb.59:                               ;   in Loop: Header=BB149_2 Depth=1
	v_lshlrev_b32_e32 v37, 3, v120
	ds_load_b64 v[45:46], v37 offset:8
; %bb.60:                               ;   in Loop: Header=BB149_2 Depth=1
	s_wait_alu 0xfffe
	s_or_saveexec_b32 s13, s13
	v_dual_mov_b32 v48, v44 :: v_dual_mov_b32 v47, v43
	s_wait_alu 0xfffe
	s_xor_b32 exec_lo, exec_lo, s13
	s_cbranch_execz .LBB149_62
; %bb.61:                               ;   in Loop: Header=BB149_2 Depth=1
	s_wait_dscnt 0x0
	v_dual_mov_b32 v46, v40 :: v_dual_lshlrev_b32 v37, 3, v121
	v_mov_b32_e32 v45, v39
	ds_load_b64 v[47:48], v37 offset:8
.LBB149_62:                             ;   in Loop: Header=BB149_2 Depth=1
	s_or_b32 exec_lo, exec_lo, s13
	v_add_nc_u32_e32 v37, 1, v120
	v_add_nc_u32_e32 v38, 1, v121
	s_wait_dscnt 0x0
	v_cmp_lt_i64_e64 s13, v[47:48], v[45:46]
	s_delay_alu instid0(VALU_DEP_3) | instskip(NEXT) | instid1(VALU_DEP_3)
	v_cndmask_b32_e64 v122, v37, v120, s12
	v_cndmask_b32_e64 v123, v121, v38, s12
                                        ; implicit-def: $vgpr37_vgpr38
	s_delay_alu instid0(VALU_DEP_2) | instskip(NEXT) | instid1(VALU_DEP_2)
	v_cmp_ge_i32_e64 s14, v122, v67
	v_cmp_lt_i32_e64 s15, v123, v68
	s_or_b32 s13, s14, s13
	s_wait_alu 0xfffe
	s_and_b32 s13, s15, s13
	s_wait_alu 0xfffe
	s_xor_b32 s14, s13, -1
	s_wait_alu 0xfffe
	s_and_saveexec_b32 s15, s14
	s_wait_alu 0xfffe
	s_xor_b32 s14, exec_lo, s15
; %bb.63:                               ;   in Loop: Header=BB149_2 Depth=1
	v_lshlrev_b32_e32 v37, 3, v122
	ds_load_b64 v[37:38], v37 offset:8
; %bb.64:                               ;   in Loop: Header=BB149_2 Depth=1
	s_wait_alu 0xfffe
	s_or_saveexec_b32 s14, s14
	v_dual_mov_b32 v41, v47 :: v_dual_mov_b32 v42, v48
	s_wait_alu 0xfffe
	s_xor_b32 exec_lo, exec_lo, s14
	s_cbranch_execz .LBB149_66
; %bb.65:                               ;   in Loop: Header=BB149_2 Depth=1
	s_wait_dscnt 0x0
	v_lshlrev_b32_e32 v37, 3, v123
	ds_load_b64 v[41:42], v37 offset:8
	v_dual_mov_b32 v37, v45 :: v_dual_mov_b32 v38, v46
.LBB149_66:                             ;   in Loop: Header=BB149_2 Depth=1
	s_or_b32 exec_lo, exec_lo, s14
	v_add_nc_u32_e32 v125, 1, v122
	v_add_nc_u32_e32 v124, 1, v123
	v_cndmask_b32_e64 v46, v46, v48, s13
	v_cndmask_b32_e64 v45, v45, v47, s13
	;; [unrolled: 1-line block ×7, first 2 shown]
	s_wait_dscnt 0x0
	v_cmp_lt_i64_e64 s10, v[41:42], v[37:38]
	v_cndmask_b32_e64 v34, v34, v36, s11
	v_cndmask_b32_e64 v33, v33, v35, s11
	;; [unrolled: 1-line block ×3, first 2 shown]
	v_cmp_ge_i32_e64 s11, v48, v67
	v_cndmask_b32_e64 v40, v40, v44, s12
	v_cndmask_b32_e64 v39, v39, v43, s12
	;; [unrolled: 1-line block ×3, first 2 shown]
	v_cmp_lt_i32_e64 s12, v47, v68
	v_cndmask_b32_e64 v44, v50, v49, s7
	v_cndmask_b32_e64 v36, v51, v52, s8
	s_or_b32 s10, s11, s10
	v_cndmask_b32_e64 v32, v114, v115, s9
	s_wait_alu 0xfffe
	s_and_b32 s10, s12, s10
	v_cndmask_b32_e64 v122, v122, v123, s13
	v_cndmask_b32_e64 v26, v26, v28, s9
	s_wait_alu 0xfffe
	v_cndmask_b32_e64 v28, v38, v42, s10
	v_cndmask_b32_e64 v38, v48, v47, s10
	s_wait_loadcnt 0x0
	s_barrier_signal -1
	s_barrier_wait -1
	global_inv scope:SCOPE_SE
	ds_store_2addr_b64 v53, v[13:14], v[15:16] offset1:1
	ds_store_2addr_b64 v53, v[9:10], v[11:12] offset0:2 offset1:3
	ds_store_2addr_b64 v53, v[5:6], v[7:8] offset0:4 offset1:5
	;; [unrolled: 1-line block ×3, first 2 shown]
	v_lshlrev_b32_e32 v1, 3, v44
	v_lshlrev_b32_e32 v2, 3, v36
	;; [unrolled: 1-line block ×6, first 2 shown]
	s_wait_loadcnt_dscnt 0x0
	s_barrier_signal -1
	s_barrier_wait -1
	global_inv scope:SCOPE_SE
	v_lshlrev_b32_e32 v31, 3, v122
	v_lshlrev_b32_e32 v32, 3, v38
	ds_load_b64 v[13:14], v1
	ds_load_b64 v[15:16], v2
	;; [unrolled: 1-line block ×8, first 2 shown]
	v_cndmask_b32_e64 v22, v22, v24, s8
	v_cndmask_b32_e64 v21, v21, v23, s8
	;; [unrolled: 1-line block ×6, first 2 shown]
	s_wait_loadcnt_dscnt 0x0
	s_barrier_signal -1
	s_barrier_wait -1
	global_inv scope:SCOPE_SE
	ds_store_2addr_b64 v53, v[17:18], v[21:22] offset1:1
	ds_store_2addr_b64 v53, v[25:26], v[29:30] offset0:2 offset1:3
	ds_store_2addr_b64 v53, v[33:34], v[39:40] offset0:4 offset1:5
	;; [unrolled: 1-line block ×3, first 2 shown]
	v_mov_b32_e32 v21, v108
	s_wait_loadcnt_dscnt 0x0
	s_barrier_signal -1
	s_barrier_wait -1
	global_inv scope:SCOPE_SE
	s_and_saveexec_b32 s8, s2
	s_cbranch_execz .LBB149_70
; %bb.67:                               ;   in Loop: Header=BB149_2 Depth=1
	v_mov_b32_e32 v21, v108
	v_mov_b32_e32 v17, v101
	s_mov_b32 s9, 0
.LBB149_68:                             ;   Parent Loop BB149_2 Depth=1
                                        ; =>  This Inner Loop Header: Depth=2
	s_delay_alu instid0(VALU_DEP_1) | instskip(NEXT) | instid1(VALU_DEP_1)
	v_sub_nc_u32_e32 v18, v17, v21
	v_lshrrev_b32_e32 v18, 1, v18
	s_delay_alu instid0(VALU_DEP_1) | instskip(NEXT) | instid1(VALU_DEP_1)
	v_add_nc_u32_e32 v20, v18, v21
	v_not_b32_e32 v18, v20
	v_lshl_add_u32 v19, v20, 3, v72
	s_delay_alu instid0(VALU_DEP_2)
	v_lshl_add_u32 v22, v18, 3, v94
	ds_load_b64 v[18:19], v19
	ds_load_b64 v[22:23], v22
	s_wait_dscnt 0x0
	v_cmp_lt_i64_e64 s7, v[22:23], v[18:19]
	v_add_nc_u32_e32 v18, 1, v20
	s_wait_alu 0xf1ff
	s_delay_alu instid0(VALU_DEP_2) | instskip(NEXT) | instid1(VALU_DEP_2)
	v_cndmask_b32_e64 v17, v17, v20, s7
	v_cndmask_b32_e64 v21, v18, v21, s7
	s_delay_alu instid0(VALU_DEP_1)
	v_cmp_ge_i32_e64 s7, v21, v17
	s_wait_alu 0xfffe
	s_or_b32 s9, s7, s9
	s_wait_alu 0xfffe
	s_and_not1_b32 exec_lo, exec_lo, s9
	s_cbranch_execnz .LBB149_68
; %bb.69:                               ;   in Loop: Header=BB149_2 Depth=1
	s_or_b32 exec_lo, exec_lo, s9
.LBB149_70:                             ;   in Loop: Header=BB149_2 Depth=1
	s_wait_alu 0xfffe
	s_or_b32 exec_lo, exec_lo, s8
	v_sub_nc_u32_e32 v49, v87, v21
	v_lshl_add_u32 v23, v21, 3, v72
	v_add_nc_u32_e32 v50, v21, v56
                                        ; implicit-def: $vgpr21_vgpr22
	s_delay_alu instid0(VALU_DEP_3) | instskip(SKIP_1) | instid1(VALU_DEP_3)
	v_lshlrev_b32_e32 v25, 3, v49
	v_cmp_gt_i32_e64 s9, v71, v49
	v_cmp_le_i32_e64 s8, v70, v50
	ds_load_b64 v[17:18], v23
	ds_load_b64 v[19:20], v25
	s_wait_dscnt 0x0
	v_cmp_lt_i64_e64 s7, v[19:20], v[17:18]
	s_or_b32 s7, s8, s7
	s_wait_alu 0xfffe
	s_and_b32 s7, s9, s7
	s_wait_alu 0xfffe
	s_xor_b32 s8, s7, -1
	s_wait_alu 0xfffe
	s_and_saveexec_b32 s9, s8
	s_wait_alu 0xfffe
	s_xor_b32 s8, exec_lo, s9
; %bb.71:                               ;   in Loop: Header=BB149_2 Depth=1
	ds_load_b64 v[21:22], v23 offset:8
                                        ; implicit-def: $vgpr25
; %bb.72:                               ;   in Loop: Header=BB149_2 Depth=1
	s_wait_alu 0xfffe
	s_or_saveexec_b32 s8, s8
	v_dual_mov_b32 v24, v20 :: v_dual_mov_b32 v23, v19
	s_wait_alu 0xfffe
	s_xor_b32 exec_lo, exec_lo, s8
	s_cbranch_execz .LBB149_74
; %bb.73:                               ;   in Loop: Header=BB149_2 Depth=1
	ds_load_b64 v[23:24], v25 offset:8
	s_wait_dscnt 0x1
	v_dual_mov_b32 v22, v18 :: v_dual_mov_b32 v21, v17
.LBB149_74:                             ;   in Loop: Header=BB149_2 Depth=1
	s_or_b32 exec_lo, exec_lo, s8
	v_add_nc_u32_e32 v25, 1, v50
	v_add_nc_u32_e32 v26, 1, v49
	s_wait_dscnt 0x0
	v_cmp_lt_i64_e64 s8, v[23:24], v[21:22]
	s_delay_alu instid0(VALU_DEP_3) | instskip(NEXT) | instid1(VALU_DEP_3)
	v_cndmask_b32_e64 v51, v25, v50, s7
	v_cndmask_b32_e64 v52, v49, v26, s7
                                        ; implicit-def: $vgpr25_vgpr26
	s_delay_alu instid0(VALU_DEP_2) | instskip(NEXT) | instid1(VALU_DEP_2)
	v_cmp_ge_i32_e64 s9, v51, v70
	v_cmp_lt_i32_e64 s10, v52, v71
	s_or_b32 s8, s9, s8
	s_wait_alu 0xfffe
	s_and_b32 s8, s10, s8
	s_wait_alu 0xfffe
	s_xor_b32 s9, s8, -1
	s_wait_alu 0xfffe
	s_and_saveexec_b32 s10, s9
	s_wait_alu 0xfffe
	s_xor_b32 s9, exec_lo, s10
; %bb.75:                               ;   in Loop: Header=BB149_2 Depth=1
	v_lshlrev_b32_e32 v25, 3, v51
	ds_load_b64 v[25:26], v25 offset:8
; %bb.76:                               ;   in Loop: Header=BB149_2 Depth=1
	s_wait_alu 0xfffe
	s_or_saveexec_b32 s9, s9
	v_dual_mov_b32 v28, v24 :: v_dual_mov_b32 v27, v23
	s_wait_alu 0xfffe
	s_xor_b32 exec_lo, exec_lo, s9
	s_cbranch_execz .LBB149_78
; %bb.77:                               ;   in Loop: Header=BB149_2 Depth=1
	s_wait_dscnt 0x0
	v_lshlrev_b32_e32 v25, 3, v52
	ds_load_b64 v[27:28], v25 offset:8
	v_dual_mov_b32 v26, v22 :: v_dual_mov_b32 v25, v21
.LBB149_78:                             ;   in Loop: Header=BB149_2 Depth=1
	s_or_b32 exec_lo, exec_lo, s9
	v_add_nc_u32_e32 v29, 1, v51
	v_add_nc_u32_e32 v30, 1, v52
	s_wait_dscnt 0x0
	v_cmp_lt_i64_e64 s9, v[27:28], v[25:26]
	s_delay_alu instid0(VALU_DEP_3) | instskip(NEXT) | instid1(VALU_DEP_3)
	v_cndmask_b32_e64 v114, v29, v51, s8
	v_cndmask_b32_e64 v115, v52, v30, s8
                                        ; implicit-def: $vgpr29_vgpr30
	s_delay_alu instid0(VALU_DEP_2) | instskip(NEXT) | instid1(VALU_DEP_2)
	v_cmp_ge_i32_e64 s10, v114, v70
	v_cmp_lt_i32_e64 s11, v115, v71
	s_or_b32 s9, s10, s9
	s_wait_alu 0xfffe
	s_and_b32 s9, s11, s9
	s_wait_alu 0xfffe
	s_xor_b32 s10, s9, -1
	s_wait_alu 0xfffe
	s_and_saveexec_b32 s11, s10
	s_wait_alu 0xfffe
	s_xor_b32 s10, exec_lo, s11
; %bb.79:                               ;   in Loop: Header=BB149_2 Depth=1
	v_lshlrev_b32_e32 v29, 3, v114
	ds_load_b64 v[29:30], v29 offset:8
; %bb.80:                               ;   in Loop: Header=BB149_2 Depth=1
	s_wait_alu 0xfffe
	s_or_saveexec_b32 s10, s10
	v_dual_mov_b32 v32, v28 :: v_dual_mov_b32 v31, v27
	s_wait_alu 0xfffe
	s_xor_b32 exec_lo, exec_lo, s10
	s_cbranch_execz .LBB149_82
; %bb.81:                               ;   in Loop: Header=BB149_2 Depth=1
	s_wait_dscnt 0x0
	v_lshlrev_b32_e32 v29, 3, v115
	ds_load_b64 v[31:32], v29 offset:8
	v_dual_mov_b32 v30, v26 :: v_dual_mov_b32 v29, v25
.LBB149_82:                             ;   in Loop: Header=BB149_2 Depth=1
	s_or_b32 exec_lo, exec_lo, s10
	v_add_nc_u32_e32 v33, 1, v114
	v_add_nc_u32_e32 v34, 1, v115
	s_wait_dscnt 0x0
	v_cmp_lt_i64_e64 s10, v[31:32], v[29:30]
	s_delay_alu instid0(VALU_DEP_3) | instskip(NEXT) | instid1(VALU_DEP_3)
	v_cndmask_b32_e64 v116, v33, v114, s9
	v_cndmask_b32_e64 v117, v115, v34, s9
                                        ; implicit-def: $vgpr33_vgpr34
	s_delay_alu instid0(VALU_DEP_2) | instskip(NEXT) | instid1(VALU_DEP_2)
	v_cmp_ge_i32_e64 s11, v116, v70
	v_cmp_lt_i32_e64 s12, v117, v71
	s_or_b32 s10, s11, s10
	s_wait_alu 0xfffe
	s_and_b32 s10, s12, s10
	s_wait_alu 0xfffe
	s_xor_b32 s11, s10, -1
	s_wait_alu 0xfffe
	s_and_saveexec_b32 s12, s11
	s_wait_alu 0xfffe
	s_xor_b32 s11, exec_lo, s12
; %bb.83:                               ;   in Loop: Header=BB149_2 Depth=1
	v_lshlrev_b32_e32 v33, 3, v116
	ds_load_b64 v[33:34], v33 offset:8
; %bb.84:                               ;   in Loop: Header=BB149_2 Depth=1
	s_wait_alu 0xfffe
	s_or_saveexec_b32 s11, s11
	v_dual_mov_b32 v36, v32 :: v_dual_mov_b32 v35, v31
	s_wait_alu 0xfffe
	s_xor_b32 exec_lo, exec_lo, s11
	s_cbranch_execz .LBB149_86
; %bb.85:                               ;   in Loop: Header=BB149_2 Depth=1
	s_wait_dscnt 0x0
	v_lshlrev_b32_e32 v33, 3, v117
	ds_load_b64 v[35:36], v33 offset:8
	v_dual_mov_b32 v34, v30 :: v_dual_mov_b32 v33, v29
.LBB149_86:                             ;   in Loop: Header=BB149_2 Depth=1
	s_or_b32 exec_lo, exec_lo, s11
	v_add_nc_u32_e32 v37, 1, v116
	v_add_nc_u32_e32 v38, 1, v117
	s_wait_dscnt 0x0
	v_cmp_lt_i64_e64 s11, v[35:36], v[33:34]
                                        ; implicit-def: $vgpr39_vgpr40
	s_delay_alu instid0(VALU_DEP_3) | instskip(NEXT) | instid1(VALU_DEP_3)
	v_cndmask_b32_e64 v118, v37, v116, s10
	v_cndmask_b32_e64 v119, v117, v38, s10
	s_delay_alu instid0(VALU_DEP_2) | instskip(NEXT) | instid1(VALU_DEP_2)
	v_cmp_ge_i32_e64 s12, v118, v70
	v_cmp_lt_i32_e64 s13, v119, v71
	s_or_b32 s11, s12, s11
	s_wait_alu 0xfffe
	s_and_b32 s11, s13, s11
	s_wait_alu 0xfffe
	s_xor_b32 s12, s11, -1
	s_wait_alu 0xfffe
	s_and_saveexec_b32 s13, s12
	s_wait_alu 0xfffe
	s_xor_b32 s12, exec_lo, s13
; %bb.87:                               ;   in Loop: Header=BB149_2 Depth=1
	v_lshlrev_b32_e32 v37, 3, v118
	ds_load_b64 v[39:40], v37 offset:8
; %bb.88:                               ;   in Loop: Header=BB149_2 Depth=1
	s_wait_alu 0xfffe
	s_or_saveexec_b32 s12, s12
	v_dual_mov_b32 v44, v36 :: v_dual_mov_b32 v43, v35
	s_wait_alu 0xfffe
	s_xor_b32 exec_lo, exec_lo, s12
	s_cbranch_execz .LBB149_90
; %bb.89:                               ;   in Loop: Header=BB149_2 Depth=1
	s_wait_dscnt 0x0
	v_dual_mov_b32 v40, v34 :: v_dual_lshlrev_b32 v37, 3, v119
	v_mov_b32_e32 v39, v33
	ds_load_b64 v[43:44], v37 offset:8
.LBB149_90:                             ;   in Loop: Header=BB149_2 Depth=1
	s_or_b32 exec_lo, exec_lo, s12
	v_add_nc_u32_e32 v37, 1, v118
	v_add_nc_u32_e32 v38, 1, v119
	s_wait_dscnt 0x0
	v_cmp_lt_i64_e64 s12, v[43:44], v[39:40]
                                        ; implicit-def: $vgpr45_vgpr46
	s_delay_alu instid0(VALU_DEP_3) | instskip(NEXT) | instid1(VALU_DEP_3)
	v_cndmask_b32_e64 v120, v37, v118, s11
	v_cndmask_b32_e64 v121, v119, v38, s11
	s_delay_alu instid0(VALU_DEP_2) | instskip(NEXT) | instid1(VALU_DEP_2)
	v_cmp_ge_i32_e64 s13, v120, v70
	v_cmp_lt_i32_e64 s14, v121, v71
	s_or_b32 s12, s13, s12
	s_wait_alu 0xfffe
	s_and_b32 s12, s14, s12
	s_wait_alu 0xfffe
	s_xor_b32 s13, s12, -1
	s_wait_alu 0xfffe
	s_and_saveexec_b32 s14, s13
	s_wait_alu 0xfffe
	s_xor_b32 s13, exec_lo, s14
; %bb.91:                               ;   in Loop: Header=BB149_2 Depth=1
	v_lshlrev_b32_e32 v37, 3, v120
	ds_load_b64 v[45:46], v37 offset:8
; %bb.92:                               ;   in Loop: Header=BB149_2 Depth=1
	s_wait_alu 0xfffe
	s_or_saveexec_b32 s13, s13
	v_dual_mov_b32 v48, v44 :: v_dual_mov_b32 v47, v43
	s_wait_alu 0xfffe
	s_xor_b32 exec_lo, exec_lo, s13
	s_cbranch_execz .LBB149_94
; %bb.93:                               ;   in Loop: Header=BB149_2 Depth=1
	s_wait_dscnt 0x0
	v_dual_mov_b32 v46, v40 :: v_dual_lshlrev_b32 v37, 3, v121
	v_mov_b32_e32 v45, v39
	ds_load_b64 v[47:48], v37 offset:8
.LBB149_94:                             ;   in Loop: Header=BB149_2 Depth=1
	s_or_b32 exec_lo, exec_lo, s13
	v_add_nc_u32_e32 v37, 1, v120
	v_add_nc_u32_e32 v38, 1, v121
	s_wait_dscnt 0x0
	v_cmp_lt_i64_e64 s13, v[47:48], v[45:46]
	s_delay_alu instid0(VALU_DEP_3) | instskip(NEXT) | instid1(VALU_DEP_3)
	v_cndmask_b32_e64 v122, v37, v120, s12
	v_cndmask_b32_e64 v123, v121, v38, s12
                                        ; implicit-def: $vgpr37_vgpr38
	s_delay_alu instid0(VALU_DEP_2) | instskip(NEXT) | instid1(VALU_DEP_2)
	v_cmp_ge_i32_e64 s14, v122, v70
	v_cmp_lt_i32_e64 s15, v123, v71
	s_or_b32 s13, s14, s13
	s_wait_alu 0xfffe
	s_and_b32 s13, s15, s13
	s_wait_alu 0xfffe
	s_xor_b32 s14, s13, -1
	s_wait_alu 0xfffe
	s_and_saveexec_b32 s15, s14
	s_wait_alu 0xfffe
	s_xor_b32 s14, exec_lo, s15
; %bb.95:                               ;   in Loop: Header=BB149_2 Depth=1
	v_lshlrev_b32_e32 v37, 3, v122
	ds_load_b64 v[37:38], v37 offset:8
; %bb.96:                               ;   in Loop: Header=BB149_2 Depth=1
	s_wait_alu 0xfffe
	s_or_saveexec_b32 s14, s14
	v_dual_mov_b32 v41, v47 :: v_dual_mov_b32 v42, v48
	s_wait_alu 0xfffe
	s_xor_b32 exec_lo, exec_lo, s14
	s_cbranch_execz .LBB149_98
; %bb.97:                               ;   in Loop: Header=BB149_2 Depth=1
	s_wait_dscnt 0x0
	v_lshlrev_b32_e32 v37, 3, v123
	ds_load_b64 v[41:42], v37 offset:8
	v_dual_mov_b32 v37, v45 :: v_dual_mov_b32 v38, v46
.LBB149_98:                             ;   in Loop: Header=BB149_2 Depth=1
	s_or_b32 exec_lo, exec_lo, s14
	v_add_nc_u32_e32 v125, 1, v122
	v_add_nc_u32_e32 v124, 1, v123
	v_cndmask_b32_e64 v46, v46, v48, s13
	v_cndmask_b32_e64 v45, v45, v47, s13
	;; [unrolled: 1-line block ×7, first 2 shown]
	s_wait_dscnt 0x0
	v_cmp_lt_i64_e64 s10, v[41:42], v[37:38]
	v_cndmask_b32_e64 v34, v34, v36, s11
	v_cndmask_b32_e64 v33, v33, v35, s11
	;; [unrolled: 1-line block ×3, first 2 shown]
	v_cmp_ge_i32_e64 s11, v48, v70
	v_cndmask_b32_e64 v40, v40, v44, s12
	v_cndmask_b32_e64 v39, v39, v43, s12
	;; [unrolled: 1-line block ×3, first 2 shown]
	v_cmp_lt_i32_e64 s12, v47, v71
	v_cndmask_b32_e64 v44, v50, v49, s7
	v_cndmask_b32_e64 v36, v51, v52, s8
	s_or_b32 s10, s11, s10
	v_cndmask_b32_e64 v32, v114, v115, s9
	s_wait_alu 0xfffe
	s_and_b32 s10, s12, s10
	v_cndmask_b32_e64 v122, v122, v123, s13
	v_cndmask_b32_e64 v26, v26, v28, s9
	s_wait_alu 0xfffe
	v_cndmask_b32_e64 v28, v38, v42, s10
	v_cndmask_b32_e64 v38, v48, v47, s10
	s_wait_loadcnt 0x0
	s_barrier_signal -1
	s_barrier_wait -1
	global_inv scope:SCOPE_SE
	ds_store_2addr_b64 v53, v[13:14], v[15:16] offset1:1
	ds_store_2addr_b64 v53, v[9:10], v[11:12] offset0:2 offset1:3
	ds_store_2addr_b64 v53, v[5:6], v[7:8] offset0:4 offset1:5
	;; [unrolled: 1-line block ×3, first 2 shown]
	v_lshlrev_b32_e32 v1, 3, v44
	v_lshlrev_b32_e32 v2, 3, v36
	;; [unrolled: 1-line block ×6, first 2 shown]
	s_wait_loadcnt_dscnt 0x0
	s_barrier_signal -1
	s_barrier_wait -1
	global_inv scope:SCOPE_SE
	v_lshlrev_b32_e32 v31, 3, v122
	v_lshlrev_b32_e32 v32, 3, v38
	ds_load_b64 v[13:14], v1
	ds_load_b64 v[15:16], v2
	;; [unrolled: 1-line block ×8, first 2 shown]
	v_cndmask_b32_e64 v22, v22, v24, s8
	v_cndmask_b32_e64 v21, v21, v23, s8
	;; [unrolled: 1-line block ×6, first 2 shown]
	s_wait_loadcnt_dscnt 0x0
	s_barrier_signal -1
	s_barrier_wait -1
	global_inv scope:SCOPE_SE
	ds_store_2addr_b64 v53, v[17:18], v[21:22] offset1:1
	ds_store_2addr_b64 v53, v[25:26], v[29:30] offset0:2 offset1:3
	ds_store_2addr_b64 v53, v[33:34], v[39:40] offset0:4 offset1:5
	;; [unrolled: 1-line block ×3, first 2 shown]
	v_mov_b32_e32 v21, v109
	s_wait_loadcnt_dscnt 0x0
	s_barrier_signal -1
	s_barrier_wait -1
	global_inv scope:SCOPE_SE
	s_and_saveexec_b32 s8, s3
	s_cbranch_execz .LBB149_102
; %bb.99:                               ;   in Loop: Header=BB149_2 Depth=1
	v_mov_b32_e32 v21, v109
	v_mov_b32_e32 v17, v102
	s_mov_b32 s9, 0
.LBB149_100:                            ;   Parent Loop BB149_2 Depth=1
                                        ; =>  This Inner Loop Header: Depth=2
	s_delay_alu instid0(VALU_DEP_1) | instskip(NEXT) | instid1(VALU_DEP_1)
	v_sub_nc_u32_e32 v18, v17, v21
	v_lshrrev_b32_e32 v18, 1, v18
	s_delay_alu instid0(VALU_DEP_1) | instskip(NEXT) | instid1(VALU_DEP_1)
	v_add_nc_u32_e32 v20, v18, v21
	v_not_b32_e32 v18, v20
	v_lshl_add_u32 v19, v20, 3, v75
	s_delay_alu instid0(VALU_DEP_2)
	v_lshl_add_u32 v22, v18, 3, v95
	ds_load_b64 v[18:19], v19
	ds_load_b64 v[22:23], v22
	s_wait_dscnt 0x0
	v_cmp_lt_i64_e64 s7, v[22:23], v[18:19]
	v_add_nc_u32_e32 v18, 1, v20
	s_wait_alu 0xf1ff
	s_delay_alu instid0(VALU_DEP_2) | instskip(NEXT) | instid1(VALU_DEP_2)
	v_cndmask_b32_e64 v17, v17, v20, s7
	v_cndmask_b32_e64 v21, v18, v21, s7
	s_delay_alu instid0(VALU_DEP_1)
	v_cmp_ge_i32_e64 s7, v21, v17
	s_wait_alu 0xfffe
	s_or_b32 s9, s7, s9
	s_wait_alu 0xfffe
	s_and_not1_b32 exec_lo, exec_lo, s9
	s_cbranch_execnz .LBB149_100
; %bb.101:                              ;   in Loop: Header=BB149_2 Depth=1
	s_or_b32 exec_lo, exec_lo, s9
.LBB149_102:                            ;   in Loop: Header=BB149_2 Depth=1
	s_wait_alu 0xfffe
	s_or_b32 exec_lo, exec_lo, s8
	v_sub_nc_u32_e32 v49, v88, v21
	v_lshl_add_u32 v23, v21, 3, v75
	v_add_nc_u32_e32 v50, v21, v57
                                        ; implicit-def: $vgpr21_vgpr22
	s_delay_alu instid0(VALU_DEP_3) | instskip(SKIP_1) | instid1(VALU_DEP_3)
	v_lshlrev_b32_e32 v25, 3, v49
	v_cmp_gt_i32_e64 s9, v74, v49
	v_cmp_le_i32_e64 s8, v73, v50
	ds_load_b64 v[17:18], v23
	ds_load_b64 v[19:20], v25
	s_wait_dscnt 0x0
	v_cmp_lt_i64_e64 s7, v[19:20], v[17:18]
	s_or_b32 s7, s8, s7
	s_wait_alu 0xfffe
	s_and_b32 s7, s9, s7
	s_wait_alu 0xfffe
	s_xor_b32 s8, s7, -1
	s_wait_alu 0xfffe
	s_and_saveexec_b32 s9, s8
	s_wait_alu 0xfffe
	s_xor_b32 s8, exec_lo, s9
; %bb.103:                              ;   in Loop: Header=BB149_2 Depth=1
	ds_load_b64 v[21:22], v23 offset:8
                                        ; implicit-def: $vgpr25
; %bb.104:                              ;   in Loop: Header=BB149_2 Depth=1
	s_wait_alu 0xfffe
	s_or_saveexec_b32 s8, s8
	v_dual_mov_b32 v24, v20 :: v_dual_mov_b32 v23, v19
	s_wait_alu 0xfffe
	s_xor_b32 exec_lo, exec_lo, s8
	s_cbranch_execz .LBB149_106
; %bb.105:                              ;   in Loop: Header=BB149_2 Depth=1
	ds_load_b64 v[23:24], v25 offset:8
	s_wait_dscnt 0x1
	v_dual_mov_b32 v22, v18 :: v_dual_mov_b32 v21, v17
.LBB149_106:                            ;   in Loop: Header=BB149_2 Depth=1
	s_or_b32 exec_lo, exec_lo, s8
	v_add_nc_u32_e32 v25, 1, v50
	v_add_nc_u32_e32 v26, 1, v49
	s_wait_dscnt 0x0
	v_cmp_lt_i64_e64 s8, v[23:24], v[21:22]
	s_delay_alu instid0(VALU_DEP_3) | instskip(NEXT) | instid1(VALU_DEP_3)
	v_cndmask_b32_e64 v51, v25, v50, s7
	v_cndmask_b32_e64 v52, v49, v26, s7
                                        ; implicit-def: $vgpr25_vgpr26
	s_delay_alu instid0(VALU_DEP_2) | instskip(NEXT) | instid1(VALU_DEP_2)
	v_cmp_ge_i32_e64 s9, v51, v73
	v_cmp_lt_i32_e64 s10, v52, v74
	s_or_b32 s8, s9, s8
	s_wait_alu 0xfffe
	s_and_b32 s8, s10, s8
	s_wait_alu 0xfffe
	s_xor_b32 s9, s8, -1
	s_wait_alu 0xfffe
	s_and_saveexec_b32 s10, s9
	s_wait_alu 0xfffe
	s_xor_b32 s9, exec_lo, s10
; %bb.107:                              ;   in Loop: Header=BB149_2 Depth=1
	v_lshlrev_b32_e32 v25, 3, v51
	ds_load_b64 v[25:26], v25 offset:8
; %bb.108:                              ;   in Loop: Header=BB149_2 Depth=1
	s_wait_alu 0xfffe
	s_or_saveexec_b32 s9, s9
	v_dual_mov_b32 v28, v24 :: v_dual_mov_b32 v27, v23
	s_wait_alu 0xfffe
	s_xor_b32 exec_lo, exec_lo, s9
	s_cbranch_execz .LBB149_110
; %bb.109:                              ;   in Loop: Header=BB149_2 Depth=1
	s_wait_dscnt 0x0
	v_lshlrev_b32_e32 v25, 3, v52
	ds_load_b64 v[27:28], v25 offset:8
	v_dual_mov_b32 v26, v22 :: v_dual_mov_b32 v25, v21
.LBB149_110:                            ;   in Loop: Header=BB149_2 Depth=1
	s_or_b32 exec_lo, exec_lo, s9
	v_add_nc_u32_e32 v29, 1, v51
	v_add_nc_u32_e32 v30, 1, v52
	s_wait_dscnt 0x0
	v_cmp_lt_i64_e64 s9, v[27:28], v[25:26]
	s_delay_alu instid0(VALU_DEP_3) | instskip(NEXT) | instid1(VALU_DEP_3)
	v_cndmask_b32_e64 v114, v29, v51, s8
	v_cndmask_b32_e64 v115, v52, v30, s8
                                        ; implicit-def: $vgpr29_vgpr30
	s_delay_alu instid0(VALU_DEP_2) | instskip(NEXT) | instid1(VALU_DEP_2)
	v_cmp_ge_i32_e64 s10, v114, v73
	v_cmp_lt_i32_e64 s11, v115, v74
	s_or_b32 s9, s10, s9
	s_wait_alu 0xfffe
	s_and_b32 s9, s11, s9
	s_wait_alu 0xfffe
	s_xor_b32 s10, s9, -1
	s_wait_alu 0xfffe
	s_and_saveexec_b32 s11, s10
	s_wait_alu 0xfffe
	s_xor_b32 s10, exec_lo, s11
; %bb.111:                              ;   in Loop: Header=BB149_2 Depth=1
	v_lshlrev_b32_e32 v29, 3, v114
	ds_load_b64 v[29:30], v29 offset:8
; %bb.112:                              ;   in Loop: Header=BB149_2 Depth=1
	s_wait_alu 0xfffe
	s_or_saveexec_b32 s10, s10
	v_dual_mov_b32 v32, v28 :: v_dual_mov_b32 v31, v27
	s_wait_alu 0xfffe
	s_xor_b32 exec_lo, exec_lo, s10
	s_cbranch_execz .LBB149_114
; %bb.113:                              ;   in Loop: Header=BB149_2 Depth=1
	s_wait_dscnt 0x0
	v_lshlrev_b32_e32 v29, 3, v115
	ds_load_b64 v[31:32], v29 offset:8
	v_dual_mov_b32 v30, v26 :: v_dual_mov_b32 v29, v25
.LBB149_114:                            ;   in Loop: Header=BB149_2 Depth=1
	s_or_b32 exec_lo, exec_lo, s10
	v_add_nc_u32_e32 v33, 1, v114
	v_add_nc_u32_e32 v34, 1, v115
	s_wait_dscnt 0x0
	v_cmp_lt_i64_e64 s10, v[31:32], v[29:30]
	s_delay_alu instid0(VALU_DEP_3) | instskip(NEXT) | instid1(VALU_DEP_3)
	v_cndmask_b32_e64 v116, v33, v114, s9
	v_cndmask_b32_e64 v117, v115, v34, s9
                                        ; implicit-def: $vgpr33_vgpr34
	s_delay_alu instid0(VALU_DEP_2) | instskip(NEXT) | instid1(VALU_DEP_2)
	v_cmp_ge_i32_e64 s11, v116, v73
	v_cmp_lt_i32_e64 s12, v117, v74
	s_or_b32 s10, s11, s10
	s_wait_alu 0xfffe
	s_and_b32 s10, s12, s10
	s_wait_alu 0xfffe
	s_xor_b32 s11, s10, -1
	s_wait_alu 0xfffe
	s_and_saveexec_b32 s12, s11
	s_wait_alu 0xfffe
	s_xor_b32 s11, exec_lo, s12
; %bb.115:                              ;   in Loop: Header=BB149_2 Depth=1
	v_lshlrev_b32_e32 v33, 3, v116
	ds_load_b64 v[33:34], v33 offset:8
; %bb.116:                              ;   in Loop: Header=BB149_2 Depth=1
	s_wait_alu 0xfffe
	s_or_saveexec_b32 s11, s11
	v_dual_mov_b32 v36, v32 :: v_dual_mov_b32 v35, v31
	s_wait_alu 0xfffe
	s_xor_b32 exec_lo, exec_lo, s11
	s_cbranch_execz .LBB149_118
; %bb.117:                              ;   in Loop: Header=BB149_2 Depth=1
	s_wait_dscnt 0x0
	v_lshlrev_b32_e32 v33, 3, v117
	ds_load_b64 v[35:36], v33 offset:8
	v_dual_mov_b32 v34, v30 :: v_dual_mov_b32 v33, v29
.LBB149_118:                            ;   in Loop: Header=BB149_2 Depth=1
	s_or_b32 exec_lo, exec_lo, s11
	v_add_nc_u32_e32 v37, 1, v116
	v_add_nc_u32_e32 v38, 1, v117
	s_wait_dscnt 0x0
	v_cmp_lt_i64_e64 s11, v[35:36], v[33:34]
                                        ; implicit-def: $vgpr39_vgpr40
	s_delay_alu instid0(VALU_DEP_3) | instskip(NEXT) | instid1(VALU_DEP_3)
	v_cndmask_b32_e64 v118, v37, v116, s10
	v_cndmask_b32_e64 v119, v117, v38, s10
	s_delay_alu instid0(VALU_DEP_2) | instskip(NEXT) | instid1(VALU_DEP_2)
	v_cmp_ge_i32_e64 s12, v118, v73
	v_cmp_lt_i32_e64 s13, v119, v74
	s_or_b32 s11, s12, s11
	s_wait_alu 0xfffe
	s_and_b32 s11, s13, s11
	s_wait_alu 0xfffe
	s_xor_b32 s12, s11, -1
	s_wait_alu 0xfffe
	s_and_saveexec_b32 s13, s12
	s_wait_alu 0xfffe
	s_xor_b32 s12, exec_lo, s13
; %bb.119:                              ;   in Loop: Header=BB149_2 Depth=1
	v_lshlrev_b32_e32 v37, 3, v118
	ds_load_b64 v[39:40], v37 offset:8
; %bb.120:                              ;   in Loop: Header=BB149_2 Depth=1
	s_wait_alu 0xfffe
	s_or_saveexec_b32 s12, s12
	v_dual_mov_b32 v44, v36 :: v_dual_mov_b32 v43, v35
	s_wait_alu 0xfffe
	s_xor_b32 exec_lo, exec_lo, s12
	s_cbranch_execz .LBB149_122
; %bb.121:                              ;   in Loop: Header=BB149_2 Depth=1
	s_wait_dscnt 0x0
	v_dual_mov_b32 v40, v34 :: v_dual_lshlrev_b32 v37, 3, v119
	v_mov_b32_e32 v39, v33
	ds_load_b64 v[43:44], v37 offset:8
.LBB149_122:                            ;   in Loop: Header=BB149_2 Depth=1
	s_or_b32 exec_lo, exec_lo, s12
	v_add_nc_u32_e32 v37, 1, v118
	v_add_nc_u32_e32 v38, 1, v119
	s_wait_dscnt 0x0
	v_cmp_lt_i64_e64 s12, v[43:44], v[39:40]
                                        ; implicit-def: $vgpr45_vgpr46
	s_delay_alu instid0(VALU_DEP_3) | instskip(NEXT) | instid1(VALU_DEP_3)
	v_cndmask_b32_e64 v120, v37, v118, s11
	v_cndmask_b32_e64 v121, v119, v38, s11
	s_delay_alu instid0(VALU_DEP_2) | instskip(NEXT) | instid1(VALU_DEP_2)
	v_cmp_ge_i32_e64 s13, v120, v73
	v_cmp_lt_i32_e64 s14, v121, v74
	s_or_b32 s12, s13, s12
	s_wait_alu 0xfffe
	s_and_b32 s12, s14, s12
	s_wait_alu 0xfffe
	s_xor_b32 s13, s12, -1
	s_wait_alu 0xfffe
	s_and_saveexec_b32 s14, s13
	s_wait_alu 0xfffe
	s_xor_b32 s13, exec_lo, s14
; %bb.123:                              ;   in Loop: Header=BB149_2 Depth=1
	v_lshlrev_b32_e32 v37, 3, v120
	ds_load_b64 v[45:46], v37 offset:8
; %bb.124:                              ;   in Loop: Header=BB149_2 Depth=1
	s_wait_alu 0xfffe
	s_or_saveexec_b32 s13, s13
	v_dual_mov_b32 v48, v44 :: v_dual_mov_b32 v47, v43
	s_wait_alu 0xfffe
	s_xor_b32 exec_lo, exec_lo, s13
	s_cbranch_execz .LBB149_126
; %bb.125:                              ;   in Loop: Header=BB149_2 Depth=1
	s_wait_dscnt 0x0
	v_dual_mov_b32 v46, v40 :: v_dual_lshlrev_b32 v37, 3, v121
	v_mov_b32_e32 v45, v39
	ds_load_b64 v[47:48], v37 offset:8
.LBB149_126:                            ;   in Loop: Header=BB149_2 Depth=1
	s_or_b32 exec_lo, exec_lo, s13
	v_add_nc_u32_e32 v37, 1, v120
	v_add_nc_u32_e32 v38, 1, v121
	s_wait_dscnt 0x0
	v_cmp_lt_i64_e64 s13, v[47:48], v[45:46]
	s_delay_alu instid0(VALU_DEP_3) | instskip(NEXT) | instid1(VALU_DEP_3)
	v_cndmask_b32_e64 v122, v37, v120, s12
	v_cndmask_b32_e64 v123, v121, v38, s12
                                        ; implicit-def: $vgpr37_vgpr38
	s_delay_alu instid0(VALU_DEP_2) | instskip(NEXT) | instid1(VALU_DEP_2)
	v_cmp_ge_i32_e64 s14, v122, v73
	v_cmp_lt_i32_e64 s15, v123, v74
	s_or_b32 s13, s14, s13
	s_wait_alu 0xfffe
	s_and_b32 s13, s15, s13
	s_wait_alu 0xfffe
	s_xor_b32 s14, s13, -1
	s_wait_alu 0xfffe
	s_and_saveexec_b32 s15, s14
	s_wait_alu 0xfffe
	s_xor_b32 s14, exec_lo, s15
; %bb.127:                              ;   in Loop: Header=BB149_2 Depth=1
	v_lshlrev_b32_e32 v37, 3, v122
	ds_load_b64 v[37:38], v37 offset:8
; %bb.128:                              ;   in Loop: Header=BB149_2 Depth=1
	s_wait_alu 0xfffe
	s_or_saveexec_b32 s14, s14
	v_dual_mov_b32 v41, v47 :: v_dual_mov_b32 v42, v48
	s_wait_alu 0xfffe
	s_xor_b32 exec_lo, exec_lo, s14
	s_cbranch_execz .LBB149_130
; %bb.129:                              ;   in Loop: Header=BB149_2 Depth=1
	s_wait_dscnt 0x0
	v_lshlrev_b32_e32 v37, 3, v123
	ds_load_b64 v[41:42], v37 offset:8
	v_dual_mov_b32 v37, v45 :: v_dual_mov_b32 v38, v46
.LBB149_130:                            ;   in Loop: Header=BB149_2 Depth=1
	s_or_b32 exec_lo, exec_lo, s14
	v_add_nc_u32_e32 v125, 1, v122
	v_add_nc_u32_e32 v124, 1, v123
	v_cndmask_b32_e64 v46, v46, v48, s13
	v_cndmask_b32_e64 v45, v45, v47, s13
	;; [unrolled: 1-line block ×7, first 2 shown]
	s_wait_dscnt 0x0
	v_cmp_lt_i64_e64 s10, v[41:42], v[37:38]
	v_cndmask_b32_e64 v34, v34, v36, s11
	v_cndmask_b32_e64 v33, v33, v35, s11
	v_cndmask_b32_e64 v35, v118, v119, s11
	v_cmp_ge_i32_e64 s11, v48, v73
	v_cndmask_b32_e64 v40, v40, v44, s12
	v_cndmask_b32_e64 v39, v39, v43, s12
	;; [unrolled: 1-line block ×3, first 2 shown]
	v_cmp_lt_i32_e64 s12, v47, v74
	v_cndmask_b32_e64 v44, v50, v49, s7
	v_cndmask_b32_e64 v36, v51, v52, s8
	s_or_b32 s10, s11, s10
	v_cndmask_b32_e64 v32, v114, v115, s9
	s_wait_alu 0xfffe
	s_and_b32 s10, s12, s10
	v_cndmask_b32_e64 v122, v122, v123, s13
	v_cndmask_b32_e64 v26, v26, v28, s9
	s_wait_alu 0xfffe
	v_cndmask_b32_e64 v28, v38, v42, s10
	v_cndmask_b32_e64 v38, v48, v47, s10
	s_wait_loadcnt 0x0
	s_barrier_signal -1
	s_barrier_wait -1
	global_inv scope:SCOPE_SE
	ds_store_2addr_b64 v53, v[13:14], v[15:16] offset1:1
	ds_store_2addr_b64 v53, v[9:10], v[11:12] offset0:2 offset1:3
	ds_store_2addr_b64 v53, v[5:6], v[7:8] offset0:4 offset1:5
	;; [unrolled: 1-line block ×3, first 2 shown]
	v_lshlrev_b32_e32 v1, 3, v44
	v_lshlrev_b32_e32 v2, 3, v36
	v_lshlrev_b32_e32 v3, 3, v32
	v_lshlrev_b32_e32 v4, 3, v31
	v_lshlrev_b32_e32 v5, 3, v35
	v_lshlrev_b32_e32 v7, 3, v43
	s_wait_loadcnt_dscnt 0x0
	s_barrier_signal -1
	s_barrier_wait -1
	global_inv scope:SCOPE_SE
	v_lshlrev_b32_e32 v31, 3, v122
	v_lshlrev_b32_e32 v32, 3, v38
	ds_load_b64 v[13:14], v1
	ds_load_b64 v[15:16], v2
	;; [unrolled: 1-line block ×8, first 2 shown]
	v_cndmask_b32_e64 v22, v22, v24, s8
	v_cndmask_b32_e64 v21, v21, v23, s8
	v_cndmask_b32_e64 v18, v18, v20, s7
	v_cndmask_b32_e64 v17, v17, v19, s7
	v_cndmask_b32_e64 v25, v25, v27, s9
	v_cndmask_b32_e64 v27, v37, v41, s10
	s_wait_loadcnt_dscnt 0x0
	s_barrier_signal -1
	s_barrier_wait -1
	global_inv scope:SCOPE_SE
	ds_store_2addr_b64 v53, v[17:18], v[21:22] offset1:1
	ds_store_2addr_b64 v53, v[25:26], v[29:30] offset0:2 offset1:3
	ds_store_2addr_b64 v53, v[33:34], v[39:40] offset0:4 offset1:5
	;; [unrolled: 1-line block ×3, first 2 shown]
	v_mov_b32_e32 v21, v110
	s_wait_loadcnt_dscnt 0x0
	s_barrier_signal -1
	s_barrier_wait -1
	global_inv scope:SCOPE_SE
	s_and_saveexec_b32 s8, s4
	s_cbranch_execz .LBB149_134
; %bb.131:                              ;   in Loop: Header=BB149_2 Depth=1
	v_mov_b32_e32 v21, v110
	v_mov_b32_e32 v17, v103
	s_mov_b32 s9, 0
.LBB149_132:                            ;   Parent Loop BB149_2 Depth=1
                                        ; =>  This Inner Loop Header: Depth=2
	s_delay_alu instid0(VALU_DEP_1) | instskip(NEXT) | instid1(VALU_DEP_1)
	v_sub_nc_u32_e32 v18, v17, v21
	v_lshrrev_b32_e32 v18, 1, v18
	s_delay_alu instid0(VALU_DEP_1) | instskip(NEXT) | instid1(VALU_DEP_1)
	v_add_nc_u32_e32 v20, v18, v21
	v_not_b32_e32 v18, v20
	v_lshl_add_u32 v19, v20, 3, v78
	s_delay_alu instid0(VALU_DEP_2)
	v_lshl_add_u32 v22, v18, 3, v96
	ds_load_b64 v[18:19], v19
	ds_load_b64 v[22:23], v22
	s_wait_dscnt 0x0
	v_cmp_lt_i64_e64 s7, v[22:23], v[18:19]
	v_add_nc_u32_e32 v18, 1, v20
	s_wait_alu 0xf1ff
	s_delay_alu instid0(VALU_DEP_2) | instskip(NEXT) | instid1(VALU_DEP_2)
	v_cndmask_b32_e64 v17, v17, v20, s7
	v_cndmask_b32_e64 v21, v18, v21, s7
	s_delay_alu instid0(VALU_DEP_1)
	v_cmp_ge_i32_e64 s7, v21, v17
	s_wait_alu 0xfffe
	s_or_b32 s9, s7, s9
	s_wait_alu 0xfffe
	s_and_not1_b32 exec_lo, exec_lo, s9
	s_cbranch_execnz .LBB149_132
; %bb.133:                              ;   in Loop: Header=BB149_2 Depth=1
	s_or_b32 exec_lo, exec_lo, s9
.LBB149_134:                            ;   in Loop: Header=BB149_2 Depth=1
	s_wait_alu 0xfffe
	s_or_b32 exec_lo, exec_lo, s8
	v_sub_nc_u32_e32 v49, v89, v21
	v_lshl_add_u32 v23, v21, 3, v78
	v_add_nc_u32_e32 v50, v21, v58
                                        ; implicit-def: $vgpr21_vgpr22
	s_delay_alu instid0(VALU_DEP_3) | instskip(SKIP_1) | instid1(VALU_DEP_3)
	v_lshlrev_b32_e32 v25, 3, v49
	v_cmp_gt_i32_e64 s9, v77, v49
	v_cmp_le_i32_e64 s8, v76, v50
	ds_load_b64 v[17:18], v23
	ds_load_b64 v[19:20], v25
	s_wait_dscnt 0x0
	v_cmp_lt_i64_e64 s7, v[19:20], v[17:18]
	s_or_b32 s7, s8, s7
	s_wait_alu 0xfffe
	s_and_b32 s7, s9, s7
	s_wait_alu 0xfffe
	s_xor_b32 s8, s7, -1
	s_wait_alu 0xfffe
	s_and_saveexec_b32 s9, s8
	s_wait_alu 0xfffe
	s_xor_b32 s8, exec_lo, s9
; %bb.135:                              ;   in Loop: Header=BB149_2 Depth=1
	ds_load_b64 v[21:22], v23 offset:8
                                        ; implicit-def: $vgpr25
; %bb.136:                              ;   in Loop: Header=BB149_2 Depth=1
	s_wait_alu 0xfffe
	s_or_saveexec_b32 s8, s8
	v_dual_mov_b32 v24, v20 :: v_dual_mov_b32 v23, v19
	s_wait_alu 0xfffe
	s_xor_b32 exec_lo, exec_lo, s8
	s_cbranch_execz .LBB149_138
; %bb.137:                              ;   in Loop: Header=BB149_2 Depth=1
	ds_load_b64 v[23:24], v25 offset:8
	s_wait_dscnt 0x1
	v_dual_mov_b32 v22, v18 :: v_dual_mov_b32 v21, v17
.LBB149_138:                            ;   in Loop: Header=BB149_2 Depth=1
	s_or_b32 exec_lo, exec_lo, s8
	v_add_nc_u32_e32 v25, 1, v50
	v_add_nc_u32_e32 v26, 1, v49
	s_wait_dscnt 0x0
	v_cmp_lt_i64_e64 s8, v[23:24], v[21:22]
	s_delay_alu instid0(VALU_DEP_3) | instskip(NEXT) | instid1(VALU_DEP_3)
	v_cndmask_b32_e64 v51, v25, v50, s7
	v_cndmask_b32_e64 v52, v49, v26, s7
                                        ; implicit-def: $vgpr25_vgpr26
	s_delay_alu instid0(VALU_DEP_2) | instskip(NEXT) | instid1(VALU_DEP_2)
	v_cmp_ge_i32_e64 s9, v51, v76
	v_cmp_lt_i32_e64 s10, v52, v77
	s_or_b32 s8, s9, s8
	s_wait_alu 0xfffe
	s_and_b32 s8, s10, s8
	s_wait_alu 0xfffe
	s_xor_b32 s9, s8, -1
	s_wait_alu 0xfffe
	s_and_saveexec_b32 s10, s9
	s_wait_alu 0xfffe
	s_xor_b32 s9, exec_lo, s10
; %bb.139:                              ;   in Loop: Header=BB149_2 Depth=1
	v_lshlrev_b32_e32 v25, 3, v51
	ds_load_b64 v[25:26], v25 offset:8
; %bb.140:                              ;   in Loop: Header=BB149_2 Depth=1
	s_wait_alu 0xfffe
	s_or_saveexec_b32 s9, s9
	v_dual_mov_b32 v28, v24 :: v_dual_mov_b32 v27, v23
	s_wait_alu 0xfffe
	s_xor_b32 exec_lo, exec_lo, s9
	s_cbranch_execz .LBB149_142
; %bb.141:                              ;   in Loop: Header=BB149_2 Depth=1
	s_wait_dscnt 0x0
	v_lshlrev_b32_e32 v25, 3, v52
	ds_load_b64 v[27:28], v25 offset:8
	v_dual_mov_b32 v26, v22 :: v_dual_mov_b32 v25, v21
.LBB149_142:                            ;   in Loop: Header=BB149_2 Depth=1
	s_or_b32 exec_lo, exec_lo, s9
	v_add_nc_u32_e32 v29, 1, v51
	v_add_nc_u32_e32 v30, 1, v52
	s_wait_dscnt 0x0
	v_cmp_lt_i64_e64 s9, v[27:28], v[25:26]
	s_delay_alu instid0(VALU_DEP_3) | instskip(NEXT) | instid1(VALU_DEP_3)
	v_cndmask_b32_e64 v114, v29, v51, s8
	v_cndmask_b32_e64 v115, v52, v30, s8
                                        ; implicit-def: $vgpr29_vgpr30
	s_delay_alu instid0(VALU_DEP_2) | instskip(NEXT) | instid1(VALU_DEP_2)
	v_cmp_ge_i32_e64 s10, v114, v76
	v_cmp_lt_i32_e64 s11, v115, v77
	s_or_b32 s9, s10, s9
	s_wait_alu 0xfffe
	s_and_b32 s9, s11, s9
	s_wait_alu 0xfffe
	s_xor_b32 s10, s9, -1
	s_wait_alu 0xfffe
	s_and_saveexec_b32 s11, s10
	s_wait_alu 0xfffe
	s_xor_b32 s10, exec_lo, s11
; %bb.143:                              ;   in Loop: Header=BB149_2 Depth=1
	v_lshlrev_b32_e32 v29, 3, v114
	ds_load_b64 v[29:30], v29 offset:8
; %bb.144:                              ;   in Loop: Header=BB149_2 Depth=1
	s_wait_alu 0xfffe
	s_or_saveexec_b32 s10, s10
	v_dual_mov_b32 v32, v28 :: v_dual_mov_b32 v31, v27
	s_wait_alu 0xfffe
	s_xor_b32 exec_lo, exec_lo, s10
	s_cbranch_execz .LBB149_146
; %bb.145:                              ;   in Loop: Header=BB149_2 Depth=1
	s_wait_dscnt 0x0
	v_lshlrev_b32_e32 v29, 3, v115
	ds_load_b64 v[31:32], v29 offset:8
	v_dual_mov_b32 v30, v26 :: v_dual_mov_b32 v29, v25
.LBB149_146:                            ;   in Loop: Header=BB149_2 Depth=1
	s_or_b32 exec_lo, exec_lo, s10
	v_add_nc_u32_e32 v33, 1, v114
	v_add_nc_u32_e32 v34, 1, v115
	s_wait_dscnt 0x0
	v_cmp_lt_i64_e64 s10, v[31:32], v[29:30]
	s_delay_alu instid0(VALU_DEP_3) | instskip(NEXT) | instid1(VALU_DEP_3)
	v_cndmask_b32_e64 v116, v33, v114, s9
	v_cndmask_b32_e64 v117, v115, v34, s9
                                        ; implicit-def: $vgpr33_vgpr34
	s_delay_alu instid0(VALU_DEP_2) | instskip(NEXT) | instid1(VALU_DEP_2)
	v_cmp_ge_i32_e64 s11, v116, v76
	v_cmp_lt_i32_e64 s12, v117, v77
	s_or_b32 s10, s11, s10
	s_wait_alu 0xfffe
	s_and_b32 s10, s12, s10
	s_wait_alu 0xfffe
	s_xor_b32 s11, s10, -1
	s_wait_alu 0xfffe
	s_and_saveexec_b32 s12, s11
	s_wait_alu 0xfffe
	s_xor_b32 s11, exec_lo, s12
; %bb.147:                              ;   in Loop: Header=BB149_2 Depth=1
	v_lshlrev_b32_e32 v33, 3, v116
	ds_load_b64 v[33:34], v33 offset:8
; %bb.148:                              ;   in Loop: Header=BB149_2 Depth=1
	s_wait_alu 0xfffe
	s_or_saveexec_b32 s11, s11
	v_dual_mov_b32 v36, v32 :: v_dual_mov_b32 v35, v31
	s_wait_alu 0xfffe
	s_xor_b32 exec_lo, exec_lo, s11
	s_cbranch_execz .LBB149_150
; %bb.149:                              ;   in Loop: Header=BB149_2 Depth=1
	s_wait_dscnt 0x0
	v_lshlrev_b32_e32 v33, 3, v117
	ds_load_b64 v[35:36], v33 offset:8
	v_dual_mov_b32 v34, v30 :: v_dual_mov_b32 v33, v29
.LBB149_150:                            ;   in Loop: Header=BB149_2 Depth=1
	s_or_b32 exec_lo, exec_lo, s11
	v_add_nc_u32_e32 v37, 1, v116
	v_add_nc_u32_e32 v38, 1, v117
	s_wait_dscnt 0x0
	v_cmp_lt_i64_e64 s11, v[35:36], v[33:34]
                                        ; implicit-def: $vgpr39_vgpr40
	s_delay_alu instid0(VALU_DEP_3) | instskip(NEXT) | instid1(VALU_DEP_3)
	v_cndmask_b32_e64 v118, v37, v116, s10
	v_cndmask_b32_e64 v119, v117, v38, s10
	s_delay_alu instid0(VALU_DEP_2) | instskip(NEXT) | instid1(VALU_DEP_2)
	v_cmp_ge_i32_e64 s12, v118, v76
	v_cmp_lt_i32_e64 s13, v119, v77
	s_or_b32 s11, s12, s11
	s_wait_alu 0xfffe
	s_and_b32 s11, s13, s11
	s_wait_alu 0xfffe
	s_xor_b32 s12, s11, -1
	s_wait_alu 0xfffe
	s_and_saveexec_b32 s13, s12
	s_wait_alu 0xfffe
	s_xor_b32 s12, exec_lo, s13
; %bb.151:                              ;   in Loop: Header=BB149_2 Depth=1
	v_lshlrev_b32_e32 v37, 3, v118
	ds_load_b64 v[39:40], v37 offset:8
; %bb.152:                              ;   in Loop: Header=BB149_2 Depth=1
	s_wait_alu 0xfffe
	s_or_saveexec_b32 s12, s12
	v_dual_mov_b32 v44, v36 :: v_dual_mov_b32 v43, v35
	s_wait_alu 0xfffe
	s_xor_b32 exec_lo, exec_lo, s12
	s_cbranch_execz .LBB149_154
; %bb.153:                              ;   in Loop: Header=BB149_2 Depth=1
	s_wait_dscnt 0x0
	v_dual_mov_b32 v40, v34 :: v_dual_lshlrev_b32 v37, 3, v119
	v_mov_b32_e32 v39, v33
	ds_load_b64 v[43:44], v37 offset:8
.LBB149_154:                            ;   in Loop: Header=BB149_2 Depth=1
	s_or_b32 exec_lo, exec_lo, s12
	v_add_nc_u32_e32 v37, 1, v118
	v_add_nc_u32_e32 v38, 1, v119
	s_wait_dscnt 0x0
	v_cmp_lt_i64_e64 s12, v[43:44], v[39:40]
                                        ; implicit-def: $vgpr45_vgpr46
	s_delay_alu instid0(VALU_DEP_3) | instskip(NEXT) | instid1(VALU_DEP_3)
	v_cndmask_b32_e64 v120, v37, v118, s11
	v_cndmask_b32_e64 v121, v119, v38, s11
	s_delay_alu instid0(VALU_DEP_2) | instskip(NEXT) | instid1(VALU_DEP_2)
	v_cmp_ge_i32_e64 s13, v120, v76
	v_cmp_lt_i32_e64 s14, v121, v77
	s_or_b32 s12, s13, s12
	s_wait_alu 0xfffe
	s_and_b32 s12, s14, s12
	s_wait_alu 0xfffe
	s_xor_b32 s13, s12, -1
	s_wait_alu 0xfffe
	s_and_saveexec_b32 s14, s13
	s_wait_alu 0xfffe
	s_xor_b32 s13, exec_lo, s14
; %bb.155:                              ;   in Loop: Header=BB149_2 Depth=1
	v_lshlrev_b32_e32 v37, 3, v120
	ds_load_b64 v[45:46], v37 offset:8
; %bb.156:                              ;   in Loop: Header=BB149_2 Depth=1
	s_wait_alu 0xfffe
	s_or_saveexec_b32 s13, s13
	v_dual_mov_b32 v48, v44 :: v_dual_mov_b32 v47, v43
	s_wait_alu 0xfffe
	s_xor_b32 exec_lo, exec_lo, s13
	s_cbranch_execz .LBB149_158
; %bb.157:                              ;   in Loop: Header=BB149_2 Depth=1
	s_wait_dscnt 0x0
	v_dual_mov_b32 v46, v40 :: v_dual_lshlrev_b32 v37, 3, v121
	v_mov_b32_e32 v45, v39
	ds_load_b64 v[47:48], v37 offset:8
.LBB149_158:                            ;   in Loop: Header=BB149_2 Depth=1
	s_or_b32 exec_lo, exec_lo, s13
	v_add_nc_u32_e32 v37, 1, v120
	v_add_nc_u32_e32 v38, 1, v121
	s_wait_dscnt 0x0
	v_cmp_lt_i64_e64 s13, v[47:48], v[45:46]
	s_delay_alu instid0(VALU_DEP_3) | instskip(NEXT) | instid1(VALU_DEP_3)
	v_cndmask_b32_e64 v122, v37, v120, s12
	v_cndmask_b32_e64 v123, v121, v38, s12
                                        ; implicit-def: $vgpr37_vgpr38
	s_delay_alu instid0(VALU_DEP_2) | instskip(NEXT) | instid1(VALU_DEP_2)
	v_cmp_ge_i32_e64 s14, v122, v76
	v_cmp_lt_i32_e64 s15, v123, v77
	s_or_b32 s13, s14, s13
	s_wait_alu 0xfffe
	s_and_b32 s13, s15, s13
	s_wait_alu 0xfffe
	s_xor_b32 s14, s13, -1
	s_wait_alu 0xfffe
	s_and_saveexec_b32 s15, s14
	s_wait_alu 0xfffe
	s_xor_b32 s14, exec_lo, s15
; %bb.159:                              ;   in Loop: Header=BB149_2 Depth=1
	v_lshlrev_b32_e32 v37, 3, v122
	ds_load_b64 v[37:38], v37 offset:8
; %bb.160:                              ;   in Loop: Header=BB149_2 Depth=1
	s_wait_alu 0xfffe
	s_or_saveexec_b32 s14, s14
	v_dual_mov_b32 v41, v47 :: v_dual_mov_b32 v42, v48
	s_wait_alu 0xfffe
	s_xor_b32 exec_lo, exec_lo, s14
	s_cbranch_execz .LBB149_162
; %bb.161:                              ;   in Loop: Header=BB149_2 Depth=1
	s_wait_dscnt 0x0
	v_lshlrev_b32_e32 v37, 3, v123
	ds_load_b64 v[41:42], v37 offset:8
	v_dual_mov_b32 v37, v45 :: v_dual_mov_b32 v38, v46
.LBB149_162:                            ;   in Loop: Header=BB149_2 Depth=1
	s_or_b32 exec_lo, exec_lo, s14
	v_add_nc_u32_e32 v125, 1, v122
	v_add_nc_u32_e32 v124, 1, v123
	v_cndmask_b32_e64 v46, v46, v48, s13
	v_cndmask_b32_e64 v45, v45, v47, s13
	;; [unrolled: 1-line block ×7, first 2 shown]
	s_wait_dscnt 0x0
	v_cmp_lt_i64_e64 s10, v[41:42], v[37:38]
	v_cndmask_b32_e64 v34, v34, v36, s11
	v_cndmask_b32_e64 v33, v33, v35, s11
	;; [unrolled: 1-line block ×3, first 2 shown]
	v_cmp_ge_i32_e64 s11, v48, v76
	v_cndmask_b32_e64 v40, v40, v44, s12
	v_cndmask_b32_e64 v39, v39, v43, s12
	v_cndmask_b32_e64 v43, v120, v121, s12
	v_cmp_lt_i32_e64 s12, v47, v77
	v_cndmask_b32_e64 v44, v50, v49, s7
	v_cndmask_b32_e64 v36, v51, v52, s8
	s_or_b32 s10, s11, s10
	v_cndmask_b32_e64 v32, v114, v115, s9
	s_wait_alu 0xfffe
	s_and_b32 s10, s12, s10
	v_cndmask_b32_e64 v122, v122, v123, s13
	v_cndmask_b32_e64 v26, v26, v28, s9
	s_wait_alu 0xfffe
	v_cndmask_b32_e64 v28, v38, v42, s10
	v_cndmask_b32_e64 v38, v48, v47, s10
	s_wait_loadcnt 0x0
	s_barrier_signal -1
	s_barrier_wait -1
	global_inv scope:SCOPE_SE
	ds_store_2addr_b64 v53, v[13:14], v[15:16] offset1:1
	ds_store_2addr_b64 v53, v[9:10], v[11:12] offset0:2 offset1:3
	ds_store_2addr_b64 v53, v[5:6], v[7:8] offset0:4 offset1:5
	;; [unrolled: 1-line block ×3, first 2 shown]
	v_lshlrev_b32_e32 v1, 3, v44
	v_lshlrev_b32_e32 v2, 3, v36
	;; [unrolled: 1-line block ×6, first 2 shown]
	s_wait_loadcnt_dscnt 0x0
	s_barrier_signal -1
	s_barrier_wait -1
	global_inv scope:SCOPE_SE
	v_lshlrev_b32_e32 v31, 3, v122
	v_lshlrev_b32_e32 v32, 3, v38
	ds_load_b64 v[13:14], v1
	ds_load_b64 v[15:16], v2
	;; [unrolled: 1-line block ×8, first 2 shown]
	v_cndmask_b32_e64 v22, v22, v24, s8
	v_cndmask_b32_e64 v21, v21, v23, s8
	;; [unrolled: 1-line block ×6, first 2 shown]
	s_wait_loadcnt_dscnt 0x0
	s_barrier_signal -1
	s_barrier_wait -1
	global_inv scope:SCOPE_SE
	ds_store_2addr_b64 v53, v[17:18], v[21:22] offset1:1
	ds_store_2addr_b64 v53, v[25:26], v[29:30] offset0:2 offset1:3
	ds_store_2addr_b64 v53, v[33:34], v[39:40] offset0:4 offset1:5
	;; [unrolled: 1-line block ×3, first 2 shown]
	v_mov_b32_e32 v21, v111
	s_wait_loadcnt_dscnt 0x0
	s_barrier_signal -1
	s_barrier_wait -1
	global_inv scope:SCOPE_SE
	s_and_saveexec_b32 s8, s5
	s_cbranch_execz .LBB149_166
; %bb.163:                              ;   in Loop: Header=BB149_2 Depth=1
	v_mov_b32_e32 v21, v111
	v_mov_b32_e32 v17, v104
	s_mov_b32 s9, 0
.LBB149_164:                            ;   Parent Loop BB149_2 Depth=1
                                        ; =>  This Inner Loop Header: Depth=2
	s_delay_alu instid0(VALU_DEP_1) | instskip(NEXT) | instid1(VALU_DEP_1)
	v_sub_nc_u32_e32 v18, v17, v21
	v_lshrrev_b32_e32 v18, 1, v18
	s_delay_alu instid0(VALU_DEP_1) | instskip(NEXT) | instid1(VALU_DEP_1)
	v_add_nc_u32_e32 v20, v18, v21
	v_not_b32_e32 v18, v20
	v_lshl_add_u32 v19, v20, 3, v81
	s_delay_alu instid0(VALU_DEP_2)
	v_lshl_add_u32 v22, v18, 3, v97
	ds_load_b64 v[18:19], v19
	ds_load_b64 v[22:23], v22
	s_wait_dscnt 0x0
	v_cmp_lt_i64_e64 s7, v[22:23], v[18:19]
	v_add_nc_u32_e32 v18, 1, v20
	s_wait_alu 0xf1ff
	s_delay_alu instid0(VALU_DEP_2) | instskip(NEXT) | instid1(VALU_DEP_2)
	v_cndmask_b32_e64 v17, v17, v20, s7
	v_cndmask_b32_e64 v21, v18, v21, s7
	s_delay_alu instid0(VALU_DEP_1)
	v_cmp_ge_i32_e64 s7, v21, v17
	s_wait_alu 0xfffe
	s_or_b32 s9, s7, s9
	s_wait_alu 0xfffe
	s_and_not1_b32 exec_lo, exec_lo, s9
	s_cbranch_execnz .LBB149_164
; %bb.165:                              ;   in Loop: Header=BB149_2 Depth=1
	s_or_b32 exec_lo, exec_lo, s9
.LBB149_166:                            ;   in Loop: Header=BB149_2 Depth=1
	s_wait_alu 0xfffe
	s_or_b32 exec_lo, exec_lo, s8
	v_sub_nc_u32_e32 v49, v90, v21
	v_lshl_add_u32 v23, v21, 3, v81
	v_add_nc_u32_e32 v50, v21, v59
                                        ; implicit-def: $vgpr21_vgpr22
	s_delay_alu instid0(VALU_DEP_3) | instskip(SKIP_1) | instid1(VALU_DEP_3)
	v_lshlrev_b32_e32 v25, 3, v49
	v_cmp_gt_i32_e64 s9, v80, v49
	v_cmp_le_i32_e64 s8, v79, v50
	ds_load_b64 v[17:18], v23
	ds_load_b64 v[19:20], v25
	s_wait_dscnt 0x0
	v_cmp_lt_i64_e64 s7, v[19:20], v[17:18]
	s_or_b32 s7, s8, s7
	s_wait_alu 0xfffe
	s_and_b32 s7, s9, s7
	s_wait_alu 0xfffe
	s_xor_b32 s8, s7, -1
	s_wait_alu 0xfffe
	s_and_saveexec_b32 s9, s8
	s_wait_alu 0xfffe
	s_xor_b32 s8, exec_lo, s9
; %bb.167:                              ;   in Loop: Header=BB149_2 Depth=1
	ds_load_b64 v[21:22], v23 offset:8
                                        ; implicit-def: $vgpr25
; %bb.168:                              ;   in Loop: Header=BB149_2 Depth=1
	s_wait_alu 0xfffe
	s_or_saveexec_b32 s8, s8
	v_dual_mov_b32 v24, v20 :: v_dual_mov_b32 v23, v19
	s_wait_alu 0xfffe
	s_xor_b32 exec_lo, exec_lo, s8
	s_cbranch_execz .LBB149_170
; %bb.169:                              ;   in Loop: Header=BB149_2 Depth=1
	ds_load_b64 v[23:24], v25 offset:8
	s_wait_dscnt 0x1
	v_dual_mov_b32 v22, v18 :: v_dual_mov_b32 v21, v17
.LBB149_170:                            ;   in Loop: Header=BB149_2 Depth=1
	s_or_b32 exec_lo, exec_lo, s8
	v_add_nc_u32_e32 v25, 1, v50
	v_add_nc_u32_e32 v26, 1, v49
	s_wait_dscnt 0x0
	v_cmp_lt_i64_e64 s8, v[23:24], v[21:22]
	s_delay_alu instid0(VALU_DEP_3) | instskip(NEXT) | instid1(VALU_DEP_3)
	v_cndmask_b32_e64 v51, v25, v50, s7
	v_cndmask_b32_e64 v52, v49, v26, s7
                                        ; implicit-def: $vgpr25_vgpr26
	s_delay_alu instid0(VALU_DEP_2) | instskip(NEXT) | instid1(VALU_DEP_2)
	v_cmp_ge_i32_e64 s9, v51, v79
	v_cmp_lt_i32_e64 s10, v52, v80
	s_or_b32 s8, s9, s8
	s_wait_alu 0xfffe
	s_and_b32 s8, s10, s8
	s_wait_alu 0xfffe
	s_xor_b32 s9, s8, -1
	s_wait_alu 0xfffe
	s_and_saveexec_b32 s10, s9
	s_wait_alu 0xfffe
	s_xor_b32 s9, exec_lo, s10
; %bb.171:                              ;   in Loop: Header=BB149_2 Depth=1
	v_lshlrev_b32_e32 v25, 3, v51
	ds_load_b64 v[25:26], v25 offset:8
; %bb.172:                              ;   in Loop: Header=BB149_2 Depth=1
	s_wait_alu 0xfffe
	s_or_saveexec_b32 s9, s9
	v_dual_mov_b32 v28, v24 :: v_dual_mov_b32 v27, v23
	s_wait_alu 0xfffe
	s_xor_b32 exec_lo, exec_lo, s9
	s_cbranch_execz .LBB149_174
; %bb.173:                              ;   in Loop: Header=BB149_2 Depth=1
	s_wait_dscnt 0x0
	v_lshlrev_b32_e32 v25, 3, v52
	ds_load_b64 v[27:28], v25 offset:8
	v_dual_mov_b32 v26, v22 :: v_dual_mov_b32 v25, v21
.LBB149_174:                            ;   in Loop: Header=BB149_2 Depth=1
	s_or_b32 exec_lo, exec_lo, s9
	v_add_nc_u32_e32 v29, 1, v51
	v_add_nc_u32_e32 v30, 1, v52
	s_wait_dscnt 0x0
	v_cmp_lt_i64_e64 s9, v[27:28], v[25:26]
	s_delay_alu instid0(VALU_DEP_3) | instskip(NEXT) | instid1(VALU_DEP_3)
	v_cndmask_b32_e64 v114, v29, v51, s8
	v_cndmask_b32_e64 v115, v52, v30, s8
                                        ; implicit-def: $vgpr29_vgpr30
	s_delay_alu instid0(VALU_DEP_2) | instskip(NEXT) | instid1(VALU_DEP_2)
	v_cmp_ge_i32_e64 s10, v114, v79
	v_cmp_lt_i32_e64 s11, v115, v80
	s_or_b32 s9, s10, s9
	s_wait_alu 0xfffe
	s_and_b32 s9, s11, s9
	s_wait_alu 0xfffe
	s_xor_b32 s10, s9, -1
	s_wait_alu 0xfffe
	s_and_saveexec_b32 s11, s10
	s_wait_alu 0xfffe
	s_xor_b32 s10, exec_lo, s11
; %bb.175:                              ;   in Loop: Header=BB149_2 Depth=1
	v_lshlrev_b32_e32 v29, 3, v114
	ds_load_b64 v[29:30], v29 offset:8
; %bb.176:                              ;   in Loop: Header=BB149_2 Depth=1
	s_wait_alu 0xfffe
	s_or_saveexec_b32 s10, s10
	v_dual_mov_b32 v32, v28 :: v_dual_mov_b32 v31, v27
	s_wait_alu 0xfffe
	s_xor_b32 exec_lo, exec_lo, s10
	s_cbranch_execz .LBB149_178
; %bb.177:                              ;   in Loop: Header=BB149_2 Depth=1
	s_wait_dscnt 0x0
	v_lshlrev_b32_e32 v29, 3, v115
	ds_load_b64 v[31:32], v29 offset:8
	v_dual_mov_b32 v30, v26 :: v_dual_mov_b32 v29, v25
.LBB149_178:                            ;   in Loop: Header=BB149_2 Depth=1
	s_or_b32 exec_lo, exec_lo, s10
	v_add_nc_u32_e32 v33, 1, v114
	v_add_nc_u32_e32 v34, 1, v115
	s_wait_dscnt 0x0
	v_cmp_lt_i64_e64 s10, v[31:32], v[29:30]
	s_delay_alu instid0(VALU_DEP_3) | instskip(NEXT) | instid1(VALU_DEP_3)
	v_cndmask_b32_e64 v116, v33, v114, s9
	v_cndmask_b32_e64 v117, v115, v34, s9
                                        ; implicit-def: $vgpr33_vgpr34
	s_delay_alu instid0(VALU_DEP_2) | instskip(NEXT) | instid1(VALU_DEP_2)
	v_cmp_ge_i32_e64 s11, v116, v79
	v_cmp_lt_i32_e64 s12, v117, v80
	s_or_b32 s10, s11, s10
	s_wait_alu 0xfffe
	s_and_b32 s10, s12, s10
	s_wait_alu 0xfffe
	s_xor_b32 s11, s10, -1
	s_wait_alu 0xfffe
	s_and_saveexec_b32 s12, s11
	s_wait_alu 0xfffe
	s_xor_b32 s11, exec_lo, s12
; %bb.179:                              ;   in Loop: Header=BB149_2 Depth=1
	v_lshlrev_b32_e32 v33, 3, v116
	ds_load_b64 v[33:34], v33 offset:8
; %bb.180:                              ;   in Loop: Header=BB149_2 Depth=1
	s_wait_alu 0xfffe
	s_or_saveexec_b32 s11, s11
	v_dual_mov_b32 v36, v32 :: v_dual_mov_b32 v35, v31
	s_wait_alu 0xfffe
	s_xor_b32 exec_lo, exec_lo, s11
	s_cbranch_execz .LBB149_182
; %bb.181:                              ;   in Loop: Header=BB149_2 Depth=1
	s_wait_dscnt 0x0
	v_lshlrev_b32_e32 v33, 3, v117
	ds_load_b64 v[35:36], v33 offset:8
	v_dual_mov_b32 v34, v30 :: v_dual_mov_b32 v33, v29
.LBB149_182:                            ;   in Loop: Header=BB149_2 Depth=1
	s_or_b32 exec_lo, exec_lo, s11
	v_add_nc_u32_e32 v37, 1, v116
	v_add_nc_u32_e32 v38, 1, v117
	s_wait_dscnt 0x0
	v_cmp_lt_i64_e64 s11, v[35:36], v[33:34]
                                        ; implicit-def: $vgpr39_vgpr40
	s_delay_alu instid0(VALU_DEP_3) | instskip(NEXT) | instid1(VALU_DEP_3)
	v_cndmask_b32_e64 v118, v37, v116, s10
	v_cndmask_b32_e64 v119, v117, v38, s10
	s_delay_alu instid0(VALU_DEP_2) | instskip(NEXT) | instid1(VALU_DEP_2)
	v_cmp_ge_i32_e64 s12, v118, v79
	v_cmp_lt_i32_e64 s13, v119, v80
	s_or_b32 s11, s12, s11
	s_wait_alu 0xfffe
	s_and_b32 s11, s13, s11
	s_wait_alu 0xfffe
	s_xor_b32 s12, s11, -1
	s_wait_alu 0xfffe
	s_and_saveexec_b32 s13, s12
	s_wait_alu 0xfffe
	s_xor_b32 s12, exec_lo, s13
; %bb.183:                              ;   in Loop: Header=BB149_2 Depth=1
	v_lshlrev_b32_e32 v37, 3, v118
	ds_load_b64 v[39:40], v37 offset:8
; %bb.184:                              ;   in Loop: Header=BB149_2 Depth=1
	s_wait_alu 0xfffe
	s_or_saveexec_b32 s12, s12
	v_dual_mov_b32 v44, v36 :: v_dual_mov_b32 v43, v35
	s_wait_alu 0xfffe
	s_xor_b32 exec_lo, exec_lo, s12
	s_cbranch_execz .LBB149_186
; %bb.185:                              ;   in Loop: Header=BB149_2 Depth=1
	s_wait_dscnt 0x0
	v_dual_mov_b32 v40, v34 :: v_dual_lshlrev_b32 v37, 3, v119
	v_mov_b32_e32 v39, v33
	ds_load_b64 v[43:44], v37 offset:8
.LBB149_186:                            ;   in Loop: Header=BB149_2 Depth=1
	s_or_b32 exec_lo, exec_lo, s12
	v_add_nc_u32_e32 v37, 1, v118
	v_add_nc_u32_e32 v38, 1, v119
	s_wait_dscnt 0x0
	v_cmp_lt_i64_e64 s12, v[43:44], v[39:40]
                                        ; implicit-def: $vgpr45_vgpr46
	s_delay_alu instid0(VALU_DEP_3) | instskip(NEXT) | instid1(VALU_DEP_3)
	v_cndmask_b32_e64 v120, v37, v118, s11
	v_cndmask_b32_e64 v121, v119, v38, s11
	s_delay_alu instid0(VALU_DEP_2) | instskip(NEXT) | instid1(VALU_DEP_2)
	v_cmp_ge_i32_e64 s13, v120, v79
	v_cmp_lt_i32_e64 s14, v121, v80
	s_or_b32 s12, s13, s12
	s_wait_alu 0xfffe
	s_and_b32 s12, s14, s12
	s_wait_alu 0xfffe
	s_xor_b32 s13, s12, -1
	s_wait_alu 0xfffe
	s_and_saveexec_b32 s14, s13
	s_wait_alu 0xfffe
	s_xor_b32 s13, exec_lo, s14
; %bb.187:                              ;   in Loop: Header=BB149_2 Depth=1
	v_lshlrev_b32_e32 v37, 3, v120
	ds_load_b64 v[45:46], v37 offset:8
; %bb.188:                              ;   in Loop: Header=BB149_2 Depth=1
	s_wait_alu 0xfffe
	s_or_saveexec_b32 s13, s13
	v_dual_mov_b32 v48, v44 :: v_dual_mov_b32 v47, v43
	s_wait_alu 0xfffe
	s_xor_b32 exec_lo, exec_lo, s13
	s_cbranch_execz .LBB149_190
; %bb.189:                              ;   in Loop: Header=BB149_2 Depth=1
	s_wait_dscnt 0x0
	v_dual_mov_b32 v46, v40 :: v_dual_lshlrev_b32 v37, 3, v121
	v_mov_b32_e32 v45, v39
	ds_load_b64 v[47:48], v37 offset:8
.LBB149_190:                            ;   in Loop: Header=BB149_2 Depth=1
	s_or_b32 exec_lo, exec_lo, s13
	v_add_nc_u32_e32 v37, 1, v120
	v_add_nc_u32_e32 v38, 1, v121
	s_wait_dscnt 0x0
	v_cmp_lt_i64_e64 s13, v[47:48], v[45:46]
	s_delay_alu instid0(VALU_DEP_3) | instskip(NEXT) | instid1(VALU_DEP_3)
	v_cndmask_b32_e64 v122, v37, v120, s12
	v_cndmask_b32_e64 v123, v121, v38, s12
                                        ; implicit-def: $vgpr37_vgpr38
	s_delay_alu instid0(VALU_DEP_2) | instskip(NEXT) | instid1(VALU_DEP_2)
	v_cmp_ge_i32_e64 s14, v122, v79
	v_cmp_lt_i32_e64 s15, v123, v80
	s_or_b32 s13, s14, s13
	s_wait_alu 0xfffe
	s_and_b32 s13, s15, s13
	s_wait_alu 0xfffe
	s_xor_b32 s14, s13, -1
	s_wait_alu 0xfffe
	s_and_saveexec_b32 s15, s14
	s_wait_alu 0xfffe
	s_xor_b32 s14, exec_lo, s15
; %bb.191:                              ;   in Loop: Header=BB149_2 Depth=1
	v_lshlrev_b32_e32 v37, 3, v122
	ds_load_b64 v[37:38], v37 offset:8
; %bb.192:                              ;   in Loop: Header=BB149_2 Depth=1
	s_wait_alu 0xfffe
	s_or_saveexec_b32 s14, s14
	v_dual_mov_b32 v41, v47 :: v_dual_mov_b32 v42, v48
	s_wait_alu 0xfffe
	s_xor_b32 exec_lo, exec_lo, s14
	s_cbranch_execz .LBB149_194
; %bb.193:                              ;   in Loop: Header=BB149_2 Depth=1
	s_wait_dscnt 0x0
	v_lshlrev_b32_e32 v37, 3, v123
	ds_load_b64 v[41:42], v37 offset:8
	v_dual_mov_b32 v37, v45 :: v_dual_mov_b32 v38, v46
.LBB149_194:                            ;   in Loop: Header=BB149_2 Depth=1
	s_or_b32 exec_lo, exec_lo, s14
	v_add_nc_u32_e32 v125, 1, v122
	v_add_nc_u32_e32 v124, 1, v123
	v_cndmask_b32_e64 v46, v46, v48, s13
	v_cndmask_b32_e64 v45, v45, v47, s13
	;; [unrolled: 1-line block ×7, first 2 shown]
	s_wait_dscnt 0x0
	v_cmp_lt_i64_e64 s10, v[41:42], v[37:38]
	v_cndmask_b32_e64 v34, v34, v36, s11
	v_cndmask_b32_e64 v33, v33, v35, s11
	;; [unrolled: 1-line block ×3, first 2 shown]
	v_cmp_ge_i32_e64 s11, v48, v79
	v_cndmask_b32_e64 v40, v40, v44, s12
	v_cndmask_b32_e64 v39, v39, v43, s12
	;; [unrolled: 1-line block ×3, first 2 shown]
	v_cmp_lt_i32_e64 s12, v47, v80
	v_cndmask_b32_e64 v44, v50, v49, s7
	v_cndmask_b32_e64 v36, v51, v52, s8
	s_or_b32 s10, s11, s10
	v_cndmask_b32_e64 v32, v114, v115, s9
	s_wait_alu 0xfffe
	s_and_b32 s10, s12, s10
	v_cndmask_b32_e64 v122, v122, v123, s13
	v_cndmask_b32_e64 v26, v26, v28, s9
	s_wait_alu 0xfffe
	v_cndmask_b32_e64 v28, v38, v42, s10
	v_cndmask_b32_e64 v38, v48, v47, s10
	s_wait_loadcnt 0x0
	s_barrier_signal -1
	s_barrier_wait -1
	global_inv scope:SCOPE_SE
	ds_store_2addr_b64 v53, v[13:14], v[15:16] offset1:1
	ds_store_2addr_b64 v53, v[9:10], v[11:12] offset0:2 offset1:3
	ds_store_2addr_b64 v53, v[5:6], v[7:8] offset0:4 offset1:5
	;; [unrolled: 1-line block ×3, first 2 shown]
	v_lshlrev_b32_e32 v1, 3, v44
	v_lshlrev_b32_e32 v2, 3, v36
	;; [unrolled: 1-line block ×6, first 2 shown]
	s_wait_loadcnt_dscnt 0x0
	s_barrier_signal -1
	s_barrier_wait -1
	global_inv scope:SCOPE_SE
	v_lshlrev_b32_e32 v31, 3, v122
	v_lshlrev_b32_e32 v32, 3, v38
	ds_load_b64 v[13:14], v1
	ds_load_b64 v[15:16], v2
	;; [unrolled: 1-line block ×8, first 2 shown]
	v_cndmask_b32_e64 v22, v22, v24, s8
	v_cndmask_b32_e64 v21, v21, v23, s8
	;; [unrolled: 1-line block ×6, first 2 shown]
	s_wait_loadcnt_dscnt 0x0
	s_barrier_signal -1
	s_barrier_wait -1
	global_inv scope:SCOPE_SE
	ds_store_2addr_b64 v53, v[17:18], v[21:22] offset1:1
	ds_store_2addr_b64 v53, v[25:26], v[29:30] offset0:2 offset1:3
	ds_store_2addr_b64 v53, v[33:34], v[39:40] offset0:4 offset1:5
	ds_store_2addr_b64 v53, v[45:46], v[27:28] offset0:6 offset1:7
	v_mov_b32_e32 v21, v112
	s_wait_loadcnt_dscnt 0x0
	s_barrier_signal -1
	s_barrier_wait -1
	global_inv scope:SCOPE_SE
	s_and_saveexec_b32 s8, s6
	s_cbranch_execz .LBB149_198
; %bb.195:                              ;   in Loop: Header=BB149_2 Depth=1
	v_mov_b32_e32 v21, v112
	v_mov_b32_e32 v17, v105
	s_mov_b32 s9, 0
.LBB149_196:                            ;   Parent Loop BB149_2 Depth=1
                                        ; =>  This Inner Loop Header: Depth=2
	s_delay_alu instid0(VALU_DEP_1) | instskip(NEXT) | instid1(VALU_DEP_1)
	v_sub_nc_u32_e32 v18, v17, v21
	v_lshrrev_b32_e32 v18, 1, v18
	s_delay_alu instid0(VALU_DEP_1) | instskip(NEXT) | instid1(VALU_DEP_1)
	v_add_nc_u32_e32 v20, v18, v21
	v_not_b32_e32 v18, v20
	v_lshl_add_u32 v19, v20, 3, v84
	s_delay_alu instid0(VALU_DEP_2)
	v_lshl_add_u32 v22, v18, 3, v98
	ds_load_b64 v[18:19], v19
	ds_load_b64 v[22:23], v22
	s_wait_dscnt 0x0
	v_cmp_lt_i64_e64 s7, v[22:23], v[18:19]
	v_add_nc_u32_e32 v18, 1, v20
	s_wait_alu 0xf1ff
	s_delay_alu instid0(VALU_DEP_2) | instskip(NEXT) | instid1(VALU_DEP_2)
	v_cndmask_b32_e64 v17, v17, v20, s7
	v_cndmask_b32_e64 v21, v18, v21, s7
	s_delay_alu instid0(VALU_DEP_1)
	v_cmp_ge_i32_e64 s7, v21, v17
	s_wait_alu 0xfffe
	s_or_b32 s9, s7, s9
	s_wait_alu 0xfffe
	s_and_not1_b32 exec_lo, exec_lo, s9
	s_cbranch_execnz .LBB149_196
; %bb.197:                              ;   in Loop: Header=BB149_2 Depth=1
	s_or_b32 exec_lo, exec_lo, s9
.LBB149_198:                            ;   in Loop: Header=BB149_2 Depth=1
	s_wait_alu 0xfffe
	s_or_b32 exec_lo, exec_lo, s8
	v_sub_nc_u32_e32 v49, v91, v21
	v_lshl_add_u32 v23, v21, 3, v84
	v_add_nc_u32_e32 v50, v21, v60
                                        ; implicit-def: $vgpr21_vgpr22
	s_delay_alu instid0(VALU_DEP_3) | instskip(SKIP_1) | instid1(VALU_DEP_3)
	v_lshlrev_b32_e32 v25, 3, v49
	v_cmp_gt_i32_e64 s9, v83, v49
	v_cmp_le_i32_e64 s8, v82, v50
	ds_load_b64 v[17:18], v23
	ds_load_b64 v[19:20], v25
	s_wait_dscnt 0x0
	v_cmp_lt_i64_e64 s7, v[19:20], v[17:18]
	s_or_b32 s7, s8, s7
	s_wait_alu 0xfffe
	s_and_b32 s7, s9, s7
	s_wait_alu 0xfffe
	s_xor_b32 s8, s7, -1
	s_wait_alu 0xfffe
	s_and_saveexec_b32 s9, s8
	s_wait_alu 0xfffe
	s_xor_b32 s8, exec_lo, s9
; %bb.199:                              ;   in Loop: Header=BB149_2 Depth=1
	ds_load_b64 v[21:22], v23 offset:8
                                        ; implicit-def: $vgpr25
; %bb.200:                              ;   in Loop: Header=BB149_2 Depth=1
	s_wait_alu 0xfffe
	s_or_saveexec_b32 s8, s8
	v_dual_mov_b32 v24, v20 :: v_dual_mov_b32 v23, v19
	s_wait_alu 0xfffe
	s_xor_b32 exec_lo, exec_lo, s8
	s_cbranch_execz .LBB149_202
; %bb.201:                              ;   in Loop: Header=BB149_2 Depth=1
	ds_load_b64 v[23:24], v25 offset:8
	s_wait_dscnt 0x1
	v_dual_mov_b32 v22, v18 :: v_dual_mov_b32 v21, v17
.LBB149_202:                            ;   in Loop: Header=BB149_2 Depth=1
	s_or_b32 exec_lo, exec_lo, s8
	v_add_nc_u32_e32 v25, 1, v50
	v_add_nc_u32_e32 v26, 1, v49
	s_wait_dscnt 0x0
	v_cmp_lt_i64_e64 s8, v[23:24], v[21:22]
	s_delay_alu instid0(VALU_DEP_3) | instskip(NEXT) | instid1(VALU_DEP_3)
	v_cndmask_b32_e64 v51, v25, v50, s7
	v_cndmask_b32_e64 v52, v49, v26, s7
                                        ; implicit-def: $vgpr25_vgpr26
	s_delay_alu instid0(VALU_DEP_2) | instskip(NEXT) | instid1(VALU_DEP_2)
	v_cmp_ge_i32_e64 s9, v51, v82
	v_cmp_lt_i32_e64 s10, v52, v83
	s_or_b32 s8, s9, s8
	s_wait_alu 0xfffe
	s_and_b32 s8, s10, s8
	s_wait_alu 0xfffe
	s_xor_b32 s9, s8, -1
	s_wait_alu 0xfffe
	s_and_saveexec_b32 s10, s9
	s_wait_alu 0xfffe
	s_xor_b32 s9, exec_lo, s10
; %bb.203:                              ;   in Loop: Header=BB149_2 Depth=1
	v_lshlrev_b32_e32 v25, 3, v51
	ds_load_b64 v[25:26], v25 offset:8
; %bb.204:                              ;   in Loop: Header=BB149_2 Depth=1
	s_wait_alu 0xfffe
	s_or_saveexec_b32 s9, s9
	v_dual_mov_b32 v28, v24 :: v_dual_mov_b32 v27, v23
	s_wait_alu 0xfffe
	s_xor_b32 exec_lo, exec_lo, s9
	s_cbranch_execz .LBB149_206
; %bb.205:                              ;   in Loop: Header=BB149_2 Depth=1
	s_wait_dscnt 0x0
	v_lshlrev_b32_e32 v25, 3, v52
	ds_load_b64 v[27:28], v25 offset:8
	v_dual_mov_b32 v26, v22 :: v_dual_mov_b32 v25, v21
.LBB149_206:                            ;   in Loop: Header=BB149_2 Depth=1
	s_or_b32 exec_lo, exec_lo, s9
	v_add_nc_u32_e32 v29, 1, v51
	v_add_nc_u32_e32 v30, 1, v52
	s_wait_dscnt 0x0
	v_cmp_lt_i64_e64 s9, v[27:28], v[25:26]
	s_delay_alu instid0(VALU_DEP_3) | instskip(NEXT) | instid1(VALU_DEP_3)
	v_cndmask_b32_e64 v114, v29, v51, s8
	v_cndmask_b32_e64 v115, v52, v30, s8
                                        ; implicit-def: $vgpr29_vgpr30
	s_delay_alu instid0(VALU_DEP_2) | instskip(NEXT) | instid1(VALU_DEP_2)
	v_cmp_ge_i32_e64 s10, v114, v82
	v_cmp_lt_i32_e64 s11, v115, v83
	s_or_b32 s9, s10, s9
	s_wait_alu 0xfffe
	s_and_b32 s9, s11, s9
	s_wait_alu 0xfffe
	s_xor_b32 s10, s9, -1
	s_wait_alu 0xfffe
	s_and_saveexec_b32 s11, s10
	s_wait_alu 0xfffe
	s_xor_b32 s10, exec_lo, s11
; %bb.207:                              ;   in Loop: Header=BB149_2 Depth=1
	v_lshlrev_b32_e32 v29, 3, v114
	ds_load_b64 v[29:30], v29 offset:8
; %bb.208:                              ;   in Loop: Header=BB149_2 Depth=1
	s_wait_alu 0xfffe
	s_or_saveexec_b32 s10, s10
	v_dual_mov_b32 v32, v28 :: v_dual_mov_b32 v31, v27
	s_wait_alu 0xfffe
	s_xor_b32 exec_lo, exec_lo, s10
	s_cbranch_execz .LBB149_210
; %bb.209:                              ;   in Loop: Header=BB149_2 Depth=1
	s_wait_dscnt 0x0
	v_lshlrev_b32_e32 v29, 3, v115
	ds_load_b64 v[31:32], v29 offset:8
	v_dual_mov_b32 v30, v26 :: v_dual_mov_b32 v29, v25
.LBB149_210:                            ;   in Loop: Header=BB149_2 Depth=1
	s_or_b32 exec_lo, exec_lo, s10
	v_add_nc_u32_e32 v33, 1, v114
	v_add_nc_u32_e32 v34, 1, v115
	s_wait_dscnt 0x0
	v_cmp_lt_i64_e64 s10, v[31:32], v[29:30]
	s_delay_alu instid0(VALU_DEP_3) | instskip(NEXT) | instid1(VALU_DEP_3)
	v_cndmask_b32_e64 v116, v33, v114, s9
	v_cndmask_b32_e64 v117, v115, v34, s9
                                        ; implicit-def: $vgpr33_vgpr34
	s_delay_alu instid0(VALU_DEP_2) | instskip(NEXT) | instid1(VALU_DEP_2)
	v_cmp_ge_i32_e64 s11, v116, v82
	v_cmp_lt_i32_e64 s12, v117, v83
	s_or_b32 s10, s11, s10
	s_wait_alu 0xfffe
	s_and_b32 s10, s12, s10
	s_wait_alu 0xfffe
	s_xor_b32 s11, s10, -1
	s_wait_alu 0xfffe
	s_and_saveexec_b32 s12, s11
	s_wait_alu 0xfffe
	s_xor_b32 s11, exec_lo, s12
; %bb.211:                              ;   in Loop: Header=BB149_2 Depth=1
	v_lshlrev_b32_e32 v33, 3, v116
	ds_load_b64 v[33:34], v33 offset:8
; %bb.212:                              ;   in Loop: Header=BB149_2 Depth=1
	s_wait_alu 0xfffe
	s_or_saveexec_b32 s11, s11
	v_dual_mov_b32 v36, v32 :: v_dual_mov_b32 v35, v31
	s_wait_alu 0xfffe
	s_xor_b32 exec_lo, exec_lo, s11
	s_cbranch_execz .LBB149_214
; %bb.213:                              ;   in Loop: Header=BB149_2 Depth=1
	s_wait_dscnt 0x0
	v_lshlrev_b32_e32 v33, 3, v117
	ds_load_b64 v[35:36], v33 offset:8
	v_dual_mov_b32 v34, v30 :: v_dual_mov_b32 v33, v29
.LBB149_214:                            ;   in Loop: Header=BB149_2 Depth=1
	s_or_b32 exec_lo, exec_lo, s11
	v_add_nc_u32_e32 v37, 1, v116
	v_add_nc_u32_e32 v38, 1, v117
	s_wait_dscnt 0x0
	v_cmp_lt_i64_e64 s11, v[35:36], v[33:34]
                                        ; implicit-def: $vgpr39_vgpr40
	s_delay_alu instid0(VALU_DEP_3) | instskip(NEXT) | instid1(VALU_DEP_3)
	v_cndmask_b32_e64 v118, v37, v116, s10
	v_cndmask_b32_e64 v119, v117, v38, s10
	s_delay_alu instid0(VALU_DEP_2) | instskip(NEXT) | instid1(VALU_DEP_2)
	v_cmp_ge_i32_e64 s12, v118, v82
	v_cmp_lt_i32_e64 s13, v119, v83
	s_or_b32 s11, s12, s11
	s_wait_alu 0xfffe
	s_and_b32 s11, s13, s11
	s_wait_alu 0xfffe
	s_xor_b32 s12, s11, -1
	s_wait_alu 0xfffe
	s_and_saveexec_b32 s13, s12
	s_wait_alu 0xfffe
	s_xor_b32 s12, exec_lo, s13
; %bb.215:                              ;   in Loop: Header=BB149_2 Depth=1
	v_lshlrev_b32_e32 v37, 3, v118
	ds_load_b64 v[39:40], v37 offset:8
; %bb.216:                              ;   in Loop: Header=BB149_2 Depth=1
	s_wait_alu 0xfffe
	s_or_saveexec_b32 s12, s12
	v_dual_mov_b32 v44, v36 :: v_dual_mov_b32 v43, v35
	s_wait_alu 0xfffe
	s_xor_b32 exec_lo, exec_lo, s12
	s_cbranch_execz .LBB149_218
; %bb.217:                              ;   in Loop: Header=BB149_2 Depth=1
	s_wait_dscnt 0x0
	v_dual_mov_b32 v40, v34 :: v_dual_lshlrev_b32 v37, 3, v119
	v_mov_b32_e32 v39, v33
	ds_load_b64 v[43:44], v37 offset:8
.LBB149_218:                            ;   in Loop: Header=BB149_2 Depth=1
	s_or_b32 exec_lo, exec_lo, s12
	v_add_nc_u32_e32 v37, 1, v118
	v_add_nc_u32_e32 v38, 1, v119
	s_wait_dscnt 0x0
	v_cmp_lt_i64_e64 s12, v[43:44], v[39:40]
                                        ; implicit-def: $vgpr45_vgpr46
	s_delay_alu instid0(VALU_DEP_3) | instskip(NEXT) | instid1(VALU_DEP_3)
	v_cndmask_b32_e64 v120, v37, v118, s11
	v_cndmask_b32_e64 v121, v119, v38, s11
	s_delay_alu instid0(VALU_DEP_2) | instskip(NEXT) | instid1(VALU_DEP_2)
	v_cmp_ge_i32_e64 s13, v120, v82
	v_cmp_lt_i32_e64 s14, v121, v83
	s_or_b32 s12, s13, s12
	s_wait_alu 0xfffe
	s_and_b32 s12, s14, s12
	s_wait_alu 0xfffe
	s_xor_b32 s13, s12, -1
	s_wait_alu 0xfffe
	s_and_saveexec_b32 s14, s13
	s_wait_alu 0xfffe
	s_xor_b32 s13, exec_lo, s14
; %bb.219:                              ;   in Loop: Header=BB149_2 Depth=1
	v_lshlrev_b32_e32 v37, 3, v120
	ds_load_b64 v[45:46], v37 offset:8
; %bb.220:                              ;   in Loop: Header=BB149_2 Depth=1
	s_wait_alu 0xfffe
	s_or_saveexec_b32 s13, s13
	v_dual_mov_b32 v48, v44 :: v_dual_mov_b32 v47, v43
	s_wait_alu 0xfffe
	s_xor_b32 exec_lo, exec_lo, s13
	s_cbranch_execz .LBB149_222
; %bb.221:                              ;   in Loop: Header=BB149_2 Depth=1
	s_wait_dscnt 0x0
	v_dual_mov_b32 v46, v40 :: v_dual_lshlrev_b32 v37, 3, v121
	v_mov_b32_e32 v45, v39
	ds_load_b64 v[47:48], v37 offset:8
.LBB149_222:                            ;   in Loop: Header=BB149_2 Depth=1
	s_or_b32 exec_lo, exec_lo, s13
	v_add_nc_u32_e32 v37, 1, v120
	v_add_nc_u32_e32 v38, 1, v121
	s_wait_dscnt 0x0
	v_cmp_lt_i64_e64 s13, v[47:48], v[45:46]
	s_delay_alu instid0(VALU_DEP_3) | instskip(NEXT) | instid1(VALU_DEP_3)
	v_cndmask_b32_e64 v122, v37, v120, s12
	v_cndmask_b32_e64 v123, v121, v38, s12
                                        ; implicit-def: $vgpr37_vgpr38
	s_delay_alu instid0(VALU_DEP_2) | instskip(NEXT) | instid1(VALU_DEP_2)
	v_cmp_ge_i32_e64 s14, v122, v82
	v_cmp_lt_i32_e64 s15, v123, v83
	s_or_b32 s13, s14, s13
	s_wait_alu 0xfffe
	s_and_b32 s13, s15, s13
	s_wait_alu 0xfffe
	s_xor_b32 s14, s13, -1
	s_wait_alu 0xfffe
	s_and_saveexec_b32 s15, s14
	s_wait_alu 0xfffe
	s_xor_b32 s14, exec_lo, s15
; %bb.223:                              ;   in Loop: Header=BB149_2 Depth=1
	v_lshlrev_b32_e32 v37, 3, v122
	ds_load_b64 v[37:38], v37 offset:8
; %bb.224:                              ;   in Loop: Header=BB149_2 Depth=1
	s_wait_alu 0xfffe
	s_or_saveexec_b32 s14, s14
	v_dual_mov_b32 v41, v47 :: v_dual_mov_b32 v42, v48
	s_wait_alu 0xfffe
	s_xor_b32 exec_lo, exec_lo, s14
	s_cbranch_execz .LBB149_226
; %bb.225:                              ;   in Loop: Header=BB149_2 Depth=1
	s_wait_dscnt 0x0
	v_lshlrev_b32_e32 v37, 3, v123
	ds_load_b64 v[41:42], v37 offset:8
	v_dual_mov_b32 v37, v45 :: v_dual_mov_b32 v38, v46
.LBB149_226:                            ;   in Loop: Header=BB149_2 Depth=1
	s_or_b32 exec_lo, exec_lo, s14
	v_add_nc_u32_e32 v125, 1, v122
	v_add_nc_u32_e32 v124, 1, v123
	v_cndmask_b32_e64 v46, v46, v48, s13
	v_cndmask_b32_e64 v45, v45, v47, s13
	;; [unrolled: 1-line block ×7, first 2 shown]
	s_wait_dscnt 0x0
	v_cmp_lt_i64_e64 s10, v[41:42], v[37:38]
	v_cndmask_b32_e64 v34, v34, v36, s11
	v_cndmask_b32_e64 v33, v33, v35, s11
	;; [unrolled: 1-line block ×3, first 2 shown]
	v_cmp_ge_i32_e64 s11, v48, v82
	v_cndmask_b32_e64 v40, v40, v44, s12
	v_cndmask_b32_e64 v39, v39, v43, s12
	;; [unrolled: 1-line block ×3, first 2 shown]
	v_cmp_lt_i32_e64 s12, v47, v83
	v_cndmask_b32_e64 v44, v50, v49, s7
	v_cndmask_b32_e64 v36, v51, v52, s8
	s_or_b32 s10, s11, s10
	v_cndmask_b32_e64 v32, v114, v115, s9
	s_wait_alu 0xfffe
	s_and_b32 s10, s12, s10
	v_cndmask_b32_e64 v122, v122, v123, s13
	v_cndmask_b32_e64 v26, v26, v28, s9
	s_wait_alu 0xfffe
	v_cndmask_b32_e64 v28, v38, v42, s10
	v_cndmask_b32_e64 v38, v48, v47, s10
	s_wait_loadcnt 0x0
	s_barrier_signal -1
	s_barrier_wait -1
	global_inv scope:SCOPE_SE
	ds_store_2addr_b64 v53, v[13:14], v[15:16] offset1:1
	ds_store_2addr_b64 v53, v[9:10], v[11:12] offset0:2 offset1:3
	ds_store_2addr_b64 v53, v[5:6], v[7:8] offset0:4 offset1:5
	;; [unrolled: 1-line block ×3, first 2 shown]
	v_lshlrev_b32_e32 v1, 3, v44
	v_lshlrev_b32_e32 v2, 3, v36
	;; [unrolled: 1-line block ×6, first 2 shown]
	s_wait_loadcnt_dscnt 0x0
	s_barrier_signal -1
	s_barrier_wait -1
	global_inv scope:SCOPE_SE
	v_lshlrev_b32_e32 v31, 3, v122
	v_lshlrev_b32_e32 v32, 3, v38
	ds_load_b64 v[13:14], v1
	ds_load_b64 v[15:16], v2
	;; [unrolled: 1-line block ×8, first 2 shown]
	v_cndmask_b32_e64 v22, v22, v24, s8
	v_cndmask_b32_e64 v21, v21, v23, s8
	;; [unrolled: 1-line block ×6, first 2 shown]
	s_wait_loadcnt_dscnt 0x0
	s_barrier_signal -1
	s_barrier_wait -1
	global_inv scope:SCOPE_SE
	ds_store_2addr_b64 v53, v[17:18], v[21:22] offset1:1
	ds_store_2addr_b64 v53, v[25:26], v[29:30] offset0:2 offset1:3
	ds_store_2addr_b64 v53, v[33:34], v[39:40] offset0:4 offset1:5
	;; [unrolled: 1-line block ×3, first 2 shown]
	v_mov_b32_e32 v29, v61
	s_wait_loadcnt_dscnt 0x0
	s_barrier_signal -1
	s_barrier_wait -1
	global_inv scope:SCOPE_SE
	s_and_saveexec_b32 s8, vcc_lo
	s_cbranch_execz .LBB149_230
; %bb.227:                              ;   in Loop: Header=BB149_2 Depth=1
	v_mov_b32_e32 v29, v61
	v_mov_b32_e32 v17, v62
	s_mov_b32 s9, 0
.LBB149_228:                            ;   Parent Loop BB149_2 Depth=1
                                        ; =>  This Inner Loop Header: Depth=2
	s_delay_alu instid0(VALU_DEP_1) | instskip(NEXT) | instid1(VALU_DEP_1)
	v_sub_nc_u32_e32 v18, v17, v29
	v_lshrrev_b32_e32 v18, 1, v18
	s_delay_alu instid0(VALU_DEP_1) | instskip(NEXT) | instid1(VALU_DEP_1)
	v_add_nc_u32_e32 v22, v18, v29
	v_not_b32_e32 v18, v22
	v_lshlrev_b32_e32 v19, 3, v22
	s_delay_alu instid0(VALU_DEP_2)
	v_lshl_add_u32 v20, v18, 3, v113
	ds_load_b64 v[18:19], v19
	ds_load_b64 v[20:21], v20
	s_wait_dscnt 0x0
	v_cmp_lt_i64_e64 s7, v[20:21], v[18:19]
	v_add_nc_u32_e32 v18, 1, v22
	s_wait_alu 0xf1ff
	s_delay_alu instid0(VALU_DEP_2) | instskip(NEXT) | instid1(VALU_DEP_2)
	v_cndmask_b32_e64 v17, v17, v22, s7
	v_cndmask_b32_e64 v29, v18, v29, s7
	s_delay_alu instid0(VALU_DEP_1)
	v_cmp_ge_i32_e64 s7, v29, v17
	s_wait_alu 0xfffe
	s_or_b32 s9, s7, s9
	s_wait_alu 0xfffe
	s_and_not1_b32 exec_lo, exec_lo, s9
	s_cbranch_execnz .LBB149_228
; %bb.229:                              ;   in Loop: Header=BB149_2 Depth=1
	s_or_b32 exec_lo, exec_lo, s9
.LBB149_230:                            ;   in Loop: Header=BB149_2 Depth=1
	s_wait_alu 0xfffe
	s_or_b32 exec_lo, exec_lo, s8
	v_sub_nc_u32_e32 v30, v63, v29
	v_lshlrev_b32_e32 v23, 3, v29
	v_cmp_le_i32_e64 s8, 0x400, v29
                                        ; implicit-def: $vgpr21_vgpr22
	s_delay_alu instid0(VALU_DEP_3)
	v_lshlrev_b32_e32 v25, 3, v30
	v_cmp_gt_i32_e64 s9, 0x800, v30
	ds_load_b64 v[17:18], v23
	ds_load_b64 v[19:20], v25
	s_wait_dscnt 0x0
	v_cmp_lt_i64_e64 s7, v[19:20], v[17:18]
	s_or_b32 s7, s8, s7
	s_wait_alu 0xfffe
	s_and_b32 s7, s9, s7
	s_wait_alu 0xfffe
	s_xor_b32 s8, s7, -1
	s_wait_alu 0xfffe
	s_and_saveexec_b32 s9, s8
	s_wait_alu 0xfffe
	s_xor_b32 s8, exec_lo, s9
; %bb.231:                              ;   in Loop: Header=BB149_2 Depth=1
	ds_load_b64 v[21:22], v23 offset:8
                                        ; implicit-def: $vgpr25
; %bb.232:                              ;   in Loop: Header=BB149_2 Depth=1
	s_wait_alu 0xfffe
	s_or_saveexec_b32 s8, s8
	v_dual_mov_b32 v24, v20 :: v_dual_mov_b32 v23, v19
	s_wait_alu 0xfffe
	s_xor_b32 exec_lo, exec_lo, s8
	s_cbranch_execz .LBB149_234
; %bb.233:                              ;   in Loop: Header=BB149_2 Depth=1
	ds_load_b64 v[23:24], v25 offset:8
	s_wait_dscnt 0x1
	v_dual_mov_b32 v22, v18 :: v_dual_mov_b32 v21, v17
.LBB149_234:                            ;   in Loop: Header=BB149_2 Depth=1
	s_or_b32 exec_lo, exec_lo, s8
	v_add_nc_u32_e32 v25, 1, v29
	v_add_nc_u32_e32 v26, 1, v30
	s_wait_dscnt 0x0
	v_cmp_lt_i64_e64 s8, v[23:24], v[21:22]
	s_delay_alu instid0(VALU_DEP_3) | instskip(NEXT) | instid1(VALU_DEP_3)
	v_cndmask_b32_e64 v31, v25, v29, s7
	v_cndmask_b32_e64 v32, v30, v26, s7
                                        ; implicit-def: $vgpr25_vgpr26
	s_delay_alu instid0(VALU_DEP_2) | instskip(NEXT) | instid1(VALU_DEP_2)
	v_cmp_le_i32_e64 s9, 0x400, v31
	v_cmp_gt_i32_e64 s10, 0x800, v32
	s_or_b32 s8, s9, s8
	s_wait_alu 0xfffe
	s_and_b32 s8, s10, s8
	s_wait_alu 0xfffe
	s_xor_b32 s9, s8, -1
	s_wait_alu 0xfffe
	s_and_saveexec_b32 s10, s9
	s_wait_alu 0xfffe
	s_xor_b32 s9, exec_lo, s10
; %bb.235:                              ;   in Loop: Header=BB149_2 Depth=1
	v_lshlrev_b32_e32 v25, 3, v31
	ds_load_b64 v[25:26], v25 offset:8
; %bb.236:                              ;   in Loop: Header=BB149_2 Depth=1
	s_wait_alu 0xfffe
	s_or_saveexec_b32 s9, s9
	v_dual_mov_b32 v28, v24 :: v_dual_mov_b32 v27, v23
	s_wait_alu 0xfffe
	s_xor_b32 exec_lo, exec_lo, s9
	s_cbranch_execz .LBB149_238
; %bb.237:                              ;   in Loop: Header=BB149_2 Depth=1
	s_wait_dscnt 0x0
	v_lshlrev_b32_e32 v25, 3, v32
	ds_load_b64 v[27:28], v25 offset:8
	v_dual_mov_b32 v26, v22 :: v_dual_mov_b32 v25, v21
.LBB149_238:                            ;   in Loop: Header=BB149_2 Depth=1
	s_or_b32 exec_lo, exec_lo, s9
	v_add_nc_u32_e32 v33, 1, v31
	v_add_nc_u32_e32 v34, 1, v32
	s_wait_dscnt 0x0
	v_cmp_lt_i64_e64 s9, v[27:28], v[25:26]
	s_delay_alu instid0(VALU_DEP_3) | instskip(NEXT) | instid1(VALU_DEP_3)
	v_cndmask_b32_e64 v114, v33, v31, s8
	v_cndmask_b32_e64 v115, v32, v34, s8
                                        ; implicit-def: $vgpr33_vgpr34
	s_delay_alu instid0(VALU_DEP_2) | instskip(NEXT) | instid1(VALU_DEP_2)
	v_cmp_le_i32_e64 s10, 0x400, v114
	v_cmp_gt_i32_e64 s11, 0x800, v115
	s_or_b32 s9, s10, s9
	s_wait_alu 0xfffe
	s_and_b32 s9, s11, s9
	s_wait_alu 0xfffe
	s_xor_b32 s10, s9, -1
	s_wait_alu 0xfffe
	s_and_saveexec_b32 s11, s10
	s_wait_alu 0xfffe
	s_xor_b32 s10, exec_lo, s11
; %bb.239:                              ;   in Loop: Header=BB149_2 Depth=1
	v_lshlrev_b32_e32 v33, 3, v114
	ds_load_b64 v[33:34], v33 offset:8
; %bb.240:                              ;   in Loop: Header=BB149_2 Depth=1
	s_wait_alu 0xfffe
	s_or_saveexec_b32 s10, s10
	v_dual_mov_b32 v36, v28 :: v_dual_mov_b32 v35, v27
	s_wait_alu 0xfffe
	s_xor_b32 exec_lo, exec_lo, s10
	s_cbranch_execz .LBB149_242
; %bb.241:                              ;   in Loop: Header=BB149_2 Depth=1
	s_wait_dscnt 0x0
	v_lshlrev_b32_e32 v33, 3, v115
	ds_load_b64 v[35:36], v33 offset:8
	v_dual_mov_b32 v34, v26 :: v_dual_mov_b32 v33, v25
.LBB149_242:                            ;   in Loop: Header=BB149_2 Depth=1
	s_or_b32 exec_lo, exec_lo, s10
	v_add_nc_u32_e32 v37, 1, v114
	v_add_nc_u32_e32 v38, 1, v115
	s_wait_dscnt 0x0
	v_cmp_lt_i64_e64 s10, v[35:36], v[33:34]
	s_delay_alu instid0(VALU_DEP_3) | instskip(NEXT) | instid1(VALU_DEP_3)
	v_cndmask_b32_e64 v116, v37, v114, s9
	v_cndmask_b32_e64 v117, v115, v38, s9
                                        ; implicit-def: $vgpr37_vgpr38
	s_delay_alu instid0(VALU_DEP_2) | instskip(NEXT) | instid1(VALU_DEP_2)
	v_cmp_le_i32_e64 s11, 0x400, v116
	v_cmp_gt_i32_e64 s12, 0x800, v117
	s_or_b32 s10, s11, s10
	s_wait_alu 0xfffe
	s_and_b32 s10, s12, s10
	s_wait_alu 0xfffe
	s_xor_b32 s11, s10, -1
	s_wait_alu 0xfffe
	s_and_saveexec_b32 s12, s11
	s_wait_alu 0xfffe
	s_xor_b32 s11, exec_lo, s12
; %bb.243:                              ;   in Loop: Header=BB149_2 Depth=1
	v_lshlrev_b32_e32 v37, 3, v116
	ds_load_b64 v[37:38], v37 offset:8
; %bb.244:                              ;   in Loop: Header=BB149_2 Depth=1
	s_wait_alu 0xfffe
	s_or_saveexec_b32 s11, s11
	v_dual_mov_b32 v40, v36 :: v_dual_mov_b32 v39, v35
	s_wait_alu 0xfffe
	s_xor_b32 exec_lo, exec_lo, s11
	s_cbranch_execz .LBB149_246
; %bb.245:                              ;   in Loop: Header=BB149_2 Depth=1
	s_wait_dscnt 0x0
	v_lshlrev_b32_e32 v37, 3, v117
	ds_load_b64 v[39:40], v37 offset:8
	v_dual_mov_b32 v38, v34 :: v_dual_mov_b32 v37, v33
.LBB149_246:                            ;   in Loop: Header=BB149_2 Depth=1
	s_or_b32 exec_lo, exec_lo, s11
	v_add_nc_u32_e32 v41, 1, v116
	v_add_nc_u32_e32 v42, 1, v117
	s_wait_dscnt 0x0
	v_cmp_lt_i64_e64 s11, v[39:40], v[37:38]
	s_delay_alu instid0(VALU_DEP_3) | instskip(NEXT) | instid1(VALU_DEP_3)
	v_cndmask_b32_e64 v118, v41, v116, s10
	v_cndmask_b32_e64 v119, v117, v42, s10
                                        ; implicit-def: $vgpr41_vgpr42
	s_delay_alu instid0(VALU_DEP_2) | instskip(NEXT) | instid1(VALU_DEP_2)
	v_cmp_le_i32_e64 s12, 0x400, v118
	v_cmp_gt_i32_e64 s13, 0x800, v119
	s_or_b32 s11, s12, s11
	s_wait_alu 0xfffe
	s_and_b32 s11, s13, s11
	s_wait_alu 0xfffe
	s_xor_b32 s12, s11, -1
	s_wait_alu 0xfffe
	s_and_saveexec_b32 s13, s12
	s_wait_alu 0xfffe
	s_xor_b32 s12, exec_lo, s13
; %bb.247:                              ;   in Loop: Header=BB149_2 Depth=1
	v_lshlrev_b32_e32 v41, 3, v118
	ds_load_b64 v[41:42], v41 offset:8
; %bb.248:                              ;   in Loop: Header=BB149_2 Depth=1
	s_wait_alu 0xfffe
	s_or_saveexec_b32 s12, s12
	v_dual_mov_b32 v44, v40 :: v_dual_mov_b32 v43, v39
	s_wait_alu 0xfffe
	s_xor_b32 exec_lo, exec_lo, s12
	s_cbranch_execz .LBB149_250
; %bb.249:                              ;   in Loop: Header=BB149_2 Depth=1
	s_wait_dscnt 0x0
	v_lshlrev_b32_e32 v41, 3, v119
	ds_load_b64 v[43:44], v41 offset:8
	v_dual_mov_b32 v42, v38 :: v_dual_mov_b32 v41, v37
.LBB149_250:                            ;   in Loop: Header=BB149_2 Depth=1
	s_or_b32 exec_lo, exec_lo, s12
	v_add_nc_u32_e32 v45, 1, v118
	v_add_nc_u32_e32 v46, 1, v119
	s_wait_dscnt 0x0
	v_cmp_lt_i64_e64 s12, v[43:44], v[41:42]
	s_delay_alu instid0(VALU_DEP_3) | instskip(NEXT) | instid1(VALU_DEP_3)
	v_cndmask_b32_e64 v120, v45, v118, s11
	v_cndmask_b32_e64 v121, v119, v46, s11
                                        ; implicit-def: $vgpr45_vgpr46
	s_delay_alu instid0(VALU_DEP_2) | instskip(NEXT) | instid1(VALU_DEP_2)
	v_cmp_le_i32_e64 s13, 0x400, v120
	v_cmp_gt_i32_e64 s14, 0x800, v121
	s_or_b32 s12, s13, s12
	s_wait_alu 0xfffe
	s_and_b32 s12, s14, s12
	s_wait_alu 0xfffe
	s_xor_b32 s13, s12, -1
	s_wait_alu 0xfffe
	s_and_saveexec_b32 s14, s13
	s_wait_alu 0xfffe
	s_xor_b32 s13, exec_lo, s14
; %bb.251:                              ;   in Loop: Header=BB149_2 Depth=1
	v_lshlrev_b32_e32 v45, 3, v120
	ds_load_b64 v[45:46], v45 offset:8
; %bb.252:                              ;   in Loop: Header=BB149_2 Depth=1
	s_wait_alu 0xfffe
	s_or_saveexec_b32 s13, s13
	v_dual_mov_b32 v48, v44 :: v_dual_mov_b32 v47, v43
	s_wait_alu 0xfffe
	s_xor_b32 exec_lo, exec_lo, s13
	s_cbranch_execz .LBB149_254
; %bb.253:                              ;   in Loop: Header=BB149_2 Depth=1
	s_wait_dscnt 0x0
	v_lshlrev_b32_e32 v45, 3, v121
	ds_load_b64 v[47:48], v45 offset:8
	v_dual_mov_b32 v46, v42 :: v_dual_mov_b32 v45, v41
.LBB149_254:                            ;   in Loop: Header=BB149_2 Depth=1
	s_or_b32 exec_lo, exec_lo, s13
	v_add_nc_u32_e32 v49, 1, v120
	v_add_nc_u32_e32 v50, 1, v121
	s_wait_dscnt 0x0
	v_cmp_lt_i64_e64 s13, v[47:48], v[45:46]
                                        ; implicit-def: $vgpr124
	s_delay_alu instid0(VALU_DEP_3) | instskip(NEXT) | instid1(VALU_DEP_3)
	v_cndmask_b32_e64 v125, v49, v120, s12
	v_cndmask_b32_e64 v123, v121, v50, s12
                                        ; implicit-def: $vgpr49_vgpr50
	s_delay_alu instid0(VALU_DEP_2) | instskip(NEXT) | instid1(VALU_DEP_2)
	v_cmp_le_i32_e64 s14, 0x400, v125
	v_cmp_gt_i32_e64 s15, 0x800, v123
	s_or_b32 s13, s14, s13
	s_wait_alu 0xfffe
	s_and_b32 s13, s15, s13
	s_wait_alu 0xfffe
	s_xor_b32 s14, s13, -1
	s_wait_alu 0xfffe
	s_and_saveexec_b32 s15, s14
	s_wait_alu 0xfffe
	s_xor_b32 s14, exec_lo, s15
; %bb.255:                              ;   in Loop: Header=BB149_2 Depth=1
	v_lshlrev_b32_e32 v49, 3, v125
	v_add_nc_u32_e32 v124, 1, v125
	ds_load_b64 v[49:50], v49 offset:8
; %bb.256:                              ;   in Loop: Header=BB149_2 Depth=1
	s_wait_alu 0xfffe
	s_or_saveexec_b32 s14, s14
	v_mov_b32_e32 v52, v48
	v_dual_mov_b32 v122, v125 :: v_dual_mov_b32 v51, v47
	s_wait_alu 0xfffe
	s_xor_b32 exec_lo, exec_lo, s14
	s_cbranch_execz .LBB149_1
; %bb.257:                              ;   in Loop: Header=BB149_2 Depth=1
	s_wait_dscnt 0x0
	v_dual_mov_b32 v122, v123 :: v_dual_lshlrev_b32 v49, 3, v123
	v_mov_b32_e32 v124, v125
	ds_load_b64 v[51:52], v49 offset:8
	v_add_nc_u32_e32 v49, 1, v123
	s_delay_alu instid0(VALU_DEP_1)
	v_dual_mov_b32 v123, v49 :: v_dual_mov_b32 v50, v46
	v_mov_b32_e32 v49, v45
	s_branch .LBB149_1
.LBB149_258:
	s_wait_dscnt 0x7
	v_add_co_u32 v15, vcc_lo, v19, v15
	s_delay_alu instid0(VALU_DEP_1)
	v_add_co_ci_u32_e64 v16, null, v20, v16, vcc_lo
	s_wait_dscnt 0x6
	v_add_co_u32 v13, vcc_lo, v31, v13
	s_wait_alu 0xfffd
	v_add_co_ci_u32_e64 v14, null, v32, v14, vcc_lo
	s_wait_dscnt 0x5
	v_add_co_u32 v11, vcc_lo, v29, v11
	s_wait_alu 0xfffd
	;; [unrolled: 4-line block ×4, first 2 shown]
	v_add_co_ci_u32_e64 v8, null, v26, v8, vcc_lo
	s_wait_dscnt 0x2
	v_add_co_u32 v5, vcc_lo, v23, v5
	v_lshlrev_b32_e32 v19, 3, v0
	s_wait_alu 0xfffd
	v_add_co_ci_u32_e64 v6, null, v24, v6, vcc_lo
	s_wait_dscnt 0x1
	v_add_co_u32 v3, vcc_lo, v21, v3
	s_wait_alu 0xfffd
	v_add_co_ci_u32_e64 v4, null, v22, v4, vcc_lo
	s_add_nc_u64 s[0:1], s[46:47], s[48:49]
	s_wait_dscnt 0x0
	v_add_co_u32 v0, vcc_lo, v17, v1
	s_wait_alu 0xfffd
	v_add_co_ci_u32_e64 v1, null, v18, v2, vcc_lo
	s_clause 0x7
	global_store_b64 v19, v[15:16], s[0:1]
	global_store_b64 v19, v[13:14], s[0:1] offset:2048
	global_store_b64 v19, v[11:12], s[0:1] offset:4096
	;; [unrolled: 1-line block ×7, first 2 shown]
	s_nop 0
	s_sendmsg sendmsg(MSG_DEALLOC_VGPRS)
	s_endpgm
	.section	.rodata,"a",@progbits
	.p2align	6, 0x0
	.amdhsa_kernel _Z17sort_pairs_kernelIxLj256ELj8EN10test_utils4lessELj10EEvPKT_PS2_T2_
		.amdhsa_group_segment_fixed_size 16392
		.amdhsa_private_segment_fixed_size 0
		.amdhsa_kernarg_size 20
		.amdhsa_user_sgpr_count 2
		.amdhsa_user_sgpr_dispatch_ptr 0
		.amdhsa_user_sgpr_queue_ptr 0
		.amdhsa_user_sgpr_kernarg_segment_ptr 1
		.amdhsa_user_sgpr_dispatch_id 0
		.amdhsa_user_sgpr_private_segment_size 0
		.amdhsa_wavefront_size32 1
		.amdhsa_uses_dynamic_stack 0
		.amdhsa_enable_private_segment 0
		.amdhsa_system_sgpr_workgroup_id_x 1
		.amdhsa_system_sgpr_workgroup_id_y 0
		.amdhsa_system_sgpr_workgroup_id_z 0
		.amdhsa_system_sgpr_workgroup_info 0
		.amdhsa_system_vgpr_workitem_id 0
		.amdhsa_next_free_vgpr 126
		.amdhsa_next_free_sgpr 52
		.amdhsa_reserve_vcc 1
		.amdhsa_float_round_mode_32 0
		.amdhsa_float_round_mode_16_64 0
		.amdhsa_float_denorm_mode_32 3
		.amdhsa_float_denorm_mode_16_64 3
		.amdhsa_fp16_overflow 0
		.amdhsa_workgroup_processor_mode 1
		.amdhsa_memory_ordered 1
		.amdhsa_forward_progress 1
		.amdhsa_inst_pref_size 142
		.amdhsa_round_robin_scheduling 0
		.amdhsa_exception_fp_ieee_invalid_op 0
		.amdhsa_exception_fp_denorm_src 0
		.amdhsa_exception_fp_ieee_div_zero 0
		.amdhsa_exception_fp_ieee_overflow 0
		.amdhsa_exception_fp_ieee_underflow 0
		.amdhsa_exception_fp_ieee_inexact 0
		.amdhsa_exception_int_div_zero 0
	.end_amdhsa_kernel
	.section	.text._Z17sort_pairs_kernelIxLj256ELj8EN10test_utils4lessELj10EEvPKT_PS2_T2_,"axG",@progbits,_Z17sort_pairs_kernelIxLj256ELj8EN10test_utils4lessELj10EEvPKT_PS2_T2_,comdat
.Lfunc_end149:
	.size	_Z17sort_pairs_kernelIxLj256ELj8EN10test_utils4lessELj10EEvPKT_PS2_T2_, .Lfunc_end149-_Z17sort_pairs_kernelIxLj256ELj8EN10test_utils4lessELj10EEvPKT_PS2_T2_
                                        ; -- End function
	.set _Z17sort_pairs_kernelIxLj256ELj8EN10test_utils4lessELj10EEvPKT_PS2_T2_.num_vgpr, 126
	.set _Z17sort_pairs_kernelIxLj256ELj8EN10test_utils4lessELj10EEvPKT_PS2_T2_.num_agpr, 0
	.set _Z17sort_pairs_kernelIxLj256ELj8EN10test_utils4lessELj10EEvPKT_PS2_T2_.numbered_sgpr, 52
	.set _Z17sort_pairs_kernelIxLj256ELj8EN10test_utils4lessELj10EEvPKT_PS2_T2_.num_named_barrier, 0
	.set _Z17sort_pairs_kernelIxLj256ELj8EN10test_utils4lessELj10EEvPKT_PS2_T2_.private_seg_size, 0
	.set _Z17sort_pairs_kernelIxLj256ELj8EN10test_utils4lessELj10EEvPKT_PS2_T2_.uses_vcc, 1
	.set _Z17sort_pairs_kernelIxLj256ELj8EN10test_utils4lessELj10EEvPKT_PS2_T2_.uses_flat_scratch, 0
	.set _Z17sort_pairs_kernelIxLj256ELj8EN10test_utils4lessELj10EEvPKT_PS2_T2_.has_dyn_sized_stack, 0
	.set _Z17sort_pairs_kernelIxLj256ELj8EN10test_utils4lessELj10EEvPKT_PS2_T2_.has_recursion, 0
	.set _Z17sort_pairs_kernelIxLj256ELj8EN10test_utils4lessELj10EEvPKT_PS2_T2_.has_indirect_call, 0
	.section	.AMDGPU.csdata,"",@progbits
; Kernel info:
; codeLenInByte = 18108
; TotalNumSgprs: 54
; NumVgprs: 126
; ScratchSize: 0
; MemoryBound: 0
; FloatMode: 240
; IeeeMode: 1
; LDSByteSize: 16392 bytes/workgroup (compile time only)
; SGPRBlocks: 0
; VGPRBlocks: 15
; NumSGPRsForWavesPerEU: 54
; NumVGPRsForWavesPerEU: 126
; Occupancy: 10
; WaveLimiterHint : 1
; COMPUTE_PGM_RSRC2:SCRATCH_EN: 0
; COMPUTE_PGM_RSRC2:USER_SGPR: 2
; COMPUTE_PGM_RSRC2:TRAP_HANDLER: 0
; COMPUTE_PGM_RSRC2:TGID_X_EN: 1
; COMPUTE_PGM_RSRC2:TGID_Y_EN: 0
; COMPUTE_PGM_RSRC2:TGID_Z_EN: 0
; COMPUTE_PGM_RSRC2:TIDIG_COMP_CNT: 0
	.section	.text._Z16sort_keys_kernelIxLj512ELj1EN10test_utils4lessELj10EEvPKT_PS2_T2_,"axG",@progbits,_Z16sort_keys_kernelIxLj512ELj1EN10test_utils4lessELj10EEvPKT_PS2_T2_,comdat
	.protected	_Z16sort_keys_kernelIxLj512ELj1EN10test_utils4lessELj10EEvPKT_PS2_T2_ ; -- Begin function _Z16sort_keys_kernelIxLj512ELj1EN10test_utils4lessELj10EEvPKT_PS2_T2_
	.globl	_Z16sort_keys_kernelIxLj512ELj1EN10test_utils4lessELj10EEvPKT_PS2_T2_
	.p2align	8
	.type	_Z16sort_keys_kernelIxLj512ELj1EN10test_utils4lessELj10EEvPKT_PS2_T2_,@function
_Z16sort_keys_kernelIxLj512ELj1EN10test_utils4lessELj10EEvPKT_PS2_T2_: ; @_Z16sort_keys_kernelIxLj512ELj1EN10test_utils4lessELj10EEvPKT_PS2_T2_
; %bb.0:
	s_load_b128 s[12:15], s[0:1], 0x0
	s_lshl_b32 s10, ttmp9, 9
	s_mov_b32 s11, 0
	v_lshlrev_b32_e32 v3, 3, v0
	s_lshl_b64 s[16:17], s[10:11], 3
	v_and_b32_e32 v36, 0x1c0, v0
	v_and_b32_e32 v64, 63, v0
	;; [unrolled: 1-line block ×5, first 2 shown]
	v_or_b32_e32 v63, 32, v36
	v_add_nc_u32_e32 v29, 64, v36
	v_or_b32_e32 v57, 4, v21
	v_add_nc_u32_e32 v11, 8, v21
	v_and_b32_e32 v27, 0x1f0, v0
	v_and_b32_e32 v33, 0x1e0, v0
	v_sub_nc_u32_e32 v37, v29, v63
	v_and_b32_e32 v50, 0x100, v0
	v_or_b32_e32 v65, 64, v48
	v_or_b32_e32 v56, 2, v15
	s_wait_kmcnt 0x0
	s_add_nc_u64 s[0:1], s[12:13], s[16:17]
	v_sub_nc_u32_e32 v38, v64, v37
	global_load_b64 v[1:2], v3, s[0:1]
	v_cmp_ge_i32_e64 s4, v64, v37
	v_add_nc_u32_e32 v6, 4, v15
	v_and_b32_e32 v58, 7, v0
	v_sub_nc_u32_e32 v18, v11, v57
	v_or_b32_e32 v59, 8, v27
	v_cndmask_b32_e64 v37, 0, v38, s4
	v_add_nc_u32_e32 v38, 0x80, v48
	v_add_nc_u32_e32 v17, 16, v27
	v_or_b32_e32 v61, 16, v33
	v_add_nc_u32_e32 v23, 32, v33
	v_or_b32_e32 v66, 0x80, v50
	v_add_nc_u32_e32 v40, 0x100, v50
	v_and_b32_e32 v67, 0x7f, v0
	v_sub_nc_u32_e32 v44, v38, v65
	v_and_b32_e32 v9, 0x1fe, v0
	v_and_b32_e32 v54, 1, v0
	;; [unrolled: 1-line block ×3, first 2 shown]
	v_sub_nc_u32_e32 v12, v6, v56
	v_sub_nc_u32_e32 v19, v58, v18
	;; [unrolled: 1-line block ×3, first 2 shown]
	v_cmp_ge_i32_e64 s1, v58, v18
	v_and_b32_e32 v60, 15, v0
	v_sub_nc_u32_e32 v24, v17, v59
	v_and_b32_e32 v62, 31, v0
	v_sub_nc_u32_e32 v30, v23, v61
	;; [unrolled: 2-line block ×3, first 2 shown]
	v_sub_nc_u32_e32 v45, v67, v44
	v_cmp_ge_i32_e64 s5, v67, v44
	v_or_b32_e32 v4, 1, v9
	v_add_nc_u32_e32 v7, -1, v54
	v_cmp_lt_i32_e32 vcc_lo, 0, v54
	v_sub_nc_u32_e32 v13, v55, v12
	v_sub_nc_u32_e32 v10, v56, v15
	v_cmp_ge_i32_e64 s0, v55, v12
	v_cndmask_b32_e64 v18, 0, v19, s1
	v_min_i32_e32 v19, v58, v16
	v_sub_nc_u32_e32 v25, v60, v24
	v_sub_nc_u32_e32 v22, v59, v27
	v_cmp_ge_i32_e64 s2, v60, v24
	v_add_nc_u32_e32 v26, v57, v58
	v_sub_nc_u32_e32 v31, v62, v30
	v_sub_nc_u32_e32 v28, v61, v33
	v_cmp_ge_i32_e64 s3, v62, v30
	v_sub_nc_u32_e32 v35, v63, v36
	v_sub_nc_u32_e32 v42, v65, v48
	;; [unrolled: 1-line block ×4, first 2 shown]
	s_wait_alu 0xf1ff
	v_cndmask_b32_e64 v44, 0, v45, s5
	v_cmp_ge_i32_e64 s5, v68, v46
	v_lshlrev_b32_e32 v58, 3, v58
	v_sub_nc_u32_e32 v5, v4, v9
	v_cndmask_b32_e32 v7, 0, v7, vcc_lo
	v_cndmask_b32_e64 v12, 0, v13, s0
	v_min_i32_e32 v13, v55, v10
	v_cndmask_b32_e64 v24, 0, v25, s2
	v_min_i32_e32 v25, v60, v22
	;; [unrolled: 2-line block ×3, first 2 shown]
	v_add_nc_u32_e32 v32, v59, v60
	v_add_nc_u32_e32 v34, v61, v62
	v_min_i32_e32 v39, v64, v35
	v_add_nc_u32_e32 v41, v63, v64
	v_min_i32_e32 v45, v67, v42
	s_wait_alu 0xf1ff
	v_cndmask_b32_e64 v46, 0, v47, s5
	v_min_i32_e32 v47, v68, v43
	v_add_nc_u32_e32 v49, v65, v67
	v_subrev_nc_u32_e64 v51, 0x100, v0 clamp
	v_min_i32_e32 v52, 0x100, v0
	v_lshlrev_b32_e32 v69, 3, v54
	v_lshlrev_b32_e32 v70, 3, v55
	v_lshl_add_u32 v57, v57, 3, v58
	v_lshlrev_b32_e32 v58, 3, v60
	v_lshlrev_b32_e32 v60, 3, v62
	;; [unrolled: 1-line block ×5, first 2 shown]
	v_min_i32_e32 v8, v54, v5
	v_lshlrev_b32_e32 v9, 3, v9
	v_add_nc_u32_e32 v14, v4, v54
	v_lshlrev_b32_e32 v15, 3, v15
	v_cmp_lt_i32_e64 s0, v12, v13
	v_add_nc_u32_e32 v20, v56, v55
	v_lshlrev_b32_e32 v21, 3, v21
	v_cmp_lt_i32_e64 s1, v18, v19
	v_lshlrev_b32_e32 v27, 3, v27
	v_cmp_lt_i32_e64 s2, v24, v25
	;; [unrolled: 2-line block ×6, first 2 shown]
	v_add_nc_u32_e32 v53, v66, v68
	v_cmp_lt_i32_e64 s7, v51, v52
	v_add_nc_u32_e32 v54, 0x100, v0
	v_lshl_add_u32 v55, v4, 3, v69
	v_lshl_add_u32 v56, v56, 3, v70
	;; [unrolled: 1-line block ×7, first 2 shown]
	v_add_nc_u32_e32 v63, 0x800, v3
	v_cmp_lt_i32_e32 vcc_lo, v7, v8
	s_branch .LBB150_2
.LBB150_1:                              ;   in Loop: Header=BB150_2 Depth=1
	s_wait_alu 0xfffe
	s_or_b32 exec_lo, exec_lo, s9
	v_sub_nc_u32_e32 v2, v54, v1
	v_lshlrev_b32_e32 v64, 3, v1
	v_cmp_le_i32_e64 s9, 0x100, v1
	s_add_co_i32 s11, s11, 1
	v_lshlrev_b32_e32 v66, 3, v2
	v_cmp_gt_i32_e64 s10, 0x200, v2
	ds_load_b64 v[64:65], v64
	ds_load_b64 v[66:67], v66
	s_wait_dscnt 0x0
	v_cmp_lt_i64_e64 s8, v[66:67], v[64:65]
	s_or_b32 s8, s9, s8
	s_wait_alu 0xfffe
	s_and_b32 s8, s10, s8
	s_cmp_eq_u32 s11, 10
	s_wait_alu 0xfffe
	v_cndmask_b32_e64 v2, v65, v67, s8
	v_cndmask_b32_e64 v1, v64, v66, s8
	s_cbranch_scc1 .LBB150_38
.LBB150_2:                              ; =>This Loop Header: Depth=1
                                        ;     Child Loop BB150_4 Depth 2
                                        ;     Child Loop BB150_8 Depth 2
	;; [unrolled: 1-line block ×9, first 2 shown]
	s_wait_loadcnt 0x0
	s_barrier_signal -1
	s_barrier_wait -1
	global_inv scope:SCOPE_SE
	ds_store_b64 v3, v[1:2]
	v_mov_b32_e32 v1, v7
	s_wait_loadcnt_dscnt 0x0
	s_barrier_signal -1
	s_barrier_wait -1
	global_inv scope:SCOPE_SE
	s_and_saveexec_b32 s9, vcc_lo
	s_cbranch_execz .LBB150_6
; %bb.3:                                ;   in Loop: Header=BB150_2 Depth=1
	v_dual_mov_b32 v1, v7 :: v_dual_mov_b32 v2, v8
	s_mov_b32 s10, 0
.LBB150_4:                              ;   Parent Loop BB150_2 Depth=1
                                        ; =>  This Inner Loop Header: Depth=2
	s_delay_alu instid0(VALU_DEP_1) | instskip(NEXT) | instid1(VALU_DEP_1)
	v_sub_nc_u32_e32 v64, v2, v1
	v_lshrrev_b32_e32 v64, 1, v64
	s_delay_alu instid0(VALU_DEP_1) | instskip(NEXT) | instid1(VALU_DEP_1)
	v_add_nc_u32_e32 v68, v64, v1
	v_not_b32_e32 v64, v68
	v_lshl_add_u32 v65, v68, 3, v9
	s_delay_alu instid0(VALU_DEP_2)
	v_lshl_add_u32 v66, v64, 3, v55
	ds_load_b64 v[64:65], v65
	ds_load_b64 v[66:67], v66
	s_wait_dscnt 0x0
	v_cmp_lt_i64_e64 s8, v[66:67], v[64:65]
	v_add_nc_u32_e32 v64, 1, v68
	s_wait_alu 0xf1ff
	s_delay_alu instid0(VALU_DEP_2) | instskip(NEXT) | instid1(VALU_DEP_2)
	v_cndmask_b32_e64 v2, v2, v68, s8
	v_cndmask_b32_e64 v1, v64, v1, s8
	s_delay_alu instid0(VALU_DEP_1) | instskip(SKIP_1) | instid1(SALU_CYCLE_1)
	v_cmp_ge_i32_e64 s8, v1, v2
	s_or_b32 s10, s8, s10
	s_and_not1_b32 exec_lo, exec_lo, s10
	s_cbranch_execnz .LBB150_4
; %bb.5:                                ;   in Loop: Header=BB150_2 Depth=1
	s_or_b32 exec_lo, exec_lo, s10
.LBB150_6:                              ;   in Loop: Header=BB150_2 Depth=1
	s_wait_alu 0xfffe
	s_or_b32 exec_lo, exec_lo, s9
	v_sub_nc_u32_e32 v2, v14, v1
	v_lshl_add_u32 v64, v1, 3, v9
	v_cmp_ge_i32_e64 s9, v1, v5
	s_delay_alu instid0(VALU_DEP_3)
	v_dual_mov_b32 v1, v12 :: v_dual_lshlrev_b32 v66, 3, v2
	v_cmp_ge_i32_e64 s10, v4, v2
	ds_load_b64 v[64:65], v64
	ds_load_b64 v[66:67], v66
	s_wait_loadcnt_dscnt 0x0
	s_barrier_signal -1
	s_barrier_wait -1
	global_inv scope:SCOPE_SE
	v_cmp_lt_i64_e64 s8, v[66:67], v[64:65]
	s_or_b32 s8, s9, s8
	s_wait_alu 0xfffe
	s_and_b32 s8, s10, s8
	s_wait_alu 0xfffe
	v_cndmask_b32_e64 v65, v65, v67, s8
	v_cndmask_b32_e64 v64, v64, v66, s8
	ds_store_b64 v3, v[64:65]
	s_wait_loadcnt_dscnt 0x0
	s_barrier_signal -1
	s_barrier_wait -1
	global_inv scope:SCOPE_SE
	s_and_saveexec_b32 s9, s0
	s_cbranch_execz .LBB150_10
; %bb.7:                                ;   in Loop: Header=BB150_2 Depth=1
	v_dual_mov_b32 v1, v12 :: v_dual_mov_b32 v2, v13
	s_mov_b32 s10, 0
.LBB150_8:                              ;   Parent Loop BB150_2 Depth=1
                                        ; =>  This Inner Loop Header: Depth=2
	s_delay_alu instid0(VALU_DEP_1) | instskip(NEXT) | instid1(VALU_DEP_1)
	v_sub_nc_u32_e32 v64, v2, v1
	v_lshrrev_b32_e32 v64, 1, v64
	s_delay_alu instid0(VALU_DEP_1) | instskip(NEXT) | instid1(VALU_DEP_1)
	v_add_nc_u32_e32 v68, v64, v1
	v_not_b32_e32 v64, v68
	v_lshl_add_u32 v65, v68, 3, v15
	s_delay_alu instid0(VALU_DEP_2)
	v_lshl_add_u32 v66, v64, 3, v56
	ds_load_b64 v[64:65], v65
	ds_load_b64 v[66:67], v66
	s_wait_dscnt 0x0
	v_cmp_lt_i64_e64 s8, v[66:67], v[64:65]
	v_add_nc_u32_e32 v64, 1, v68
	s_wait_alu 0xf1ff
	s_delay_alu instid0(VALU_DEP_2) | instskip(NEXT) | instid1(VALU_DEP_2)
	v_cndmask_b32_e64 v2, v2, v68, s8
	v_cndmask_b32_e64 v1, v64, v1, s8
	s_delay_alu instid0(VALU_DEP_1) | instskip(SKIP_1) | instid1(SALU_CYCLE_1)
	v_cmp_ge_i32_e64 s8, v1, v2
	s_or_b32 s10, s8, s10
	s_and_not1_b32 exec_lo, exec_lo, s10
	s_cbranch_execnz .LBB150_8
; %bb.9:                                ;   in Loop: Header=BB150_2 Depth=1
	s_or_b32 exec_lo, exec_lo, s10
.LBB150_10:                             ;   in Loop: Header=BB150_2 Depth=1
	s_wait_alu 0xfffe
	s_or_b32 exec_lo, exec_lo, s9
	v_sub_nc_u32_e32 v2, v20, v1
	v_lshl_add_u32 v64, v1, 3, v15
	v_cmp_ge_i32_e64 s9, v1, v10
	s_delay_alu instid0(VALU_DEP_3)
	v_dual_mov_b32 v1, v18 :: v_dual_lshlrev_b32 v66, 3, v2
	v_cmp_gt_i32_e64 s10, v6, v2
	ds_load_b64 v[64:65], v64
	ds_load_b64 v[66:67], v66
	s_wait_loadcnt_dscnt 0x0
	s_barrier_signal -1
	s_barrier_wait -1
	global_inv scope:SCOPE_SE
	v_cmp_lt_i64_e64 s8, v[66:67], v[64:65]
	s_or_b32 s8, s9, s8
	s_wait_alu 0xfffe
	s_and_b32 s8, s10, s8
	s_wait_alu 0xfffe
	v_cndmask_b32_e64 v65, v65, v67, s8
	v_cndmask_b32_e64 v64, v64, v66, s8
	ds_store_b64 v3, v[64:65]
	s_wait_loadcnt_dscnt 0x0
	s_barrier_signal -1
	s_barrier_wait -1
	global_inv scope:SCOPE_SE
	s_and_saveexec_b32 s9, s1
	s_cbranch_execz .LBB150_14
; %bb.11:                               ;   in Loop: Header=BB150_2 Depth=1
	v_dual_mov_b32 v1, v18 :: v_dual_mov_b32 v2, v19
	s_mov_b32 s10, 0
.LBB150_12:                             ;   Parent Loop BB150_2 Depth=1
                                        ; =>  This Inner Loop Header: Depth=2
	s_delay_alu instid0(VALU_DEP_1) | instskip(NEXT) | instid1(VALU_DEP_1)
	v_sub_nc_u32_e32 v64, v2, v1
	v_lshrrev_b32_e32 v64, 1, v64
	s_delay_alu instid0(VALU_DEP_1) | instskip(NEXT) | instid1(VALU_DEP_1)
	v_add_nc_u32_e32 v68, v64, v1
	v_not_b32_e32 v64, v68
	v_lshl_add_u32 v65, v68, 3, v21
	s_delay_alu instid0(VALU_DEP_2)
	v_lshl_add_u32 v66, v64, 3, v57
	ds_load_b64 v[64:65], v65
	ds_load_b64 v[66:67], v66
	s_wait_dscnt 0x0
	v_cmp_lt_i64_e64 s8, v[66:67], v[64:65]
	v_add_nc_u32_e32 v64, 1, v68
	s_wait_alu 0xf1ff
	s_delay_alu instid0(VALU_DEP_2) | instskip(NEXT) | instid1(VALU_DEP_2)
	v_cndmask_b32_e64 v2, v2, v68, s8
	v_cndmask_b32_e64 v1, v64, v1, s8
	s_delay_alu instid0(VALU_DEP_1) | instskip(SKIP_1) | instid1(SALU_CYCLE_1)
	v_cmp_ge_i32_e64 s8, v1, v2
	s_or_b32 s10, s8, s10
	s_and_not1_b32 exec_lo, exec_lo, s10
	s_cbranch_execnz .LBB150_12
; %bb.13:                               ;   in Loop: Header=BB150_2 Depth=1
	s_or_b32 exec_lo, exec_lo, s10
.LBB150_14:                             ;   in Loop: Header=BB150_2 Depth=1
	s_wait_alu 0xfffe
	s_or_b32 exec_lo, exec_lo, s9
	v_sub_nc_u32_e32 v2, v26, v1
	v_lshl_add_u32 v64, v1, 3, v21
	v_cmp_ge_i32_e64 s9, v1, v16
	s_delay_alu instid0(VALU_DEP_3)
	v_dual_mov_b32 v1, v24 :: v_dual_lshlrev_b32 v66, 3, v2
	v_cmp_gt_i32_e64 s10, v11, v2
	ds_load_b64 v[64:65], v64
	ds_load_b64 v[66:67], v66
	s_wait_loadcnt_dscnt 0x0
	s_barrier_signal -1
	s_barrier_wait -1
	global_inv scope:SCOPE_SE
	v_cmp_lt_i64_e64 s8, v[66:67], v[64:65]
	s_or_b32 s8, s9, s8
	s_wait_alu 0xfffe
	s_and_b32 s8, s10, s8
	s_wait_alu 0xfffe
	v_cndmask_b32_e64 v65, v65, v67, s8
	v_cndmask_b32_e64 v64, v64, v66, s8
	ds_store_b64 v3, v[64:65]
	s_wait_loadcnt_dscnt 0x0
	s_barrier_signal -1
	s_barrier_wait -1
	global_inv scope:SCOPE_SE
	s_and_saveexec_b32 s9, s2
	s_cbranch_execz .LBB150_18
; %bb.15:                               ;   in Loop: Header=BB150_2 Depth=1
	v_dual_mov_b32 v1, v24 :: v_dual_mov_b32 v2, v25
	s_mov_b32 s10, 0
.LBB150_16:                             ;   Parent Loop BB150_2 Depth=1
                                        ; =>  This Inner Loop Header: Depth=2
	s_delay_alu instid0(VALU_DEP_1) | instskip(NEXT) | instid1(VALU_DEP_1)
	v_sub_nc_u32_e32 v64, v2, v1
	v_lshrrev_b32_e32 v64, 1, v64
	s_delay_alu instid0(VALU_DEP_1) | instskip(NEXT) | instid1(VALU_DEP_1)
	v_add_nc_u32_e32 v68, v64, v1
	v_not_b32_e32 v64, v68
	v_lshl_add_u32 v65, v68, 3, v27
	s_delay_alu instid0(VALU_DEP_2)
	v_lshl_add_u32 v66, v64, 3, v58
	ds_load_b64 v[64:65], v65
	ds_load_b64 v[66:67], v66
	s_wait_dscnt 0x0
	v_cmp_lt_i64_e64 s8, v[66:67], v[64:65]
	v_add_nc_u32_e32 v64, 1, v68
	s_wait_alu 0xf1ff
	s_delay_alu instid0(VALU_DEP_2) | instskip(NEXT) | instid1(VALU_DEP_2)
	v_cndmask_b32_e64 v2, v2, v68, s8
	v_cndmask_b32_e64 v1, v64, v1, s8
	s_delay_alu instid0(VALU_DEP_1) | instskip(SKIP_1) | instid1(SALU_CYCLE_1)
	v_cmp_ge_i32_e64 s8, v1, v2
	s_or_b32 s10, s8, s10
	s_and_not1_b32 exec_lo, exec_lo, s10
	s_cbranch_execnz .LBB150_16
; %bb.17:                               ;   in Loop: Header=BB150_2 Depth=1
	s_or_b32 exec_lo, exec_lo, s10
.LBB150_18:                             ;   in Loop: Header=BB150_2 Depth=1
	;; [unrolled: 59-line block ×6, first 2 shown]
	s_wait_alu 0xfffe
	s_or_b32 exec_lo, exec_lo, s9
	v_sub_nc_u32_e32 v2, v53, v1
	v_lshl_add_u32 v64, v1, 3, v50
	v_cmp_ge_i32_e64 s9, v1, v43
	s_delay_alu instid0(VALU_DEP_3)
	v_dual_mov_b32 v1, v51 :: v_dual_lshlrev_b32 v66, 3, v2
	v_cmp_gt_i32_e64 s10, v40, v2
	ds_load_b64 v[64:65], v64
	ds_load_b64 v[66:67], v66
	s_wait_loadcnt_dscnt 0x0
	s_barrier_signal -1
	s_barrier_wait -1
	global_inv scope:SCOPE_SE
	v_cmp_lt_i64_e64 s8, v[66:67], v[64:65]
	s_or_b32 s8, s9, s8
	s_wait_alu 0xfffe
	s_and_b32 s8, s10, s8
	s_wait_alu 0xfffe
	v_cndmask_b32_e64 v65, v65, v67, s8
	v_cndmask_b32_e64 v64, v64, v66, s8
	ds_store_b64 v3, v[64:65]
	s_wait_loadcnt_dscnt 0x0
	s_barrier_signal -1
	s_barrier_wait -1
	global_inv scope:SCOPE_SE
	s_and_saveexec_b32 s9, s7
	s_cbranch_execz .LBB150_1
; %bb.35:                               ;   in Loop: Header=BB150_2 Depth=1
	v_dual_mov_b32 v1, v51 :: v_dual_mov_b32 v2, v52
	s_mov_b32 s10, 0
.LBB150_36:                             ;   Parent Loop BB150_2 Depth=1
                                        ; =>  This Inner Loop Header: Depth=2
	s_delay_alu instid0(VALU_DEP_1) | instskip(NEXT) | instid1(VALU_DEP_1)
	v_sub_nc_u32_e32 v64, v2, v1
	v_lshrrev_b32_e32 v64, 1, v64
	s_delay_alu instid0(VALU_DEP_1) | instskip(NEXT) | instid1(VALU_DEP_1)
	v_add_nc_u32_e32 v68, v64, v1
	v_not_b32_e32 v64, v68
	v_lshlrev_b32_e32 v65, 3, v68
	s_delay_alu instid0(VALU_DEP_2)
	v_lshl_add_u32 v66, v64, 3, v63
	ds_load_b64 v[64:65], v65
	ds_load_b64 v[66:67], v66
	s_wait_dscnt 0x0
	v_cmp_lt_i64_e64 s8, v[66:67], v[64:65]
	v_add_nc_u32_e32 v64, 1, v68
	s_wait_alu 0xf1ff
	s_delay_alu instid0(VALU_DEP_2) | instskip(NEXT) | instid1(VALU_DEP_2)
	v_cndmask_b32_e64 v2, v2, v68, s8
	v_cndmask_b32_e64 v1, v64, v1, s8
	s_delay_alu instid0(VALU_DEP_1) | instskip(SKIP_1) | instid1(SALU_CYCLE_1)
	v_cmp_ge_i32_e64 s8, v1, v2
	s_or_b32 s10, s8, s10
	s_and_not1_b32 exec_lo, exec_lo, s10
	s_cbranch_execnz .LBB150_36
; %bb.37:                               ;   in Loop: Header=BB150_2 Depth=1
	s_or_b32 exec_lo, exec_lo, s10
	s_branch .LBB150_1
.LBB150_38:
	v_lshlrev_b32_e32 v0, 3, v0
	s_add_nc_u64 s[0:1], s[14:15], s[16:17]
	global_store_b64 v0, v[1:2], s[0:1]
	s_endpgm
	.section	.rodata,"a",@progbits
	.p2align	6, 0x0
	.amdhsa_kernel _Z16sort_keys_kernelIxLj512ELj1EN10test_utils4lessELj10EEvPKT_PS2_T2_
		.amdhsa_group_segment_fixed_size 4104
		.amdhsa_private_segment_fixed_size 0
		.amdhsa_kernarg_size 20
		.amdhsa_user_sgpr_count 2
		.amdhsa_user_sgpr_dispatch_ptr 0
		.amdhsa_user_sgpr_queue_ptr 0
		.amdhsa_user_sgpr_kernarg_segment_ptr 1
		.amdhsa_user_sgpr_dispatch_id 0
		.amdhsa_user_sgpr_private_segment_size 0
		.amdhsa_wavefront_size32 1
		.amdhsa_uses_dynamic_stack 0
		.amdhsa_enable_private_segment 0
		.amdhsa_system_sgpr_workgroup_id_x 1
		.amdhsa_system_sgpr_workgroup_id_y 0
		.amdhsa_system_sgpr_workgroup_id_z 0
		.amdhsa_system_sgpr_workgroup_info 0
		.amdhsa_system_vgpr_workitem_id 0
		.amdhsa_next_free_vgpr 71
		.amdhsa_next_free_sgpr 18
		.amdhsa_reserve_vcc 1
		.amdhsa_float_round_mode_32 0
		.amdhsa_float_round_mode_16_64 0
		.amdhsa_float_denorm_mode_32 3
		.amdhsa_float_denorm_mode_16_64 3
		.amdhsa_fp16_overflow 0
		.amdhsa_workgroup_processor_mode 1
		.amdhsa_memory_ordered 1
		.amdhsa_forward_progress 1
		.amdhsa_inst_pref_size 28
		.amdhsa_round_robin_scheduling 0
		.amdhsa_exception_fp_ieee_invalid_op 0
		.amdhsa_exception_fp_denorm_src 0
		.amdhsa_exception_fp_ieee_div_zero 0
		.amdhsa_exception_fp_ieee_overflow 0
		.amdhsa_exception_fp_ieee_underflow 0
		.amdhsa_exception_fp_ieee_inexact 0
		.amdhsa_exception_int_div_zero 0
	.end_amdhsa_kernel
	.section	.text._Z16sort_keys_kernelIxLj512ELj1EN10test_utils4lessELj10EEvPKT_PS2_T2_,"axG",@progbits,_Z16sort_keys_kernelIxLj512ELj1EN10test_utils4lessELj10EEvPKT_PS2_T2_,comdat
.Lfunc_end150:
	.size	_Z16sort_keys_kernelIxLj512ELj1EN10test_utils4lessELj10EEvPKT_PS2_T2_, .Lfunc_end150-_Z16sort_keys_kernelIxLj512ELj1EN10test_utils4lessELj10EEvPKT_PS2_T2_
                                        ; -- End function
	.set _Z16sort_keys_kernelIxLj512ELj1EN10test_utils4lessELj10EEvPKT_PS2_T2_.num_vgpr, 71
	.set _Z16sort_keys_kernelIxLj512ELj1EN10test_utils4lessELj10EEvPKT_PS2_T2_.num_agpr, 0
	.set _Z16sort_keys_kernelIxLj512ELj1EN10test_utils4lessELj10EEvPKT_PS2_T2_.numbered_sgpr, 18
	.set _Z16sort_keys_kernelIxLj512ELj1EN10test_utils4lessELj10EEvPKT_PS2_T2_.num_named_barrier, 0
	.set _Z16sort_keys_kernelIxLj512ELj1EN10test_utils4lessELj10EEvPKT_PS2_T2_.private_seg_size, 0
	.set _Z16sort_keys_kernelIxLj512ELj1EN10test_utils4lessELj10EEvPKT_PS2_T2_.uses_vcc, 1
	.set _Z16sort_keys_kernelIxLj512ELj1EN10test_utils4lessELj10EEvPKT_PS2_T2_.uses_flat_scratch, 0
	.set _Z16sort_keys_kernelIxLj512ELj1EN10test_utils4lessELj10EEvPKT_PS2_T2_.has_dyn_sized_stack, 0
	.set _Z16sort_keys_kernelIxLj512ELj1EN10test_utils4lessELj10EEvPKT_PS2_T2_.has_recursion, 0
	.set _Z16sort_keys_kernelIxLj512ELj1EN10test_utils4lessELj10EEvPKT_PS2_T2_.has_indirect_call, 0
	.section	.AMDGPU.csdata,"",@progbits
; Kernel info:
; codeLenInByte = 3552
; TotalNumSgprs: 20
; NumVgprs: 71
; ScratchSize: 0
; MemoryBound: 0
; FloatMode: 240
; IeeeMode: 1
; LDSByteSize: 4104 bytes/workgroup (compile time only)
; SGPRBlocks: 0
; VGPRBlocks: 8
; NumSGPRsForWavesPerEU: 20
; NumVGPRsForWavesPerEU: 71
; Occupancy: 16
; WaveLimiterHint : 0
; COMPUTE_PGM_RSRC2:SCRATCH_EN: 0
; COMPUTE_PGM_RSRC2:USER_SGPR: 2
; COMPUTE_PGM_RSRC2:TRAP_HANDLER: 0
; COMPUTE_PGM_RSRC2:TGID_X_EN: 1
; COMPUTE_PGM_RSRC2:TGID_Y_EN: 0
; COMPUTE_PGM_RSRC2:TGID_Z_EN: 0
; COMPUTE_PGM_RSRC2:TIDIG_COMP_CNT: 0
	.section	.text._Z17sort_pairs_kernelIxLj512ELj1EN10test_utils4lessELj10EEvPKT_PS2_T2_,"axG",@progbits,_Z17sort_pairs_kernelIxLj512ELj1EN10test_utils4lessELj10EEvPKT_PS2_T2_,comdat
	.protected	_Z17sort_pairs_kernelIxLj512ELj1EN10test_utils4lessELj10EEvPKT_PS2_T2_ ; -- Begin function _Z17sort_pairs_kernelIxLj512ELj1EN10test_utils4lessELj10EEvPKT_PS2_T2_
	.globl	_Z17sort_pairs_kernelIxLj512ELj1EN10test_utils4lessELj10EEvPKT_PS2_T2_
	.p2align	8
	.type	_Z17sort_pairs_kernelIxLj512ELj1EN10test_utils4lessELj10EEvPKT_PS2_T2_,@function
_Z17sort_pairs_kernelIxLj512ELj1EN10test_utils4lessELj10EEvPKT_PS2_T2_: ; @_Z17sort_pairs_kernelIxLj512ELj1EN10test_utils4lessELj10EEvPKT_PS2_T2_
; %bb.0:
	s_load_b128 s[12:15], s[0:1], 0x0
	s_lshl_b32 s10, ttmp9, 9
	s_mov_b32 s11, 0
	v_lshlrev_b32_e32 v5, 3, v0
	s_lshl_b64 s[16:17], s[10:11], 3
	v_and_b32_e32 v6, 0x1fe, v0
	v_and_b32_e32 v7, 0x1fc, v0
	;; [unrolled: 1-line block ×5, first 2 shown]
	v_or_b32_e32 v17, 1, v6
	v_or_b32_e32 v19, 2, v7
	v_add_nc_u32_e32 v20, 4, v7
	v_and_b32_e32 v9, 0x1f0, v0
	v_or_b32_e32 v22, 4, v8
	v_add_nc_u32_e32 v23, 8, v8
	v_sub_nc_u32_e32 v57, v17, v6
	v_sub_nc_u32_e32 v65, v20, v19
	v_and_b32_e32 v66, 7, v0
	v_and_b32_e32 v10, 0x1e0, v0
	s_wait_kmcnt 0x0
	s_add_nc_u64 s[0:1], s[12:13], s[16:17]
	v_add_nc_u32_e32 v40, -1, v3
	global_load_b64 v[1:2], v5, s[0:1]
	v_or_b32_e32 v25, 8, v9
	v_add_nc_u32_e32 v26, 16, v9
	v_lshlrev_b32_e32 v49, 3, v3
	v_cmp_lt_i32_e64 s0, 0, v3
	v_add_nc_u32_e32 v41, v17, v3
	v_sub_nc_u32_e32 v72, v23, v22
	v_min_i32_e32 v57, v3, v57
	v_sub_nc_u32_e32 v3, v4, v65
	v_cmp_ge_i32_e64 s1, v4, v65
	v_and_b32_e32 v67, 15, v0
	v_and_b32_e32 v11, 0x1c0, v0
	v_or_b32_e32 v28, 16, v10
	v_add_nc_u32_e32 v29, 32, v10
	v_sub_nc_u32_e32 v59, v22, v8
	v_sub_nc_u32_e32 v73, v26, v25
	;; [unrolled: 1-line block ×3, first 2 shown]
	v_cndmask_b32_e64 v65, 0, v3, s1
	v_cmp_ge_i32_e64 s1, v66, v72
	v_and_b32_e32 v68, 31, v0
	v_and_b32_e32 v12, 0x180, v0
	v_or_b32_e32 v31, 32, v11
	v_add_nc_u32_e32 v32, 64, v11
	v_lshlrev_b32_e32 v51, 3, v66
	v_add_nc_u32_e32 v43, v22, v66
	v_sub_nc_u32_e32 v60, v25, v9
	v_sub_nc_u32_e32 v74, v29, v28
	v_min_i32_e32 v59, v66, v59
	v_sub_nc_u32_e32 v79, v67, v73
	s_wait_alu 0xf1ff
	v_cndmask_b32_e64 v66, 0, v78, s1
	v_cmp_ge_i32_e64 s1, v67, v73
	v_and_b32_e32 v69, 63, v0
	v_and_b32_e32 v13, 0x100, v0
	v_or_b32_e32 v34, 64, v12
	v_add_nc_u32_e32 v35, 0x80, v12
	v_lshlrev_b32_e32 v52, 3, v67
	v_add_nc_u32_e32 v44, v25, v67
	v_sub_nc_u32_e32 v61, v28, v10
	v_sub_nc_u32_e32 v75, v32, v31
	v_min_i32_e32 v60, v67, v60
	v_sub_nc_u32_e32 v80, v68, v74
	s_wait_alu 0xf1ff
	v_cndmask_b32_e64 v67, 0, v79, s1
	v_cmp_ge_i32_e64 s1, v68, v74
	v_and_b32_e32 v70, 0x7f, v0
	v_or_b32_e32 v37, 0x80, v13
	v_add_nc_u32_e32 v38, 0x100, v13
	v_lshlrev_b32_e32 v53, 3, v68
	v_add_nc_u32_e32 v45, v28, v68
	v_sub_nc_u32_e32 v62, v31, v11
	v_sub_nc_u32_e32 v76, v35, v34
	v_min_i32_e32 v61, v68, v61
	v_sub_nc_u32_e32 v81, v69, v75
	s_wait_alu 0xf1ff
	v_cndmask_b32_e64 v68, 0, v80, s1
	v_cmp_ge_i32_e64 s1, v69, v75
	v_and_b32_e32 v71, 0xff, v0
	v_lshlrev_b32_e32 v54, 3, v69
	v_add_nc_u32_e32 v46, v31, v69
	v_sub_nc_u32_e32 v63, v34, v12
	v_sub_nc_u32_e32 v77, v38, v37
	v_min_i32_e32 v62, v69, v62
	v_sub_nc_u32_e32 v82, v70, v76
	s_wait_alu 0xf1ff
	v_cndmask_b32_e64 v69, 0, v81, s1
	v_cmp_ge_i32_e64 s1, v70, v76
	v_lshlrev_b32_e32 v55, 3, v70
	v_sub_nc_u32_e32 v58, v19, v7
	v_add_nc_u32_e32 v47, v34, v70
	v_sub_nc_u32_e32 v64, v37, v13
	v_min_i32_e32 v63, v70, v63
	v_sub_nc_u32_e32 v83, v71, v77
	s_wait_alu 0xf1ff
	v_cndmask_b32_e64 v70, 0, v82, s1
	v_cmp_ge_i32_e64 s1, v71, v77
	v_lshlrev_b32_e32 v50, 3, v4
	v_lshlrev_b32_e32 v56, 3, v71
	v_cndmask_b32_e64 v40, 0, v40, s0
	v_add_nc_u32_e32 v48, v37, v71
	v_min_i32_e32 v58, v4, v58
	v_min_i32_e32 v64, v71, v64
	s_wait_alu 0xf1ff
	v_cndmask_b32_e64 v71, 0, v83, s1
	v_subrev_nc_u32_e64 v14, 0x100, v0 clamp
	v_min_i32_e32 v15, 0x100, v0
	v_add_nc_u32_e32 v16, 0x100, v0
	v_lshlrev_b32_e32 v18, 3, v6
	v_lshlrev_b32_e32 v21, 3, v7
	;; [unrolled: 1-line block ×8, first 2 shown]
	v_add_nc_u32_e32 v42, v19, v4
	v_lshl_add_u32 v49, v17, 3, v49
	v_lshl_add_u32 v50, v19, 3, v50
	;; [unrolled: 1-line block ×8, first 2 shown]
	v_cmp_lt_i32_e64 s0, v40, v57
	v_cmp_lt_i32_e64 s1, v65, v58
	;; [unrolled: 1-line block ×8, first 2 shown]
	v_add_nc_u32_e32 v72, 0x800, v5
	v_cmp_lt_i32_e32 vcc_lo, v14, v15
	s_wait_loadcnt 0x0
	v_add_co_u32 v3, s8, v1, 1
	s_delay_alu instid0(VALU_DEP_1)
	v_add_co_ci_u32_e64 v4, null, 0, v2, s8
	s_branch .LBB151_2
.LBB151_1:                              ;   in Loop: Header=BB151_2 Depth=1
	s_wait_alu 0xfffe
	s_or_b32 exec_lo, exec_lo, s9
	v_sub_nc_u32_e32 v77, v16, v1
	v_lshlrev_b32_e32 v2, 3, v1
	v_cmp_le_i32_e64 s9, 0x100, v1
	s_add_co_i32 s11, s11, 1
	v_lshlrev_b32_e32 v75, 3, v77
	v_cmp_gt_i32_e64 s10, 0x200, v77
	ds_load_b64 v[73:74], v2
	ds_load_b64 v[75:76], v75
	s_wait_loadcnt_dscnt 0x0
	s_barrier_signal -1
	s_barrier_wait -1
	global_inv scope:SCOPE_SE
	ds_store_b64 v5, v[3:4]
	s_wait_loadcnt_dscnt 0x0
	s_barrier_signal -1
	s_barrier_wait -1
	global_inv scope:SCOPE_SE
	v_cmp_lt_i64_e64 s8, v[75:76], v[73:74]
	s_or_b32 s8, s9, s8
	s_wait_alu 0xfffe
	s_and_b32 s8, s10, s8
	s_cmp_eq_u32 s11, 10
	s_wait_alu 0xfffe
	v_cndmask_b32_e64 v1, v1, v77, s8
	v_cndmask_b32_e64 v2, v74, v76, s8
	s_delay_alu instid0(VALU_DEP_2)
	v_lshlrev_b32_e32 v1, 3, v1
	ds_load_b64 v[3:4], v1
	v_cndmask_b32_e64 v1, v73, v75, s8
	s_cbranch_scc1 .LBB151_38
.LBB151_2:                              ; =>This Loop Header: Depth=1
                                        ;     Child Loop BB151_4 Depth 2
                                        ;     Child Loop BB151_8 Depth 2
	;; [unrolled: 1-line block ×9, first 2 shown]
	s_barrier_signal -1
	s_barrier_wait -1
	global_inv scope:SCOPE_SE
	ds_store_b64 v5, v[1:2]
	v_mov_b32_e32 v1, v40
	s_wait_loadcnt_dscnt 0x0
	s_barrier_signal -1
	s_barrier_wait -1
	global_inv scope:SCOPE_SE
	s_and_saveexec_b32 s9, s0
	s_cbranch_execz .LBB151_6
; %bb.3:                                ;   in Loop: Header=BB151_2 Depth=1
	v_dual_mov_b32 v1, v40 :: v_dual_mov_b32 v2, v57
	s_mov_b32 s10, 0
.LBB151_4:                              ;   Parent Loop BB151_2 Depth=1
                                        ; =>  This Inner Loop Header: Depth=2
	s_delay_alu instid0(VALU_DEP_1) | instskip(NEXT) | instid1(VALU_DEP_1)
	v_sub_nc_u32_e32 v73, v2, v1
	v_lshrrev_b32_e32 v73, 1, v73
	s_delay_alu instid0(VALU_DEP_1) | instskip(NEXT) | instid1(VALU_DEP_1)
	v_add_nc_u32_e32 v77, v73, v1
	v_not_b32_e32 v73, v77
	v_lshl_add_u32 v74, v77, 3, v18
	s_delay_alu instid0(VALU_DEP_2)
	v_lshl_add_u32 v75, v73, 3, v49
	ds_load_b64 v[73:74], v74
	ds_load_b64 v[75:76], v75
	s_wait_dscnt 0x0
	v_cmp_lt_i64_e64 s8, v[75:76], v[73:74]
	v_add_nc_u32_e32 v73, 1, v77
	s_wait_alu 0xf1ff
	s_delay_alu instid0(VALU_DEP_2) | instskip(NEXT) | instid1(VALU_DEP_2)
	v_cndmask_b32_e64 v2, v2, v77, s8
	v_cndmask_b32_e64 v1, v73, v1, s8
	s_delay_alu instid0(VALU_DEP_1) | instskip(SKIP_1) | instid1(SALU_CYCLE_1)
	v_cmp_ge_i32_e64 s8, v1, v2
	s_or_b32 s10, s8, s10
	s_and_not1_b32 exec_lo, exec_lo, s10
	s_cbranch_execnz .LBB151_4
; %bb.5:                                ;   in Loop: Header=BB151_2 Depth=1
	s_or_b32 exec_lo, exec_lo, s10
.LBB151_6:                              ;   in Loop: Header=BB151_2 Depth=1
	s_wait_alu 0xfffe
	s_or_b32 exec_lo, exec_lo, s9
	v_sub_nc_u32_e32 v2, v41, v1
	v_lshl_add_u32 v73, v1, 3, v18
	v_add_nc_u32_e32 v1, v1, v6
	s_delay_alu instid0(VALU_DEP_3) | instskip(SKIP_1) | instid1(VALU_DEP_3)
	v_lshlrev_b32_e32 v75, 3, v2
	v_cmp_ge_i32_e64 s10, v17, v2
	v_cmp_le_i32_e64 s9, v17, v1
	ds_load_b64 v[73:74], v73
	ds_load_b64 v[75:76], v75
	s_wait_loadcnt_dscnt 0x0
	s_barrier_signal -1
	s_barrier_wait -1
	global_inv scope:SCOPE_SE
	ds_store_b64 v5, v[3:4]
	s_wait_loadcnt_dscnt 0x0
	s_barrier_signal -1
	s_barrier_wait -1
	global_inv scope:SCOPE_SE
	v_mov_b32_e32 v3, v65
	v_cmp_lt_i64_e64 s8, v[75:76], v[73:74]
	s_or_b32 s8, s9, s8
	s_wait_alu 0xfffe
	s_and_b32 s8, s10, s8
	s_wait_alu 0xfffe
	v_cndmask_b32_e64 v1, v1, v2, s8
	v_cndmask_b32_e64 v74, v74, v76, s8
	;; [unrolled: 1-line block ×3, first 2 shown]
	s_delay_alu instid0(VALU_DEP_3)
	v_lshlrev_b32_e32 v1, 3, v1
	ds_load_b64 v[1:2], v1
	s_wait_loadcnt_dscnt 0x0
	s_barrier_signal -1
	s_barrier_wait -1
	global_inv scope:SCOPE_SE
	ds_store_b64 v5, v[73:74]
	s_wait_loadcnt_dscnt 0x0
	s_barrier_signal -1
	s_barrier_wait -1
	global_inv scope:SCOPE_SE
	s_and_saveexec_b32 s9, s1
	s_cbranch_execz .LBB151_10
; %bb.7:                                ;   in Loop: Header=BB151_2 Depth=1
	v_dual_mov_b32 v3, v65 :: v_dual_mov_b32 v4, v58
	s_mov_b32 s10, 0
.LBB151_8:                              ;   Parent Loop BB151_2 Depth=1
                                        ; =>  This Inner Loop Header: Depth=2
	s_delay_alu instid0(VALU_DEP_1) | instskip(NEXT) | instid1(VALU_DEP_1)
	v_sub_nc_u32_e32 v73, v4, v3
	v_lshrrev_b32_e32 v73, 1, v73
	s_delay_alu instid0(VALU_DEP_1) | instskip(NEXT) | instid1(VALU_DEP_1)
	v_add_nc_u32_e32 v77, v73, v3
	v_not_b32_e32 v73, v77
	v_lshl_add_u32 v74, v77, 3, v21
	s_delay_alu instid0(VALU_DEP_2)
	v_lshl_add_u32 v75, v73, 3, v50
	ds_load_b64 v[73:74], v74
	ds_load_b64 v[75:76], v75
	s_wait_dscnt 0x0
	v_cmp_lt_i64_e64 s8, v[75:76], v[73:74]
	v_add_nc_u32_e32 v73, 1, v77
	s_wait_alu 0xf1ff
	s_delay_alu instid0(VALU_DEP_2) | instskip(NEXT) | instid1(VALU_DEP_2)
	v_cndmask_b32_e64 v4, v4, v77, s8
	v_cndmask_b32_e64 v3, v73, v3, s8
	s_delay_alu instid0(VALU_DEP_1) | instskip(SKIP_1) | instid1(SALU_CYCLE_1)
	v_cmp_ge_i32_e64 s8, v3, v4
	s_or_b32 s10, s8, s10
	s_and_not1_b32 exec_lo, exec_lo, s10
	s_cbranch_execnz .LBB151_8
; %bb.9:                                ;   in Loop: Header=BB151_2 Depth=1
	s_or_b32 exec_lo, exec_lo, s10
.LBB151_10:                             ;   in Loop: Header=BB151_2 Depth=1
	s_wait_alu 0xfffe
	s_or_b32 exec_lo, exec_lo, s9
	v_sub_nc_u32_e32 v77, v42, v3
	v_lshl_add_u32 v4, v3, 3, v21
	v_add_nc_u32_e32 v3, v3, v7
	s_delay_alu instid0(VALU_DEP_3) | instskip(SKIP_1) | instid1(VALU_DEP_3)
	v_lshlrev_b32_e32 v75, 3, v77
	v_cmp_gt_i32_e64 s10, v20, v77
	v_cmp_le_i32_e64 s9, v19, v3
	ds_load_b64 v[73:74], v4
	ds_load_b64 v[75:76], v75
	s_wait_loadcnt_dscnt 0x0
	s_barrier_signal -1
	s_barrier_wait -1
	global_inv scope:SCOPE_SE
	ds_store_b64 v5, v[1:2]
	s_wait_loadcnt_dscnt 0x0
	s_barrier_signal -1
	s_barrier_wait -1
	global_inv scope:SCOPE_SE
	v_cmp_lt_i64_e64 s8, v[75:76], v[73:74]
	s_or_b32 s8, s9, s8
	s_wait_alu 0xfffe
	s_and_b32 s8, s10, s8
	s_wait_alu 0xfffe
	v_cndmask_b32_e64 v3, v3, v77, s8
	v_cndmask_b32_e64 v4, v74, v76, s8
	s_delay_alu instid0(VALU_DEP_2)
	v_lshlrev_b32_e32 v1, 3, v3
	v_cndmask_b32_e64 v3, v73, v75, s8
	ds_load_b64 v[1:2], v1
	s_wait_loadcnt_dscnt 0x0
	s_barrier_signal -1
	s_barrier_wait -1
	global_inv scope:SCOPE_SE
	ds_store_b64 v5, v[3:4]
	v_mov_b32_e32 v3, v66
	s_wait_loadcnt_dscnt 0x0
	s_barrier_signal -1
	s_barrier_wait -1
	global_inv scope:SCOPE_SE
	s_and_saveexec_b32 s9, s2
	s_cbranch_execz .LBB151_14
; %bb.11:                               ;   in Loop: Header=BB151_2 Depth=1
	v_dual_mov_b32 v3, v66 :: v_dual_mov_b32 v4, v59
	s_mov_b32 s10, 0
.LBB151_12:                             ;   Parent Loop BB151_2 Depth=1
                                        ; =>  This Inner Loop Header: Depth=2
	s_delay_alu instid0(VALU_DEP_1) | instskip(NEXT) | instid1(VALU_DEP_1)
	v_sub_nc_u32_e32 v73, v4, v3
	v_lshrrev_b32_e32 v73, 1, v73
	s_delay_alu instid0(VALU_DEP_1) | instskip(NEXT) | instid1(VALU_DEP_1)
	v_add_nc_u32_e32 v77, v73, v3
	v_not_b32_e32 v73, v77
	v_lshl_add_u32 v74, v77, 3, v24
	s_delay_alu instid0(VALU_DEP_2)
	v_lshl_add_u32 v75, v73, 3, v51
	ds_load_b64 v[73:74], v74
	ds_load_b64 v[75:76], v75
	s_wait_dscnt 0x0
	v_cmp_lt_i64_e64 s8, v[75:76], v[73:74]
	v_add_nc_u32_e32 v73, 1, v77
	s_wait_alu 0xf1ff
	s_delay_alu instid0(VALU_DEP_2) | instskip(NEXT) | instid1(VALU_DEP_2)
	v_cndmask_b32_e64 v4, v4, v77, s8
	v_cndmask_b32_e64 v3, v73, v3, s8
	s_delay_alu instid0(VALU_DEP_1) | instskip(SKIP_1) | instid1(SALU_CYCLE_1)
	v_cmp_ge_i32_e64 s8, v3, v4
	s_or_b32 s10, s8, s10
	s_and_not1_b32 exec_lo, exec_lo, s10
	s_cbranch_execnz .LBB151_12
; %bb.13:                               ;   in Loop: Header=BB151_2 Depth=1
	s_or_b32 exec_lo, exec_lo, s10
.LBB151_14:                             ;   in Loop: Header=BB151_2 Depth=1
	s_wait_alu 0xfffe
	s_or_b32 exec_lo, exec_lo, s9
	v_sub_nc_u32_e32 v77, v43, v3
	v_lshl_add_u32 v4, v3, 3, v24
	v_add_nc_u32_e32 v3, v3, v8
	s_delay_alu instid0(VALU_DEP_3) | instskip(SKIP_1) | instid1(VALU_DEP_3)
	v_lshlrev_b32_e32 v75, 3, v77
	v_cmp_gt_i32_e64 s10, v23, v77
	v_cmp_le_i32_e64 s9, v22, v3
	ds_load_b64 v[73:74], v4
	ds_load_b64 v[75:76], v75
	s_wait_loadcnt_dscnt 0x0
	s_barrier_signal -1
	s_barrier_wait -1
	global_inv scope:SCOPE_SE
	ds_store_b64 v5, v[1:2]
	s_wait_loadcnt_dscnt 0x0
	s_barrier_signal -1
	s_barrier_wait -1
	global_inv scope:SCOPE_SE
	v_cmp_lt_i64_e64 s8, v[75:76], v[73:74]
	s_or_b32 s8, s9, s8
	s_wait_alu 0xfffe
	s_and_b32 s8, s10, s8
	s_wait_alu 0xfffe
	v_cndmask_b32_e64 v3, v3, v77, s8
	v_cndmask_b32_e64 v4, v74, v76, s8
	s_delay_alu instid0(VALU_DEP_2)
	v_lshlrev_b32_e32 v1, 3, v3
	v_cndmask_b32_e64 v3, v73, v75, s8
	ds_load_b64 v[1:2], v1
	s_wait_loadcnt_dscnt 0x0
	s_barrier_signal -1
	s_barrier_wait -1
	global_inv scope:SCOPE_SE
	ds_store_b64 v5, v[3:4]
	v_mov_b32_e32 v3, v67
	s_wait_loadcnt_dscnt 0x0
	s_barrier_signal -1
	s_barrier_wait -1
	global_inv scope:SCOPE_SE
	s_and_saveexec_b32 s9, s3
	s_cbranch_execz .LBB151_18
; %bb.15:                               ;   in Loop: Header=BB151_2 Depth=1
	v_dual_mov_b32 v3, v67 :: v_dual_mov_b32 v4, v60
	s_mov_b32 s10, 0
.LBB151_16:                             ;   Parent Loop BB151_2 Depth=1
                                        ; =>  This Inner Loop Header: Depth=2
	s_delay_alu instid0(VALU_DEP_1) | instskip(NEXT) | instid1(VALU_DEP_1)
	v_sub_nc_u32_e32 v73, v4, v3
	v_lshrrev_b32_e32 v73, 1, v73
	s_delay_alu instid0(VALU_DEP_1) | instskip(NEXT) | instid1(VALU_DEP_1)
	v_add_nc_u32_e32 v77, v73, v3
	v_not_b32_e32 v73, v77
	v_lshl_add_u32 v74, v77, 3, v27
	s_delay_alu instid0(VALU_DEP_2)
	v_lshl_add_u32 v75, v73, 3, v52
	ds_load_b64 v[73:74], v74
	ds_load_b64 v[75:76], v75
	s_wait_dscnt 0x0
	v_cmp_lt_i64_e64 s8, v[75:76], v[73:74]
	v_add_nc_u32_e32 v73, 1, v77
	s_wait_alu 0xf1ff
	s_delay_alu instid0(VALU_DEP_2) | instskip(NEXT) | instid1(VALU_DEP_2)
	v_cndmask_b32_e64 v4, v4, v77, s8
	v_cndmask_b32_e64 v3, v73, v3, s8
	s_delay_alu instid0(VALU_DEP_1) | instskip(SKIP_1) | instid1(SALU_CYCLE_1)
	v_cmp_ge_i32_e64 s8, v3, v4
	s_or_b32 s10, s8, s10
	s_and_not1_b32 exec_lo, exec_lo, s10
	s_cbranch_execnz .LBB151_16
; %bb.17:                               ;   in Loop: Header=BB151_2 Depth=1
	s_or_b32 exec_lo, exec_lo, s10
.LBB151_18:                             ;   in Loop: Header=BB151_2 Depth=1
	s_wait_alu 0xfffe
	s_or_b32 exec_lo, exec_lo, s9
	v_sub_nc_u32_e32 v77, v44, v3
	v_lshl_add_u32 v4, v3, 3, v27
	v_add_nc_u32_e32 v3, v3, v9
	s_delay_alu instid0(VALU_DEP_3) | instskip(SKIP_1) | instid1(VALU_DEP_3)
	v_lshlrev_b32_e32 v75, 3, v77
	v_cmp_gt_i32_e64 s10, v26, v77
	v_cmp_le_i32_e64 s9, v25, v3
	ds_load_b64 v[73:74], v4
	ds_load_b64 v[75:76], v75
	s_wait_loadcnt_dscnt 0x0
	s_barrier_signal -1
	s_barrier_wait -1
	global_inv scope:SCOPE_SE
	ds_store_b64 v5, v[1:2]
	s_wait_loadcnt_dscnt 0x0
	s_barrier_signal -1
	s_barrier_wait -1
	global_inv scope:SCOPE_SE
	v_cmp_lt_i64_e64 s8, v[75:76], v[73:74]
	s_or_b32 s8, s9, s8
	s_wait_alu 0xfffe
	s_and_b32 s8, s10, s8
	s_wait_alu 0xfffe
	v_cndmask_b32_e64 v3, v3, v77, s8
	v_cndmask_b32_e64 v4, v74, v76, s8
	s_delay_alu instid0(VALU_DEP_2)
	v_lshlrev_b32_e32 v1, 3, v3
	v_cndmask_b32_e64 v3, v73, v75, s8
	ds_load_b64 v[1:2], v1
	s_wait_loadcnt_dscnt 0x0
	s_barrier_signal -1
	s_barrier_wait -1
	global_inv scope:SCOPE_SE
	ds_store_b64 v5, v[3:4]
	v_mov_b32_e32 v3, v68
	s_wait_loadcnt_dscnt 0x0
	s_barrier_signal -1
	s_barrier_wait -1
	global_inv scope:SCOPE_SE
	s_and_saveexec_b32 s9, s4
	s_cbranch_execz .LBB151_22
; %bb.19:                               ;   in Loop: Header=BB151_2 Depth=1
	v_dual_mov_b32 v3, v68 :: v_dual_mov_b32 v4, v61
	s_mov_b32 s10, 0
.LBB151_20:                             ;   Parent Loop BB151_2 Depth=1
                                        ; =>  This Inner Loop Header: Depth=2
	s_delay_alu instid0(VALU_DEP_1) | instskip(NEXT) | instid1(VALU_DEP_1)
	v_sub_nc_u32_e32 v73, v4, v3
	v_lshrrev_b32_e32 v73, 1, v73
	s_delay_alu instid0(VALU_DEP_1) | instskip(NEXT) | instid1(VALU_DEP_1)
	v_add_nc_u32_e32 v77, v73, v3
	v_not_b32_e32 v73, v77
	v_lshl_add_u32 v74, v77, 3, v30
	s_delay_alu instid0(VALU_DEP_2)
	v_lshl_add_u32 v75, v73, 3, v53
	ds_load_b64 v[73:74], v74
	ds_load_b64 v[75:76], v75
	s_wait_dscnt 0x0
	v_cmp_lt_i64_e64 s8, v[75:76], v[73:74]
	v_add_nc_u32_e32 v73, 1, v77
	s_wait_alu 0xf1ff
	s_delay_alu instid0(VALU_DEP_2) | instskip(NEXT) | instid1(VALU_DEP_2)
	v_cndmask_b32_e64 v4, v4, v77, s8
	v_cndmask_b32_e64 v3, v73, v3, s8
	s_delay_alu instid0(VALU_DEP_1) | instskip(SKIP_1) | instid1(SALU_CYCLE_1)
	v_cmp_ge_i32_e64 s8, v3, v4
	s_or_b32 s10, s8, s10
	s_and_not1_b32 exec_lo, exec_lo, s10
	s_cbranch_execnz .LBB151_20
; %bb.21:                               ;   in Loop: Header=BB151_2 Depth=1
	s_or_b32 exec_lo, exec_lo, s10
.LBB151_22:                             ;   in Loop: Header=BB151_2 Depth=1
	s_wait_alu 0xfffe
	s_or_b32 exec_lo, exec_lo, s9
	v_sub_nc_u32_e32 v77, v45, v3
	v_lshl_add_u32 v4, v3, 3, v30
	v_add_nc_u32_e32 v3, v3, v10
	s_delay_alu instid0(VALU_DEP_3) | instskip(SKIP_1) | instid1(VALU_DEP_3)
	v_lshlrev_b32_e32 v75, 3, v77
	v_cmp_gt_i32_e64 s10, v29, v77
	v_cmp_le_i32_e64 s9, v28, v3
	ds_load_b64 v[73:74], v4
	ds_load_b64 v[75:76], v75
	s_wait_loadcnt_dscnt 0x0
	s_barrier_signal -1
	s_barrier_wait -1
	global_inv scope:SCOPE_SE
	ds_store_b64 v5, v[1:2]
	s_wait_loadcnt_dscnt 0x0
	s_barrier_signal -1
	s_barrier_wait -1
	global_inv scope:SCOPE_SE
	v_cmp_lt_i64_e64 s8, v[75:76], v[73:74]
	s_or_b32 s8, s9, s8
	s_wait_alu 0xfffe
	s_and_b32 s8, s10, s8
	s_wait_alu 0xfffe
	v_cndmask_b32_e64 v3, v3, v77, s8
	v_cndmask_b32_e64 v4, v74, v76, s8
	s_delay_alu instid0(VALU_DEP_2)
	v_lshlrev_b32_e32 v1, 3, v3
	v_cndmask_b32_e64 v3, v73, v75, s8
	ds_load_b64 v[1:2], v1
	s_wait_loadcnt_dscnt 0x0
	s_barrier_signal -1
	s_barrier_wait -1
	global_inv scope:SCOPE_SE
	ds_store_b64 v5, v[3:4]
	v_mov_b32_e32 v3, v69
	s_wait_loadcnt_dscnt 0x0
	s_barrier_signal -1
	s_barrier_wait -1
	global_inv scope:SCOPE_SE
	s_and_saveexec_b32 s9, s5
	s_cbranch_execz .LBB151_26
; %bb.23:                               ;   in Loop: Header=BB151_2 Depth=1
	v_dual_mov_b32 v3, v69 :: v_dual_mov_b32 v4, v62
	s_mov_b32 s10, 0
.LBB151_24:                             ;   Parent Loop BB151_2 Depth=1
                                        ; =>  This Inner Loop Header: Depth=2
	s_delay_alu instid0(VALU_DEP_1) | instskip(NEXT) | instid1(VALU_DEP_1)
	v_sub_nc_u32_e32 v73, v4, v3
	v_lshrrev_b32_e32 v73, 1, v73
	s_delay_alu instid0(VALU_DEP_1) | instskip(NEXT) | instid1(VALU_DEP_1)
	v_add_nc_u32_e32 v77, v73, v3
	v_not_b32_e32 v73, v77
	v_lshl_add_u32 v74, v77, 3, v33
	s_delay_alu instid0(VALU_DEP_2)
	v_lshl_add_u32 v75, v73, 3, v54
	ds_load_b64 v[73:74], v74
	ds_load_b64 v[75:76], v75
	s_wait_dscnt 0x0
	v_cmp_lt_i64_e64 s8, v[75:76], v[73:74]
	v_add_nc_u32_e32 v73, 1, v77
	s_wait_alu 0xf1ff
	s_delay_alu instid0(VALU_DEP_2) | instskip(NEXT) | instid1(VALU_DEP_2)
	v_cndmask_b32_e64 v4, v4, v77, s8
	v_cndmask_b32_e64 v3, v73, v3, s8
	s_delay_alu instid0(VALU_DEP_1) | instskip(SKIP_1) | instid1(SALU_CYCLE_1)
	v_cmp_ge_i32_e64 s8, v3, v4
	s_or_b32 s10, s8, s10
	s_and_not1_b32 exec_lo, exec_lo, s10
	s_cbranch_execnz .LBB151_24
; %bb.25:                               ;   in Loop: Header=BB151_2 Depth=1
	s_or_b32 exec_lo, exec_lo, s10
.LBB151_26:                             ;   in Loop: Header=BB151_2 Depth=1
	s_wait_alu 0xfffe
	s_or_b32 exec_lo, exec_lo, s9
	v_sub_nc_u32_e32 v77, v46, v3
	v_lshl_add_u32 v4, v3, 3, v33
	v_add_nc_u32_e32 v3, v3, v11
	s_delay_alu instid0(VALU_DEP_3) | instskip(SKIP_1) | instid1(VALU_DEP_3)
	v_lshlrev_b32_e32 v75, 3, v77
	v_cmp_gt_i32_e64 s10, v32, v77
	v_cmp_le_i32_e64 s9, v31, v3
	ds_load_b64 v[73:74], v4
	ds_load_b64 v[75:76], v75
	s_wait_loadcnt_dscnt 0x0
	s_barrier_signal -1
	s_barrier_wait -1
	global_inv scope:SCOPE_SE
	ds_store_b64 v5, v[1:2]
	s_wait_loadcnt_dscnt 0x0
	s_barrier_signal -1
	s_barrier_wait -1
	global_inv scope:SCOPE_SE
	v_cmp_lt_i64_e64 s8, v[75:76], v[73:74]
	s_or_b32 s8, s9, s8
	s_wait_alu 0xfffe
	s_and_b32 s8, s10, s8
	s_wait_alu 0xfffe
	v_cndmask_b32_e64 v3, v3, v77, s8
	v_cndmask_b32_e64 v4, v74, v76, s8
	s_delay_alu instid0(VALU_DEP_2)
	v_lshlrev_b32_e32 v1, 3, v3
	v_cndmask_b32_e64 v3, v73, v75, s8
	ds_load_b64 v[1:2], v1
	s_wait_loadcnt_dscnt 0x0
	s_barrier_signal -1
	s_barrier_wait -1
	global_inv scope:SCOPE_SE
	ds_store_b64 v5, v[3:4]
	v_mov_b32_e32 v3, v70
	s_wait_loadcnt_dscnt 0x0
	s_barrier_signal -1
	s_barrier_wait -1
	global_inv scope:SCOPE_SE
	s_and_saveexec_b32 s9, s6
	s_cbranch_execz .LBB151_30
; %bb.27:                               ;   in Loop: Header=BB151_2 Depth=1
	v_dual_mov_b32 v3, v70 :: v_dual_mov_b32 v4, v63
	s_mov_b32 s10, 0
.LBB151_28:                             ;   Parent Loop BB151_2 Depth=1
                                        ; =>  This Inner Loop Header: Depth=2
	s_delay_alu instid0(VALU_DEP_1) | instskip(NEXT) | instid1(VALU_DEP_1)
	v_sub_nc_u32_e32 v73, v4, v3
	v_lshrrev_b32_e32 v73, 1, v73
	s_delay_alu instid0(VALU_DEP_1) | instskip(NEXT) | instid1(VALU_DEP_1)
	v_add_nc_u32_e32 v77, v73, v3
	v_not_b32_e32 v73, v77
	v_lshl_add_u32 v74, v77, 3, v36
	s_delay_alu instid0(VALU_DEP_2)
	v_lshl_add_u32 v75, v73, 3, v55
	ds_load_b64 v[73:74], v74
	ds_load_b64 v[75:76], v75
	s_wait_dscnt 0x0
	v_cmp_lt_i64_e64 s8, v[75:76], v[73:74]
	v_add_nc_u32_e32 v73, 1, v77
	s_wait_alu 0xf1ff
	s_delay_alu instid0(VALU_DEP_2) | instskip(NEXT) | instid1(VALU_DEP_2)
	v_cndmask_b32_e64 v4, v4, v77, s8
	v_cndmask_b32_e64 v3, v73, v3, s8
	s_delay_alu instid0(VALU_DEP_1) | instskip(SKIP_1) | instid1(SALU_CYCLE_1)
	v_cmp_ge_i32_e64 s8, v3, v4
	s_or_b32 s10, s8, s10
	s_and_not1_b32 exec_lo, exec_lo, s10
	s_cbranch_execnz .LBB151_28
; %bb.29:                               ;   in Loop: Header=BB151_2 Depth=1
	s_or_b32 exec_lo, exec_lo, s10
.LBB151_30:                             ;   in Loop: Header=BB151_2 Depth=1
	s_wait_alu 0xfffe
	s_or_b32 exec_lo, exec_lo, s9
	v_sub_nc_u32_e32 v77, v47, v3
	v_lshl_add_u32 v4, v3, 3, v36
	v_add_nc_u32_e32 v3, v3, v12
	s_delay_alu instid0(VALU_DEP_3) | instskip(SKIP_1) | instid1(VALU_DEP_3)
	v_lshlrev_b32_e32 v75, 3, v77
	v_cmp_gt_i32_e64 s10, v35, v77
	v_cmp_le_i32_e64 s9, v34, v3
	ds_load_b64 v[73:74], v4
	ds_load_b64 v[75:76], v75
	s_wait_loadcnt_dscnt 0x0
	s_barrier_signal -1
	s_barrier_wait -1
	global_inv scope:SCOPE_SE
	ds_store_b64 v5, v[1:2]
	s_wait_loadcnt_dscnt 0x0
	s_barrier_signal -1
	s_barrier_wait -1
	global_inv scope:SCOPE_SE
	v_cmp_lt_i64_e64 s8, v[75:76], v[73:74]
	s_or_b32 s8, s9, s8
	s_wait_alu 0xfffe
	s_and_b32 s8, s10, s8
	s_wait_alu 0xfffe
	v_cndmask_b32_e64 v3, v3, v77, s8
	v_cndmask_b32_e64 v4, v74, v76, s8
	s_delay_alu instid0(VALU_DEP_2)
	v_lshlrev_b32_e32 v1, 3, v3
	v_cndmask_b32_e64 v3, v73, v75, s8
	ds_load_b64 v[1:2], v1
	s_wait_loadcnt_dscnt 0x0
	s_barrier_signal -1
	s_barrier_wait -1
	global_inv scope:SCOPE_SE
	ds_store_b64 v5, v[3:4]
	v_mov_b32_e32 v3, v71
	s_wait_loadcnt_dscnt 0x0
	s_barrier_signal -1
	s_barrier_wait -1
	global_inv scope:SCOPE_SE
	s_and_saveexec_b32 s9, s7
	s_cbranch_execz .LBB151_34
; %bb.31:                               ;   in Loop: Header=BB151_2 Depth=1
	v_dual_mov_b32 v3, v71 :: v_dual_mov_b32 v4, v64
	s_mov_b32 s10, 0
.LBB151_32:                             ;   Parent Loop BB151_2 Depth=1
                                        ; =>  This Inner Loop Header: Depth=2
	s_delay_alu instid0(VALU_DEP_1) | instskip(NEXT) | instid1(VALU_DEP_1)
	v_sub_nc_u32_e32 v73, v4, v3
	v_lshrrev_b32_e32 v73, 1, v73
	s_delay_alu instid0(VALU_DEP_1) | instskip(NEXT) | instid1(VALU_DEP_1)
	v_add_nc_u32_e32 v77, v73, v3
	v_not_b32_e32 v73, v77
	v_lshl_add_u32 v74, v77, 3, v39
	s_delay_alu instid0(VALU_DEP_2)
	v_lshl_add_u32 v75, v73, 3, v56
	ds_load_b64 v[73:74], v74
	ds_load_b64 v[75:76], v75
	s_wait_dscnt 0x0
	v_cmp_lt_i64_e64 s8, v[75:76], v[73:74]
	v_add_nc_u32_e32 v73, 1, v77
	s_wait_alu 0xf1ff
	s_delay_alu instid0(VALU_DEP_2) | instskip(NEXT) | instid1(VALU_DEP_2)
	v_cndmask_b32_e64 v4, v4, v77, s8
	v_cndmask_b32_e64 v3, v73, v3, s8
	s_delay_alu instid0(VALU_DEP_1) | instskip(SKIP_1) | instid1(SALU_CYCLE_1)
	v_cmp_ge_i32_e64 s8, v3, v4
	s_or_b32 s10, s8, s10
	s_and_not1_b32 exec_lo, exec_lo, s10
	s_cbranch_execnz .LBB151_32
; %bb.33:                               ;   in Loop: Header=BB151_2 Depth=1
	s_or_b32 exec_lo, exec_lo, s10
.LBB151_34:                             ;   in Loop: Header=BB151_2 Depth=1
	s_wait_alu 0xfffe
	s_or_b32 exec_lo, exec_lo, s9
	v_sub_nc_u32_e32 v4, v48, v3
	v_lshl_add_u32 v73, v3, 3, v39
	v_add_nc_u32_e32 v3, v3, v13
	s_delay_alu instid0(VALU_DEP_3) | instskip(SKIP_1) | instid1(VALU_DEP_3)
	v_lshlrev_b32_e32 v75, 3, v4
	v_cmp_gt_i32_e64 s10, v38, v4
	v_cmp_le_i32_e64 s9, v37, v3
	ds_load_b64 v[73:74], v73
	ds_load_b64 v[75:76], v75
	s_wait_loadcnt_dscnt 0x0
	s_barrier_signal -1
	s_barrier_wait -1
	global_inv scope:SCOPE_SE
	ds_store_b64 v5, v[1:2]
	s_wait_loadcnt_dscnt 0x0
	s_barrier_signal -1
	s_barrier_wait -1
	global_inv scope:SCOPE_SE
	v_cmp_lt_i64_e64 s8, v[75:76], v[73:74]
	s_or_b32 s8, s9, s8
	s_wait_alu 0xfffe
	s_and_b32 s8, s10, s8
	s_wait_alu 0xfffe
	v_cndmask_b32_e64 v3, v3, v4, s8
	v_cndmask_b32_e64 v74, v74, v76, s8
	;; [unrolled: 1-line block ×3, first 2 shown]
	s_delay_alu instid0(VALU_DEP_3)
	v_lshlrev_b32_e32 v1, 3, v3
	ds_load_b64 v[3:4], v1
	v_mov_b32_e32 v1, v14
	s_wait_loadcnt_dscnt 0x0
	s_barrier_signal -1
	s_barrier_wait -1
	global_inv scope:SCOPE_SE
	ds_store_b64 v5, v[73:74]
	s_wait_loadcnt_dscnt 0x0
	s_barrier_signal -1
	s_barrier_wait -1
	global_inv scope:SCOPE_SE
	s_and_saveexec_b32 s9, vcc_lo
	s_cbranch_execz .LBB151_1
; %bb.35:                               ;   in Loop: Header=BB151_2 Depth=1
	v_dual_mov_b32 v1, v14 :: v_dual_mov_b32 v2, v15
	s_mov_b32 s10, 0
.LBB151_36:                             ;   Parent Loop BB151_2 Depth=1
                                        ; =>  This Inner Loop Header: Depth=2
	s_delay_alu instid0(VALU_DEP_1) | instskip(NEXT) | instid1(VALU_DEP_1)
	v_sub_nc_u32_e32 v73, v2, v1
	v_lshrrev_b32_e32 v73, 1, v73
	s_delay_alu instid0(VALU_DEP_1) | instskip(NEXT) | instid1(VALU_DEP_1)
	v_add_nc_u32_e32 v77, v73, v1
	v_not_b32_e32 v73, v77
	v_lshlrev_b32_e32 v74, 3, v77
	s_delay_alu instid0(VALU_DEP_2)
	v_lshl_add_u32 v75, v73, 3, v72
	ds_load_b64 v[73:74], v74
	ds_load_b64 v[75:76], v75
	s_wait_dscnt 0x0
	v_cmp_lt_i64_e64 s8, v[75:76], v[73:74]
	v_add_nc_u32_e32 v73, 1, v77
	s_wait_alu 0xf1ff
	s_delay_alu instid0(VALU_DEP_2) | instskip(NEXT) | instid1(VALU_DEP_2)
	v_cndmask_b32_e64 v2, v2, v77, s8
	v_cndmask_b32_e64 v1, v73, v1, s8
	s_delay_alu instid0(VALU_DEP_1) | instskip(SKIP_1) | instid1(SALU_CYCLE_1)
	v_cmp_ge_i32_e64 s8, v1, v2
	s_or_b32 s10, s8, s10
	s_and_not1_b32 exec_lo, exec_lo, s10
	s_cbranch_execnz .LBB151_36
; %bb.37:                               ;   in Loop: Header=BB151_2 Depth=1
	s_or_b32 exec_lo, exec_lo, s10
	s_branch .LBB151_1
.LBB151_38:
	s_wait_dscnt 0x0
	s_delay_alu instid0(VALU_DEP_1) | instskip(NEXT) | instid1(VALU_DEP_1)
	v_add_co_u32 v1, vcc_lo, v1, v3
	v_add_co_ci_u32_e64 v2, null, v2, v4, vcc_lo
	v_lshlrev_b32_e32 v0, 3, v0
	s_add_nc_u64 s[0:1], s[14:15], s[16:17]
	global_store_b64 v0, v[1:2], s[0:1]
	s_endpgm
	.section	.rodata,"a",@progbits
	.p2align	6, 0x0
	.amdhsa_kernel _Z17sort_pairs_kernelIxLj512ELj1EN10test_utils4lessELj10EEvPKT_PS2_T2_
		.amdhsa_group_segment_fixed_size 4104
		.amdhsa_private_segment_fixed_size 0
		.amdhsa_kernarg_size 20
		.amdhsa_user_sgpr_count 2
		.amdhsa_user_sgpr_dispatch_ptr 0
		.amdhsa_user_sgpr_queue_ptr 0
		.amdhsa_user_sgpr_kernarg_segment_ptr 1
		.amdhsa_user_sgpr_dispatch_id 0
		.amdhsa_user_sgpr_private_segment_size 0
		.amdhsa_wavefront_size32 1
		.amdhsa_uses_dynamic_stack 0
		.amdhsa_enable_private_segment 0
		.amdhsa_system_sgpr_workgroup_id_x 1
		.amdhsa_system_sgpr_workgroup_id_y 0
		.amdhsa_system_sgpr_workgroup_id_z 0
		.amdhsa_system_sgpr_workgroup_info 0
		.amdhsa_system_vgpr_workitem_id 0
		.amdhsa_next_free_vgpr 84
		.amdhsa_next_free_sgpr 18
		.amdhsa_reserve_vcc 1
		.amdhsa_float_round_mode_32 0
		.amdhsa_float_round_mode_16_64 0
		.amdhsa_float_denorm_mode_32 3
		.amdhsa_float_denorm_mode_16_64 3
		.amdhsa_fp16_overflow 0
		.amdhsa_workgroup_processor_mode 1
		.amdhsa_memory_ordered 1
		.amdhsa_forward_progress 1
		.amdhsa_inst_pref_size 35
		.amdhsa_round_robin_scheduling 0
		.amdhsa_exception_fp_ieee_invalid_op 0
		.amdhsa_exception_fp_denorm_src 0
		.amdhsa_exception_fp_ieee_div_zero 0
		.amdhsa_exception_fp_ieee_overflow 0
		.amdhsa_exception_fp_ieee_underflow 0
		.amdhsa_exception_fp_ieee_inexact 0
		.amdhsa_exception_int_div_zero 0
	.end_amdhsa_kernel
	.section	.text._Z17sort_pairs_kernelIxLj512ELj1EN10test_utils4lessELj10EEvPKT_PS2_T2_,"axG",@progbits,_Z17sort_pairs_kernelIxLj512ELj1EN10test_utils4lessELj10EEvPKT_PS2_T2_,comdat
.Lfunc_end151:
	.size	_Z17sort_pairs_kernelIxLj512ELj1EN10test_utils4lessELj10EEvPKT_PS2_T2_, .Lfunc_end151-_Z17sort_pairs_kernelIxLj512ELj1EN10test_utils4lessELj10EEvPKT_PS2_T2_
                                        ; -- End function
	.set _Z17sort_pairs_kernelIxLj512ELj1EN10test_utils4lessELj10EEvPKT_PS2_T2_.num_vgpr, 84
	.set _Z17sort_pairs_kernelIxLj512ELj1EN10test_utils4lessELj10EEvPKT_PS2_T2_.num_agpr, 0
	.set _Z17sort_pairs_kernelIxLj512ELj1EN10test_utils4lessELj10EEvPKT_PS2_T2_.numbered_sgpr, 18
	.set _Z17sort_pairs_kernelIxLj512ELj1EN10test_utils4lessELj10EEvPKT_PS2_T2_.num_named_barrier, 0
	.set _Z17sort_pairs_kernelIxLj512ELj1EN10test_utils4lessELj10EEvPKT_PS2_T2_.private_seg_size, 0
	.set _Z17sort_pairs_kernelIxLj512ELj1EN10test_utils4lessELj10EEvPKT_PS2_T2_.uses_vcc, 1
	.set _Z17sort_pairs_kernelIxLj512ELj1EN10test_utils4lessELj10EEvPKT_PS2_T2_.uses_flat_scratch, 0
	.set _Z17sort_pairs_kernelIxLj512ELj1EN10test_utils4lessELj10EEvPKT_PS2_T2_.has_dyn_sized_stack, 0
	.set _Z17sort_pairs_kernelIxLj512ELj1EN10test_utils4lessELj10EEvPKT_PS2_T2_.has_recursion, 0
	.set _Z17sort_pairs_kernelIxLj512ELj1EN10test_utils4lessELj10EEvPKT_PS2_T2_.has_indirect_call, 0
	.section	.AMDGPU.csdata,"",@progbits
; Kernel info:
; codeLenInByte = 4368
; TotalNumSgprs: 20
; NumVgprs: 84
; ScratchSize: 0
; MemoryBound: 0
; FloatMode: 240
; IeeeMode: 1
; LDSByteSize: 4104 bytes/workgroup (compile time only)
; SGPRBlocks: 0
; VGPRBlocks: 10
; NumSGPRsForWavesPerEU: 20
; NumVGPRsForWavesPerEU: 84
; Occupancy: 16
; WaveLimiterHint : 0
; COMPUTE_PGM_RSRC2:SCRATCH_EN: 0
; COMPUTE_PGM_RSRC2:USER_SGPR: 2
; COMPUTE_PGM_RSRC2:TRAP_HANDLER: 0
; COMPUTE_PGM_RSRC2:TGID_X_EN: 1
; COMPUTE_PGM_RSRC2:TGID_Y_EN: 0
; COMPUTE_PGM_RSRC2:TGID_Z_EN: 0
; COMPUTE_PGM_RSRC2:TIDIG_COMP_CNT: 0
	.section	.text._Z16sort_keys_kernelIxLj512ELj2EN10test_utils4lessELj10EEvPKT_PS2_T2_,"axG",@progbits,_Z16sort_keys_kernelIxLj512ELj2EN10test_utils4lessELj10EEvPKT_PS2_T2_,comdat
	.protected	_Z16sort_keys_kernelIxLj512ELj2EN10test_utils4lessELj10EEvPKT_PS2_T2_ ; -- Begin function _Z16sort_keys_kernelIxLj512ELj2EN10test_utils4lessELj10EEvPKT_PS2_T2_
	.globl	_Z16sort_keys_kernelIxLj512ELj2EN10test_utils4lessELj10EEvPKT_PS2_T2_
	.p2align	8
	.type	_Z16sort_keys_kernelIxLj512ELj2EN10test_utils4lessELj10EEvPKT_PS2_T2_,@function
_Z16sort_keys_kernelIxLj512ELj2EN10test_utils4lessELj10EEvPKT_PS2_T2_: ; @_Z16sort_keys_kernelIxLj512ELj2EN10test_utils4lessELj10EEvPKT_PS2_T2_
; %bb.0:
	s_load_b128 s[12:15], s[0:1], 0x0
	s_lshl_b32 s16, ttmp9, 10
	s_mov_b32 s17, 0
	v_lshlrev_b32_e32 v3, 3, v0
	s_lshl_b64 s[18:19], s[16:17], 3
	v_lshlrev_b32_e32 v5, 1, v0
	v_lshlrev_b32_e32 v17, 4, v0
	s_delay_alu instid0(VALU_DEP_2)
	v_and_b32_e32 v9, 0x3fc, v5
	v_and_b32_e32 v39, 0x380, v5
	;; [unrolled: 1-line block ×5, first 2 shown]
	v_or_b32_e32 v10, 2, v9
	v_add_nc_u32_e32 v11, 4, v9
	v_or_b32_e32 v41, 64, v39
	v_add_nc_u32_e32 v42, 0x80, v39
	v_or_b32_e32 v13, 4, v12
	s_wait_kmcnt 0x0
	s_add_nc_u64 s[0:1], s[12:13], s[18:19]
	v_sub_nc_u32_e32 v7, v11, v10
	s_clause 0x1
	global_load_b64 v[1:2], v3, s[0:1]
	global_load_b64 v[3:4], v3, s[0:1] offset:4096
	v_sub_nc_u32_e32 v51, v42, v41
	v_add_nc_u32_e32 v14, 8, v12
	v_and_b32_e32 v18, 0x3f0, v5
	v_sub_nc_u32_e32 v8, v6, v7
	v_cmp_ge_i32_e32 vcc_lo, v6, v7
	v_and_b32_e32 v25, 0x3e0, v5
	v_sub_nc_u32_e32 v52, v74, v51
	v_and_b32_e32 v48, 0x300, v5
	v_cmp_ge_i32_e64 s4, v74, v51
	v_cndmask_b32_e32 v15, 0, v8, vcc_lo
	v_and_b32_e32 v7, 6, v5
	v_sub_nc_u32_e32 v8, v14, v13
	v_or_b32_e32 v20, 8, v18
	v_add_nc_u32_e32 v21, 16, v18
	v_or_b32_e32 v27, 16, v25
	v_add_nc_u32_e32 v28, 32, v25
	v_and_b32_e32 v32, 0x3c0, v5
	v_and_b32_e32 v50, 0x200, v5
	v_cndmask_b32_e64 v51, 0, v52, s4
	v_or_b32_e32 v52, 0x80, v48
	v_add_nc_u32_e32 v53, 0x100, v48
	v_sub_nc_u32_e32 v22, v7, v8
	v_cmp_ge_i32_e64 s0, v7, v8
	v_and_b32_e32 v8, 14, v5
	v_sub_nc_u32_e32 v29, v21, v20
	v_and_b32_e32 v72, 30, v5
	v_sub_nc_u32_e32 v36, v28, v27
	v_or_b32_e32 v34, 32, v32
	v_add_nc_u32_e32 v35, 64, v32
	v_or_b32_e32 v55, 0x100, v50
	v_add_nc_u32_e32 v56, 0x200, v50
	v_and_b32_e32 v75, 0xfe, v5
	v_sub_nc_u32_e32 v58, v53, v52
	v_sub_nc_u32_e32 v16, v10, v9
	;; [unrolled: 1-line block ×5, first 2 shown]
	v_cmp_ge_i32_e64 s1, v8, v29
	v_sub_nc_u32_e32 v37, v72, v36
	v_sub_nc_u32_e32 v38, v27, v25
	v_cmp_ge_i32_e64 s2, v72, v36
	v_and_b32_e32 v73, 62, v5
	v_sub_nc_u32_e32 v43, v35, v34
	v_and_b32_e32 v76, 0x1fe, v5
	v_sub_nc_u32_e32 v60, v56, v55
	v_sub_nc_u32_e32 v59, v75, v58
	v_cmp_ge_i32_e64 s5, v75, v58
	v_min_i32_e32 v16, v6, v16
	v_min_i32_e32 v23, v7, v23
	v_add_nc_u32_e32 v24, v10, v6
	v_cndmask_b32_e64 v29, 0, v30, s1
	v_min_i32_e32 v30, v8, v31
	v_add_nc_u32_e32 v31, v13, v7
	v_cndmask_b32_e64 v36, 0, v37, s2
	v_min_i32_e32 v37, v72, v38
	v_add_nc_u32_e32 v38, v20, v8
	v_sub_nc_u32_e32 v44, v73, v43
	v_sub_nc_u32_e32 v45, v34, v32
	v_cmp_ge_i32_e64 s3, v73, v43
	v_sub_nc_u32_e32 v54, v41, v39
	v_sub_nc_u32_e32 v61, v52, v48
	;; [unrolled: 1-line block ×4, first 2 shown]
	s_wait_alu 0xf1ff
	v_cndmask_b32_e64 v58, 0, v59, s5
	v_cmp_ge_i32_e64 s5, v76, v60
	v_lshlrev_b32_e32 v6, 3, v6
	v_lshlrev_b32_e32 v7, 3, v7
	;; [unrolled: 1-line block ×3, first 2 shown]
	v_cndmask_b32_e64 v22, 0, v22, s0
	v_cndmask_b32_e64 v43, 0, v44, s3
	v_min_i32_e32 v44, v73, v45
	v_min_i32_e32 v54, v74, v54
	;; [unrolled: 1-line block ×3, first 2 shown]
	s_wait_alu 0xf1ff
	v_cndmask_b32_e64 v60, 0, v63, s5
	v_min_i32_e32 v61, v76, v62
	v_subrev_nc_u32_e64 v65, 0x200, v5 clamp
	v_min_i32_e32 v66, 0x200, v5
	v_add_nc_u32_e32 v67, v55, v76
	v_add_nc_u32_e32 v68, 0x200, v5
	v_lshl_add_u32 v69, v10, 3, v6
	v_lshl_add_u32 v70, v13, 3, v7
	;; [unrolled: 1-line block ×3, first 2 shown]
	v_lshlrev_b32_e32 v5, 3, v72
	v_lshlrev_b32_e32 v6, 3, v73
	;; [unrolled: 1-line block ×7, first 2 shown]
	v_cmp_lt_i32_e64 s0, v22, v23
	v_lshlrev_b32_e32 v33, 3, v18
	v_cmp_lt_i32_e64 s1, v29, v30
	v_lshlrev_b32_e32 v40, 3, v25
	v_cmp_lt_i32_e64 s2, v36, v37
	v_add_nc_u32_e32 v45, v27, v72
	v_lshlrev_b32_e32 v46, 3, v32
	v_cmp_lt_i32_e64 s3, v43, v44
	v_add_nc_u32_e32 v47, v34, v73
	;; [unrolled: 3-line block ×4, first 2 shown]
	v_lshlrev_b32_e32 v64, 3, v50
	v_cmp_lt_i32_e64 s6, v60, v61
	v_cmp_lt_i32_e64 s7, v65, v66
	v_lshl_add_u32 v72, v27, 3, v5
	v_lshl_add_u32 v73, v34, 3, v6
	;; [unrolled: 1-line block ×5, first 2 shown]
	v_add_nc_u32_e32 v77, 0x1000, v17
	v_cmp_lt_i32_e32 vcc_lo, v15, v16
	s_branch .LBB152_2
.LBB152_1:                              ;   in Loop: Header=BB152_2 Depth=1
	s_or_b32 exec_lo, exec_lo, s9
	s_wait_dscnt 0x0
	s_delay_alu instid0(VALU_DEP_1)
	v_cmp_lt_i64_e64 s9, v[7:8], v[5:6]
	v_cmp_le_i32_e64 s10, 0x200, v78
	v_cmp_gt_i32_e64 s11, 0x400, v79
	v_cndmask_b32_e64 v2, v2, v4, s8
	v_cndmask_b32_e64 v1, v1, v3, s8
	s_add_co_i32 s17, s17, 1
	s_or_b32 s9, s10, s9
	s_wait_alu 0xfffe
	s_and_b32 s8, s11, s9
	s_cmp_eq_u32 s17, 10
	s_wait_alu 0xfffe
	v_cndmask_b32_e64 v4, v6, v8, s8
	v_cndmask_b32_e64 v3, v5, v7, s8
	s_cbranch_scc1 .LBB152_74
.LBB152_2:                              ; =>This Loop Header: Depth=1
                                        ;     Child Loop BB152_4 Depth 2
                                        ;     Child Loop BB152_12 Depth 2
	;; [unrolled: 1-line block ×9, first 2 shown]
	s_wait_loadcnt 0x0
	s_delay_alu instid0(VALU_DEP_1)
	v_cmp_lt_i64_e64 s8, v[3:4], v[1:2]
	v_mov_b32_e32 v5, v15
	s_barrier_signal -1
	s_barrier_wait -1
	global_inv scope:SCOPE_SE
	s_wait_alu 0xf1ff
	v_cndmask_b32_e64 v7, v4, v2, s8
	v_cndmask_b32_e64 v6, v3, v1, s8
	v_cndmask_b32_e64 v2, v2, v4, s8
	v_cndmask_b32_e64 v1, v1, v3, s8
	ds_store_2addr_b64 v17, v[1:2], v[6:7] offset1:1
	s_wait_loadcnt_dscnt 0x0
	s_barrier_signal -1
	s_barrier_wait -1
	global_inv scope:SCOPE_SE
	s_and_saveexec_b32 s9, vcc_lo
	s_cbranch_execz .LBB152_6
; %bb.3:                                ;   in Loop: Header=BB152_2 Depth=1
	v_mov_b32_e32 v5, v15
	v_mov_b32_e32 v1, v16
	s_mov_b32 s10, 0
.LBB152_4:                              ;   Parent Loop BB152_2 Depth=1
                                        ; =>  This Inner Loop Header: Depth=2
	s_delay_alu instid0(VALU_DEP_1) | instskip(NEXT) | instid1(VALU_DEP_1)
	v_sub_nc_u32_e32 v2, v1, v5
	v_lshrrev_b32_e32 v2, 1, v2
	s_delay_alu instid0(VALU_DEP_1) | instskip(NEXT) | instid1(VALU_DEP_1)
	v_add_nc_u32_e32 v4, v2, v5
	v_not_b32_e32 v2, v4
	v_lshl_add_u32 v3, v4, 3, v19
	s_delay_alu instid0(VALU_DEP_2)
	v_lshl_add_u32 v6, v2, 3, v69
	ds_load_b64 v[2:3], v3
	ds_load_b64 v[6:7], v6
	s_wait_dscnt 0x0
	v_cmp_lt_i64_e64 s8, v[6:7], v[2:3]
	v_add_nc_u32_e32 v2, 1, v4
	s_wait_alu 0xf1ff
	s_delay_alu instid0(VALU_DEP_2) | instskip(NEXT) | instid1(VALU_DEP_2)
	v_cndmask_b32_e64 v1, v1, v4, s8
	v_cndmask_b32_e64 v5, v2, v5, s8
	s_delay_alu instid0(VALU_DEP_1) | instskip(SKIP_1) | instid1(SALU_CYCLE_1)
	v_cmp_ge_i32_e64 s8, v5, v1
	s_or_b32 s10, s8, s10
	s_and_not1_b32 exec_lo, exec_lo, s10
	s_cbranch_execnz .LBB152_4
; %bb.5:                                ;   in Loop: Header=BB152_2 Depth=1
	s_or_b32 exec_lo, exec_lo, s10
.LBB152_6:                              ;   in Loop: Header=BB152_2 Depth=1
	s_wait_alu 0xfffe
	s_or_b32 exec_lo, exec_lo, s9
	v_sub_nc_u32_e32 v78, v24, v5
	v_lshl_add_u32 v7, v5, 3, v19
	v_add_nc_u32_e32 v79, v5, v9
                                        ; implicit-def: $vgpr5_vgpr6
	s_delay_alu instid0(VALU_DEP_3) | instskip(SKIP_1) | instid1(VALU_DEP_3)
	v_lshlrev_b32_e32 v80, 3, v78
	v_cmp_gt_i32_e64 s10, v11, v78
	v_cmp_le_i32_e64 s9, v10, v79
	ds_load_b64 v[1:2], v7
	ds_load_b64 v[3:4], v80
	s_wait_dscnt 0x0
	v_cmp_lt_i64_e64 s8, v[3:4], v[1:2]
	s_or_b32 s8, s9, s8
	s_wait_alu 0xfffe
	s_and_b32 s8, s10, s8
	s_wait_alu 0xfffe
	s_xor_b32 s9, s8, -1
	s_wait_alu 0xfffe
	s_and_saveexec_b32 s10, s9
	s_delay_alu instid0(SALU_CYCLE_1)
	s_xor_b32 s9, exec_lo, s10
; %bb.7:                                ;   in Loop: Header=BB152_2 Depth=1
	ds_load_b64 v[5:6], v7 offset:8
                                        ; implicit-def: $vgpr80
; %bb.8:                                ;   in Loop: Header=BB152_2 Depth=1
	s_wait_alu 0xfffe
	s_or_saveexec_b32 s9, s9
	v_dual_mov_b32 v8, v4 :: v_dual_mov_b32 v7, v3
	s_wait_alu 0xfffe
	s_xor_b32 exec_lo, exec_lo, s9
	s_cbranch_execz .LBB152_10
; %bb.9:                                ;   in Loop: Header=BB152_2 Depth=1
	ds_load_b64 v[7:8], v80 offset:8
	s_wait_dscnt 0x1
	v_dual_mov_b32 v6, v2 :: v_dual_mov_b32 v5, v1
.LBB152_10:                             ;   in Loop: Header=BB152_2 Depth=1
	s_or_b32 exec_lo, exec_lo, s9
	v_add_nc_u32_e32 v80, 1, v79
	v_add_nc_u32_e32 v81, 1, v78
	s_wait_dscnt 0x0
	v_cmp_lt_i64_e64 s9, v[7:8], v[5:6]
	v_cndmask_b32_e64 v2, v2, v4, s8
	v_cndmask_b32_e64 v1, v1, v3, s8
	;; [unrolled: 1-line block ×4, first 2 shown]
	s_wait_loadcnt 0x0
	s_barrier_signal -1
	s_barrier_wait -1
	v_cmp_ge_i32_e64 s10, v79, v10
	v_cmp_lt_i32_e64 s11, v78, v11
	global_inv scope:SCOPE_SE
	s_or_b32 s8, s10, s9
	s_wait_alu 0xfffe
	s_and_b32 s8, s11, s8
	s_wait_alu 0xfffe
	v_cndmask_b32_e64 v4, v6, v8, s8
	v_cndmask_b32_e64 v3, v5, v7, s8
	v_mov_b32_e32 v5, v22
	ds_store_2addr_b64 v17, v[1:2], v[3:4] offset1:1
	s_wait_loadcnt_dscnt 0x0
	s_barrier_signal -1
	s_barrier_wait -1
	global_inv scope:SCOPE_SE
	s_and_saveexec_b32 s9, s0
	s_cbranch_execz .LBB152_14
; %bb.11:                               ;   in Loop: Header=BB152_2 Depth=1
	v_mov_b32_e32 v5, v22
	v_mov_b32_e32 v1, v23
	s_mov_b32 s10, 0
.LBB152_12:                             ;   Parent Loop BB152_2 Depth=1
                                        ; =>  This Inner Loop Header: Depth=2
	s_delay_alu instid0(VALU_DEP_1) | instskip(NEXT) | instid1(VALU_DEP_1)
	v_sub_nc_u32_e32 v2, v1, v5
	v_lshrrev_b32_e32 v2, 1, v2
	s_delay_alu instid0(VALU_DEP_1) | instskip(NEXT) | instid1(VALU_DEP_1)
	v_add_nc_u32_e32 v4, v2, v5
	v_not_b32_e32 v2, v4
	v_lshl_add_u32 v3, v4, 3, v26
	s_delay_alu instid0(VALU_DEP_2)
	v_lshl_add_u32 v6, v2, 3, v70
	ds_load_b64 v[2:3], v3
	ds_load_b64 v[6:7], v6
	s_wait_dscnt 0x0
	v_cmp_lt_i64_e64 s8, v[6:7], v[2:3]
	v_add_nc_u32_e32 v2, 1, v4
	s_wait_alu 0xf1ff
	s_delay_alu instid0(VALU_DEP_2) | instskip(NEXT) | instid1(VALU_DEP_2)
	v_cndmask_b32_e64 v1, v1, v4, s8
	v_cndmask_b32_e64 v5, v2, v5, s8
	s_delay_alu instid0(VALU_DEP_1) | instskip(SKIP_1) | instid1(SALU_CYCLE_1)
	v_cmp_ge_i32_e64 s8, v5, v1
	s_or_b32 s10, s8, s10
	s_and_not1_b32 exec_lo, exec_lo, s10
	s_cbranch_execnz .LBB152_12
; %bb.13:                               ;   in Loop: Header=BB152_2 Depth=1
	s_or_b32 exec_lo, exec_lo, s10
.LBB152_14:                             ;   in Loop: Header=BB152_2 Depth=1
	s_wait_alu 0xfffe
	s_or_b32 exec_lo, exec_lo, s9
	v_sub_nc_u32_e32 v78, v31, v5
	v_lshl_add_u32 v7, v5, 3, v26
	v_add_nc_u32_e32 v79, v5, v12
                                        ; implicit-def: $vgpr5_vgpr6
	s_delay_alu instid0(VALU_DEP_3) | instskip(SKIP_1) | instid1(VALU_DEP_3)
	v_lshlrev_b32_e32 v80, 3, v78
	v_cmp_gt_i32_e64 s10, v14, v78
	v_cmp_le_i32_e64 s9, v13, v79
	ds_load_b64 v[1:2], v7
	ds_load_b64 v[3:4], v80
	s_wait_dscnt 0x0
	v_cmp_lt_i64_e64 s8, v[3:4], v[1:2]
	s_or_b32 s8, s9, s8
	s_wait_alu 0xfffe
	s_and_b32 s8, s10, s8
	s_wait_alu 0xfffe
	s_xor_b32 s9, s8, -1
	s_wait_alu 0xfffe
	s_and_saveexec_b32 s10, s9
	s_delay_alu instid0(SALU_CYCLE_1)
	s_xor_b32 s9, exec_lo, s10
; %bb.15:                               ;   in Loop: Header=BB152_2 Depth=1
	ds_load_b64 v[5:6], v7 offset:8
                                        ; implicit-def: $vgpr80
; %bb.16:                               ;   in Loop: Header=BB152_2 Depth=1
	s_wait_alu 0xfffe
	s_or_saveexec_b32 s9, s9
	v_dual_mov_b32 v8, v4 :: v_dual_mov_b32 v7, v3
	s_wait_alu 0xfffe
	s_xor_b32 exec_lo, exec_lo, s9
	s_cbranch_execz .LBB152_18
; %bb.17:                               ;   in Loop: Header=BB152_2 Depth=1
	ds_load_b64 v[7:8], v80 offset:8
	s_wait_dscnt 0x1
	v_dual_mov_b32 v6, v2 :: v_dual_mov_b32 v5, v1
.LBB152_18:                             ;   in Loop: Header=BB152_2 Depth=1
	s_or_b32 exec_lo, exec_lo, s9
	v_add_nc_u32_e32 v80, 1, v79
	v_add_nc_u32_e32 v81, 1, v78
	s_wait_dscnt 0x0
	v_cmp_lt_i64_e64 s9, v[7:8], v[5:6]
	v_cndmask_b32_e64 v2, v2, v4, s8
	v_cndmask_b32_e64 v1, v1, v3, s8
	;; [unrolled: 1-line block ×4, first 2 shown]
	s_wait_loadcnt 0x0
	s_barrier_signal -1
	s_barrier_wait -1
	v_cmp_ge_i32_e64 s10, v79, v13
	v_cmp_lt_i32_e64 s11, v78, v14
	global_inv scope:SCOPE_SE
	s_or_b32 s8, s10, s9
	s_wait_alu 0xfffe
	s_and_b32 s8, s11, s8
	s_wait_alu 0xfffe
	v_cndmask_b32_e64 v4, v6, v8, s8
	v_cndmask_b32_e64 v3, v5, v7, s8
	v_mov_b32_e32 v5, v29
	ds_store_2addr_b64 v17, v[1:2], v[3:4] offset1:1
	s_wait_loadcnt_dscnt 0x0
	s_barrier_signal -1
	s_barrier_wait -1
	global_inv scope:SCOPE_SE
	s_and_saveexec_b32 s9, s1
	s_cbranch_execz .LBB152_22
; %bb.19:                               ;   in Loop: Header=BB152_2 Depth=1
	v_mov_b32_e32 v5, v29
	v_mov_b32_e32 v1, v30
	s_mov_b32 s10, 0
.LBB152_20:                             ;   Parent Loop BB152_2 Depth=1
                                        ; =>  This Inner Loop Header: Depth=2
	s_delay_alu instid0(VALU_DEP_1) | instskip(NEXT) | instid1(VALU_DEP_1)
	v_sub_nc_u32_e32 v2, v1, v5
	v_lshrrev_b32_e32 v2, 1, v2
	s_delay_alu instid0(VALU_DEP_1) | instskip(NEXT) | instid1(VALU_DEP_1)
	v_add_nc_u32_e32 v4, v2, v5
	v_not_b32_e32 v2, v4
	v_lshl_add_u32 v3, v4, 3, v33
	s_delay_alu instid0(VALU_DEP_2)
	v_lshl_add_u32 v6, v2, 3, v71
	ds_load_b64 v[2:3], v3
	ds_load_b64 v[6:7], v6
	s_wait_dscnt 0x0
	v_cmp_lt_i64_e64 s8, v[6:7], v[2:3]
	v_add_nc_u32_e32 v2, 1, v4
	s_wait_alu 0xf1ff
	s_delay_alu instid0(VALU_DEP_2) | instskip(NEXT) | instid1(VALU_DEP_2)
	v_cndmask_b32_e64 v1, v1, v4, s8
	v_cndmask_b32_e64 v5, v2, v5, s8
	s_delay_alu instid0(VALU_DEP_1) | instskip(SKIP_1) | instid1(SALU_CYCLE_1)
	v_cmp_ge_i32_e64 s8, v5, v1
	s_or_b32 s10, s8, s10
	s_and_not1_b32 exec_lo, exec_lo, s10
	s_cbranch_execnz .LBB152_20
; %bb.21:                               ;   in Loop: Header=BB152_2 Depth=1
	s_or_b32 exec_lo, exec_lo, s10
.LBB152_22:                             ;   in Loop: Header=BB152_2 Depth=1
	s_wait_alu 0xfffe
	s_or_b32 exec_lo, exec_lo, s9
	v_sub_nc_u32_e32 v78, v38, v5
	v_lshl_add_u32 v7, v5, 3, v33
	v_add_nc_u32_e32 v79, v5, v18
                                        ; implicit-def: $vgpr5_vgpr6
	s_delay_alu instid0(VALU_DEP_3) | instskip(SKIP_1) | instid1(VALU_DEP_3)
	v_lshlrev_b32_e32 v80, 3, v78
	v_cmp_gt_i32_e64 s10, v21, v78
	v_cmp_le_i32_e64 s9, v20, v79
	ds_load_b64 v[1:2], v7
	ds_load_b64 v[3:4], v80
	s_wait_dscnt 0x0
	v_cmp_lt_i64_e64 s8, v[3:4], v[1:2]
	s_or_b32 s8, s9, s8
	s_wait_alu 0xfffe
	s_and_b32 s8, s10, s8
	s_wait_alu 0xfffe
	s_xor_b32 s9, s8, -1
	s_wait_alu 0xfffe
	s_and_saveexec_b32 s10, s9
	s_delay_alu instid0(SALU_CYCLE_1)
	s_xor_b32 s9, exec_lo, s10
; %bb.23:                               ;   in Loop: Header=BB152_2 Depth=1
	ds_load_b64 v[5:6], v7 offset:8
                                        ; implicit-def: $vgpr80
; %bb.24:                               ;   in Loop: Header=BB152_2 Depth=1
	s_wait_alu 0xfffe
	s_or_saveexec_b32 s9, s9
	v_dual_mov_b32 v8, v4 :: v_dual_mov_b32 v7, v3
	s_wait_alu 0xfffe
	s_xor_b32 exec_lo, exec_lo, s9
	s_cbranch_execz .LBB152_26
; %bb.25:                               ;   in Loop: Header=BB152_2 Depth=1
	ds_load_b64 v[7:8], v80 offset:8
	s_wait_dscnt 0x1
	v_dual_mov_b32 v6, v2 :: v_dual_mov_b32 v5, v1
.LBB152_26:                             ;   in Loop: Header=BB152_2 Depth=1
	s_or_b32 exec_lo, exec_lo, s9
	v_add_nc_u32_e32 v80, 1, v79
	v_add_nc_u32_e32 v81, 1, v78
	s_wait_dscnt 0x0
	v_cmp_lt_i64_e64 s9, v[7:8], v[5:6]
	v_cndmask_b32_e64 v2, v2, v4, s8
	v_cndmask_b32_e64 v1, v1, v3, s8
	;; [unrolled: 1-line block ×4, first 2 shown]
	s_wait_loadcnt 0x0
	s_barrier_signal -1
	s_barrier_wait -1
	v_cmp_ge_i32_e64 s10, v79, v20
	v_cmp_lt_i32_e64 s11, v78, v21
	global_inv scope:SCOPE_SE
	s_or_b32 s8, s10, s9
	s_wait_alu 0xfffe
	s_and_b32 s8, s11, s8
	s_wait_alu 0xfffe
	v_cndmask_b32_e64 v4, v6, v8, s8
	v_cndmask_b32_e64 v3, v5, v7, s8
	v_mov_b32_e32 v5, v36
	ds_store_2addr_b64 v17, v[1:2], v[3:4] offset1:1
	s_wait_loadcnt_dscnt 0x0
	s_barrier_signal -1
	s_barrier_wait -1
	global_inv scope:SCOPE_SE
	s_and_saveexec_b32 s9, s2
	s_cbranch_execz .LBB152_30
; %bb.27:                               ;   in Loop: Header=BB152_2 Depth=1
	v_mov_b32_e32 v5, v36
	v_mov_b32_e32 v1, v37
	s_mov_b32 s10, 0
.LBB152_28:                             ;   Parent Loop BB152_2 Depth=1
                                        ; =>  This Inner Loop Header: Depth=2
	s_delay_alu instid0(VALU_DEP_1) | instskip(NEXT) | instid1(VALU_DEP_1)
	v_sub_nc_u32_e32 v2, v1, v5
	v_lshrrev_b32_e32 v2, 1, v2
	s_delay_alu instid0(VALU_DEP_1) | instskip(NEXT) | instid1(VALU_DEP_1)
	v_add_nc_u32_e32 v4, v2, v5
	v_not_b32_e32 v2, v4
	v_lshl_add_u32 v3, v4, 3, v40
	s_delay_alu instid0(VALU_DEP_2)
	v_lshl_add_u32 v6, v2, 3, v72
	ds_load_b64 v[2:3], v3
	ds_load_b64 v[6:7], v6
	s_wait_dscnt 0x0
	v_cmp_lt_i64_e64 s8, v[6:7], v[2:3]
	v_add_nc_u32_e32 v2, 1, v4
	s_wait_alu 0xf1ff
	s_delay_alu instid0(VALU_DEP_2) | instskip(NEXT) | instid1(VALU_DEP_2)
	v_cndmask_b32_e64 v1, v1, v4, s8
	v_cndmask_b32_e64 v5, v2, v5, s8
	s_delay_alu instid0(VALU_DEP_1) | instskip(SKIP_1) | instid1(SALU_CYCLE_1)
	v_cmp_ge_i32_e64 s8, v5, v1
	s_or_b32 s10, s8, s10
	s_and_not1_b32 exec_lo, exec_lo, s10
	s_cbranch_execnz .LBB152_28
; %bb.29:                               ;   in Loop: Header=BB152_2 Depth=1
	s_or_b32 exec_lo, exec_lo, s10
.LBB152_30:                             ;   in Loop: Header=BB152_2 Depth=1
	s_wait_alu 0xfffe
	s_or_b32 exec_lo, exec_lo, s9
	v_sub_nc_u32_e32 v78, v45, v5
	v_lshl_add_u32 v7, v5, 3, v40
	v_add_nc_u32_e32 v79, v5, v25
                                        ; implicit-def: $vgpr5_vgpr6
	s_delay_alu instid0(VALU_DEP_3) | instskip(SKIP_1) | instid1(VALU_DEP_3)
	v_lshlrev_b32_e32 v80, 3, v78
	v_cmp_gt_i32_e64 s10, v28, v78
	v_cmp_le_i32_e64 s9, v27, v79
	ds_load_b64 v[1:2], v7
	ds_load_b64 v[3:4], v80
	s_wait_dscnt 0x0
	v_cmp_lt_i64_e64 s8, v[3:4], v[1:2]
	s_or_b32 s8, s9, s8
	s_wait_alu 0xfffe
	s_and_b32 s8, s10, s8
	s_wait_alu 0xfffe
	s_xor_b32 s9, s8, -1
	s_wait_alu 0xfffe
	s_and_saveexec_b32 s10, s9
	s_delay_alu instid0(SALU_CYCLE_1)
	s_xor_b32 s9, exec_lo, s10
; %bb.31:                               ;   in Loop: Header=BB152_2 Depth=1
	ds_load_b64 v[5:6], v7 offset:8
                                        ; implicit-def: $vgpr80
; %bb.32:                               ;   in Loop: Header=BB152_2 Depth=1
	s_wait_alu 0xfffe
	s_or_saveexec_b32 s9, s9
	v_dual_mov_b32 v8, v4 :: v_dual_mov_b32 v7, v3
	s_wait_alu 0xfffe
	s_xor_b32 exec_lo, exec_lo, s9
	s_cbranch_execz .LBB152_34
; %bb.33:                               ;   in Loop: Header=BB152_2 Depth=1
	ds_load_b64 v[7:8], v80 offset:8
	s_wait_dscnt 0x1
	v_dual_mov_b32 v6, v2 :: v_dual_mov_b32 v5, v1
.LBB152_34:                             ;   in Loop: Header=BB152_2 Depth=1
	s_or_b32 exec_lo, exec_lo, s9
	v_add_nc_u32_e32 v80, 1, v79
	v_add_nc_u32_e32 v81, 1, v78
	s_wait_dscnt 0x0
	v_cmp_lt_i64_e64 s9, v[7:8], v[5:6]
	v_cndmask_b32_e64 v2, v2, v4, s8
	v_cndmask_b32_e64 v1, v1, v3, s8
	;; [unrolled: 1-line block ×4, first 2 shown]
	s_wait_loadcnt 0x0
	s_barrier_signal -1
	s_barrier_wait -1
	v_cmp_ge_i32_e64 s10, v79, v27
	v_cmp_lt_i32_e64 s11, v78, v28
	global_inv scope:SCOPE_SE
	s_or_b32 s8, s10, s9
	s_wait_alu 0xfffe
	s_and_b32 s8, s11, s8
	s_wait_alu 0xfffe
	v_cndmask_b32_e64 v4, v6, v8, s8
	v_cndmask_b32_e64 v3, v5, v7, s8
	v_mov_b32_e32 v5, v43
	ds_store_2addr_b64 v17, v[1:2], v[3:4] offset1:1
	s_wait_loadcnt_dscnt 0x0
	s_barrier_signal -1
	s_barrier_wait -1
	global_inv scope:SCOPE_SE
	s_and_saveexec_b32 s9, s3
	s_cbranch_execz .LBB152_38
; %bb.35:                               ;   in Loop: Header=BB152_2 Depth=1
	v_mov_b32_e32 v5, v43
	v_mov_b32_e32 v1, v44
	s_mov_b32 s10, 0
.LBB152_36:                             ;   Parent Loop BB152_2 Depth=1
                                        ; =>  This Inner Loop Header: Depth=2
	s_delay_alu instid0(VALU_DEP_1) | instskip(NEXT) | instid1(VALU_DEP_1)
	v_sub_nc_u32_e32 v2, v1, v5
	v_lshrrev_b32_e32 v2, 1, v2
	s_delay_alu instid0(VALU_DEP_1) | instskip(NEXT) | instid1(VALU_DEP_1)
	v_add_nc_u32_e32 v4, v2, v5
	v_not_b32_e32 v2, v4
	v_lshl_add_u32 v3, v4, 3, v46
	s_delay_alu instid0(VALU_DEP_2)
	v_lshl_add_u32 v6, v2, 3, v73
	ds_load_b64 v[2:3], v3
	ds_load_b64 v[6:7], v6
	s_wait_dscnt 0x0
	v_cmp_lt_i64_e64 s8, v[6:7], v[2:3]
	v_add_nc_u32_e32 v2, 1, v4
	s_wait_alu 0xf1ff
	s_delay_alu instid0(VALU_DEP_2) | instskip(NEXT) | instid1(VALU_DEP_2)
	v_cndmask_b32_e64 v1, v1, v4, s8
	v_cndmask_b32_e64 v5, v2, v5, s8
	s_delay_alu instid0(VALU_DEP_1) | instskip(SKIP_1) | instid1(SALU_CYCLE_1)
	v_cmp_ge_i32_e64 s8, v5, v1
	s_or_b32 s10, s8, s10
	s_and_not1_b32 exec_lo, exec_lo, s10
	s_cbranch_execnz .LBB152_36
; %bb.37:                               ;   in Loop: Header=BB152_2 Depth=1
	s_or_b32 exec_lo, exec_lo, s10
.LBB152_38:                             ;   in Loop: Header=BB152_2 Depth=1
	s_wait_alu 0xfffe
	s_or_b32 exec_lo, exec_lo, s9
	v_sub_nc_u32_e32 v78, v47, v5
	v_lshl_add_u32 v7, v5, 3, v46
	v_add_nc_u32_e32 v79, v5, v32
                                        ; implicit-def: $vgpr5_vgpr6
	s_delay_alu instid0(VALU_DEP_3) | instskip(SKIP_1) | instid1(VALU_DEP_3)
	v_lshlrev_b32_e32 v80, 3, v78
	v_cmp_gt_i32_e64 s10, v35, v78
	v_cmp_le_i32_e64 s9, v34, v79
	ds_load_b64 v[1:2], v7
	ds_load_b64 v[3:4], v80
	s_wait_dscnt 0x0
	v_cmp_lt_i64_e64 s8, v[3:4], v[1:2]
	s_or_b32 s8, s9, s8
	s_wait_alu 0xfffe
	s_and_b32 s8, s10, s8
	s_wait_alu 0xfffe
	s_xor_b32 s9, s8, -1
	s_wait_alu 0xfffe
	s_and_saveexec_b32 s10, s9
	s_delay_alu instid0(SALU_CYCLE_1)
	s_xor_b32 s9, exec_lo, s10
; %bb.39:                               ;   in Loop: Header=BB152_2 Depth=1
	ds_load_b64 v[5:6], v7 offset:8
                                        ; implicit-def: $vgpr80
; %bb.40:                               ;   in Loop: Header=BB152_2 Depth=1
	s_wait_alu 0xfffe
	s_or_saveexec_b32 s9, s9
	v_dual_mov_b32 v8, v4 :: v_dual_mov_b32 v7, v3
	s_wait_alu 0xfffe
	s_xor_b32 exec_lo, exec_lo, s9
	s_cbranch_execz .LBB152_42
; %bb.41:                               ;   in Loop: Header=BB152_2 Depth=1
	ds_load_b64 v[7:8], v80 offset:8
	s_wait_dscnt 0x1
	v_dual_mov_b32 v6, v2 :: v_dual_mov_b32 v5, v1
.LBB152_42:                             ;   in Loop: Header=BB152_2 Depth=1
	s_or_b32 exec_lo, exec_lo, s9
	v_add_nc_u32_e32 v80, 1, v79
	v_add_nc_u32_e32 v81, 1, v78
	s_wait_dscnt 0x0
	v_cmp_lt_i64_e64 s9, v[7:8], v[5:6]
	v_cndmask_b32_e64 v2, v2, v4, s8
	v_cndmask_b32_e64 v1, v1, v3, s8
	;; [unrolled: 1-line block ×4, first 2 shown]
	s_wait_loadcnt 0x0
	s_barrier_signal -1
	s_barrier_wait -1
	v_cmp_ge_i32_e64 s10, v79, v34
	v_cmp_lt_i32_e64 s11, v78, v35
	global_inv scope:SCOPE_SE
	s_or_b32 s8, s10, s9
	s_wait_alu 0xfffe
	s_and_b32 s8, s11, s8
	s_wait_alu 0xfffe
	v_cndmask_b32_e64 v4, v6, v8, s8
	v_cndmask_b32_e64 v3, v5, v7, s8
	v_mov_b32_e32 v5, v51
	ds_store_2addr_b64 v17, v[1:2], v[3:4] offset1:1
	s_wait_loadcnt_dscnt 0x0
	s_barrier_signal -1
	s_barrier_wait -1
	global_inv scope:SCOPE_SE
	s_and_saveexec_b32 s9, s4
	s_cbranch_execz .LBB152_46
; %bb.43:                               ;   in Loop: Header=BB152_2 Depth=1
	v_mov_b32_e32 v5, v51
	v_mov_b32_e32 v1, v54
	s_mov_b32 s10, 0
.LBB152_44:                             ;   Parent Loop BB152_2 Depth=1
                                        ; =>  This Inner Loop Header: Depth=2
	s_delay_alu instid0(VALU_DEP_1) | instskip(NEXT) | instid1(VALU_DEP_1)
	v_sub_nc_u32_e32 v2, v1, v5
	v_lshrrev_b32_e32 v2, 1, v2
	s_delay_alu instid0(VALU_DEP_1) | instskip(NEXT) | instid1(VALU_DEP_1)
	v_add_nc_u32_e32 v4, v2, v5
	v_not_b32_e32 v2, v4
	v_lshl_add_u32 v3, v4, 3, v49
	s_delay_alu instid0(VALU_DEP_2)
	v_lshl_add_u32 v6, v2, 3, v74
	ds_load_b64 v[2:3], v3
	ds_load_b64 v[6:7], v6
	s_wait_dscnt 0x0
	v_cmp_lt_i64_e64 s8, v[6:7], v[2:3]
	v_add_nc_u32_e32 v2, 1, v4
	s_wait_alu 0xf1ff
	s_delay_alu instid0(VALU_DEP_2) | instskip(NEXT) | instid1(VALU_DEP_2)
	v_cndmask_b32_e64 v1, v1, v4, s8
	v_cndmask_b32_e64 v5, v2, v5, s8
	s_delay_alu instid0(VALU_DEP_1) | instskip(SKIP_1) | instid1(SALU_CYCLE_1)
	v_cmp_ge_i32_e64 s8, v5, v1
	s_or_b32 s10, s8, s10
	s_and_not1_b32 exec_lo, exec_lo, s10
	s_cbranch_execnz .LBB152_44
; %bb.45:                               ;   in Loop: Header=BB152_2 Depth=1
	s_or_b32 exec_lo, exec_lo, s10
.LBB152_46:                             ;   in Loop: Header=BB152_2 Depth=1
	s_wait_alu 0xfffe
	s_or_b32 exec_lo, exec_lo, s9
	v_sub_nc_u32_e32 v78, v57, v5
	v_lshl_add_u32 v7, v5, 3, v49
	v_add_nc_u32_e32 v79, v5, v39
                                        ; implicit-def: $vgpr5_vgpr6
	s_delay_alu instid0(VALU_DEP_3) | instskip(SKIP_1) | instid1(VALU_DEP_3)
	v_lshlrev_b32_e32 v80, 3, v78
	v_cmp_gt_i32_e64 s10, v42, v78
	v_cmp_le_i32_e64 s9, v41, v79
	ds_load_b64 v[1:2], v7
	ds_load_b64 v[3:4], v80
	s_wait_dscnt 0x0
	v_cmp_lt_i64_e64 s8, v[3:4], v[1:2]
	s_or_b32 s8, s9, s8
	s_wait_alu 0xfffe
	s_and_b32 s8, s10, s8
	s_wait_alu 0xfffe
	s_xor_b32 s9, s8, -1
	s_wait_alu 0xfffe
	s_and_saveexec_b32 s10, s9
	s_delay_alu instid0(SALU_CYCLE_1)
	s_xor_b32 s9, exec_lo, s10
; %bb.47:                               ;   in Loop: Header=BB152_2 Depth=1
	ds_load_b64 v[5:6], v7 offset:8
                                        ; implicit-def: $vgpr80
; %bb.48:                               ;   in Loop: Header=BB152_2 Depth=1
	s_wait_alu 0xfffe
	s_or_saveexec_b32 s9, s9
	v_dual_mov_b32 v8, v4 :: v_dual_mov_b32 v7, v3
	s_wait_alu 0xfffe
	s_xor_b32 exec_lo, exec_lo, s9
	s_cbranch_execz .LBB152_50
; %bb.49:                               ;   in Loop: Header=BB152_2 Depth=1
	ds_load_b64 v[7:8], v80 offset:8
	s_wait_dscnt 0x1
	v_dual_mov_b32 v6, v2 :: v_dual_mov_b32 v5, v1
.LBB152_50:                             ;   in Loop: Header=BB152_2 Depth=1
	s_or_b32 exec_lo, exec_lo, s9
	v_add_nc_u32_e32 v80, 1, v79
	v_add_nc_u32_e32 v81, 1, v78
	s_wait_dscnt 0x0
	v_cmp_lt_i64_e64 s9, v[7:8], v[5:6]
	v_cndmask_b32_e64 v2, v2, v4, s8
	v_cndmask_b32_e64 v1, v1, v3, s8
	;; [unrolled: 1-line block ×4, first 2 shown]
	s_wait_loadcnt 0x0
	s_barrier_signal -1
	s_barrier_wait -1
	v_cmp_ge_i32_e64 s10, v79, v41
	v_cmp_lt_i32_e64 s11, v78, v42
	global_inv scope:SCOPE_SE
	s_or_b32 s8, s10, s9
	s_wait_alu 0xfffe
	s_and_b32 s8, s11, s8
	s_wait_alu 0xfffe
	v_cndmask_b32_e64 v4, v6, v8, s8
	v_cndmask_b32_e64 v3, v5, v7, s8
	v_mov_b32_e32 v5, v58
	ds_store_2addr_b64 v17, v[1:2], v[3:4] offset1:1
	s_wait_loadcnt_dscnt 0x0
	s_barrier_signal -1
	s_barrier_wait -1
	global_inv scope:SCOPE_SE
	s_and_saveexec_b32 s9, s5
	s_cbranch_execz .LBB152_54
; %bb.51:                               ;   in Loop: Header=BB152_2 Depth=1
	v_mov_b32_e32 v5, v58
	v_mov_b32_e32 v1, v59
	s_mov_b32 s10, 0
.LBB152_52:                             ;   Parent Loop BB152_2 Depth=1
                                        ; =>  This Inner Loop Header: Depth=2
	s_delay_alu instid0(VALU_DEP_1) | instskip(NEXT) | instid1(VALU_DEP_1)
	v_sub_nc_u32_e32 v2, v1, v5
	v_lshrrev_b32_e32 v2, 1, v2
	s_delay_alu instid0(VALU_DEP_1) | instskip(NEXT) | instid1(VALU_DEP_1)
	v_add_nc_u32_e32 v4, v2, v5
	v_not_b32_e32 v2, v4
	v_lshl_add_u32 v3, v4, 3, v62
	s_delay_alu instid0(VALU_DEP_2)
	v_lshl_add_u32 v6, v2, 3, v75
	ds_load_b64 v[2:3], v3
	ds_load_b64 v[6:7], v6
	s_wait_dscnt 0x0
	v_cmp_lt_i64_e64 s8, v[6:7], v[2:3]
	v_add_nc_u32_e32 v2, 1, v4
	s_wait_alu 0xf1ff
	s_delay_alu instid0(VALU_DEP_2) | instskip(NEXT) | instid1(VALU_DEP_2)
	v_cndmask_b32_e64 v1, v1, v4, s8
	v_cndmask_b32_e64 v5, v2, v5, s8
	s_delay_alu instid0(VALU_DEP_1) | instskip(SKIP_1) | instid1(SALU_CYCLE_1)
	v_cmp_ge_i32_e64 s8, v5, v1
	s_or_b32 s10, s8, s10
	s_and_not1_b32 exec_lo, exec_lo, s10
	s_cbranch_execnz .LBB152_52
; %bb.53:                               ;   in Loop: Header=BB152_2 Depth=1
	s_or_b32 exec_lo, exec_lo, s10
.LBB152_54:                             ;   in Loop: Header=BB152_2 Depth=1
	s_wait_alu 0xfffe
	s_or_b32 exec_lo, exec_lo, s9
	v_sub_nc_u32_e32 v78, v63, v5
	v_lshl_add_u32 v7, v5, 3, v62
	v_add_nc_u32_e32 v79, v5, v48
                                        ; implicit-def: $vgpr5_vgpr6
	s_delay_alu instid0(VALU_DEP_3) | instskip(SKIP_1) | instid1(VALU_DEP_3)
	v_lshlrev_b32_e32 v80, 3, v78
	v_cmp_gt_i32_e64 s10, v53, v78
	v_cmp_le_i32_e64 s9, v52, v79
	ds_load_b64 v[1:2], v7
	ds_load_b64 v[3:4], v80
	s_wait_dscnt 0x0
	v_cmp_lt_i64_e64 s8, v[3:4], v[1:2]
	s_or_b32 s8, s9, s8
	s_wait_alu 0xfffe
	s_and_b32 s8, s10, s8
	s_wait_alu 0xfffe
	s_xor_b32 s9, s8, -1
	s_wait_alu 0xfffe
	s_and_saveexec_b32 s10, s9
	s_delay_alu instid0(SALU_CYCLE_1)
	s_xor_b32 s9, exec_lo, s10
; %bb.55:                               ;   in Loop: Header=BB152_2 Depth=1
	ds_load_b64 v[5:6], v7 offset:8
                                        ; implicit-def: $vgpr80
; %bb.56:                               ;   in Loop: Header=BB152_2 Depth=1
	s_wait_alu 0xfffe
	s_or_saveexec_b32 s9, s9
	v_dual_mov_b32 v8, v4 :: v_dual_mov_b32 v7, v3
	s_wait_alu 0xfffe
	s_xor_b32 exec_lo, exec_lo, s9
	s_cbranch_execz .LBB152_58
; %bb.57:                               ;   in Loop: Header=BB152_2 Depth=1
	ds_load_b64 v[7:8], v80 offset:8
	s_wait_dscnt 0x1
	v_dual_mov_b32 v6, v2 :: v_dual_mov_b32 v5, v1
.LBB152_58:                             ;   in Loop: Header=BB152_2 Depth=1
	s_or_b32 exec_lo, exec_lo, s9
	v_add_nc_u32_e32 v80, 1, v79
	v_add_nc_u32_e32 v81, 1, v78
	s_wait_dscnt 0x0
	v_cmp_lt_i64_e64 s9, v[7:8], v[5:6]
	v_cndmask_b32_e64 v2, v2, v4, s8
	v_cndmask_b32_e64 v1, v1, v3, s8
	;; [unrolled: 1-line block ×4, first 2 shown]
	s_wait_loadcnt 0x0
	s_barrier_signal -1
	s_barrier_wait -1
	v_cmp_ge_i32_e64 s10, v79, v52
	v_cmp_lt_i32_e64 s11, v78, v53
	global_inv scope:SCOPE_SE
	s_or_b32 s8, s10, s9
	s_wait_alu 0xfffe
	s_and_b32 s8, s11, s8
	s_wait_alu 0xfffe
	v_cndmask_b32_e64 v4, v6, v8, s8
	v_cndmask_b32_e64 v3, v5, v7, s8
	v_mov_b32_e32 v5, v60
	ds_store_2addr_b64 v17, v[1:2], v[3:4] offset1:1
	s_wait_loadcnt_dscnt 0x0
	s_barrier_signal -1
	s_barrier_wait -1
	global_inv scope:SCOPE_SE
	s_and_saveexec_b32 s9, s6
	s_cbranch_execz .LBB152_62
; %bb.59:                               ;   in Loop: Header=BB152_2 Depth=1
	v_mov_b32_e32 v5, v60
	v_mov_b32_e32 v1, v61
	s_mov_b32 s10, 0
.LBB152_60:                             ;   Parent Loop BB152_2 Depth=1
                                        ; =>  This Inner Loop Header: Depth=2
	s_delay_alu instid0(VALU_DEP_1) | instskip(NEXT) | instid1(VALU_DEP_1)
	v_sub_nc_u32_e32 v2, v1, v5
	v_lshrrev_b32_e32 v2, 1, v2
	s_delay_alu instid0(VALU_DEP_1) | instskip(NEXT) | instid1(VALU_DEP_1)
	v_add_nc_u32_e32 v4, v2, v5
	v_not_b32_e32 v2, v4
	v_lshl_add_u32 v3, v4, 3, v64
	s_delay_alu instid0(VALU_DEP_2)
	v_lshl_add_u32 v6, v2, 3, v76
	ds_load_b64 v[2:3], v3
	ds_load_b64 v[6:7], v6
	s_wait_dscnt 0x0
	v_cmp_lt_i64_e64 s8, v[6:7], v[2:3]
	v_add_nc_u32_e32 v2, 1, v4
	s_wait_alu 0xf1ff
	s_delay_alu instid0(VALU_DEP_2) | instskip(NEXT) | instid1(VALU_DEP_2)
	v_cndmask_b32_e64 v1, v1, v4, s8
	v_cndmask_b32_e64 v5, v2, v5, s8
	s_delay_alu instid0(VALU_DEP_1) | instskip(SKIP_1) | instid1(SALU_CYCLE_1)
	v_cmp_ge_i32_e64 s8, v5, v1
	s_or_b32 s10, s8, s10
	s_and_not1_b32 exec_lo, exec_lo, s10
	s_cbranch_execnz .LBB152_60
; %bb.61:                               ;   in Loop: Header=BB152_2 Depth=1
	s_or_b32 exec_lo, exec_lo, s10
.LBB152_62:                             ;   in Loop: Header=BB152_2 Depth=1
	s_wait_alu 0xfffe
	s_or_b32 exec_lo, exec_lo, s9
	v_sub_nc_u32_e32 v78, v67, v5
	v_lshl_add_u32 v7, v5, 3, v64
	v_add_nc_u32_e32 v79, v5, v50
                                        ; implicit-def: $vgpr5_vgpr6
	s_delay_alu instid0(VALU_DEP_3) | instskip(SKIP_1) | instid1(VALU_DEP_3)
	v_lshlrev_b32_e32 v80, 3, v78
	v_cmp_gt_i32_e64 s10, v56, v78
	v_cmp_le_i32_e64 s9, v55, v79
	ds_load_b64 v[1:2], v7
	ds_load_b64 v[3:4], v80
	s_wait_dscnt 0x0
	v_cmp_lt_i64_e64 s8, v[3:4], v[1:2]
	s_or_b32 s8, s9, s8
	s_wait_alu 0xfffe
	s_and_b32 s8, s10, s8
	s_wait_alu 0xfffe
	s_xor_b32 s9, s8, -1
	s_wait_alu 0xfffe
	s_and_saveexec_b32 s10, s9
	s_delay_alu instid0(SALU_CYCLE_1)
	s_xor_b32 s9, exec_lo, s10
; %bb.63:                               ;   in Loop: Header=BB152_2 Depth=1
	ds_load_b64 v[5:6], v7 offset:8
                                        ; implicit-def: $vgpr80
; %bb.64:                               ;   in Loop: Header=BB152_2 Depth=1
	s_wait_alu 0xfffe
	s_or_saveexec_b32 s9, s9
	v_dual_mov_b32 v8, v4 :: v_dual_mov_b32 v7, v3
	s_wait_alu 0xfffe
	s_xor_b32 exec_lo, exec_lo, s9
	s_cbranch_execz .LBB152_66
; %bb.65:                               ;   in Loop: Header=BB152_2 Depth=1
	ds_load_b64 v[7:8], v80 offset:8
	s_wait_dscnt 0x1
	v_dual_mov_b32 v6, v2 :: v_dual_mov_b32 v5, v1
.LBB152_66:                             ;   in Loop: Header=BB152_2 Depth=1
	s_or_b32 exec_lo, exec_lo, s9
	v_add_nc_u32_e32 v80, 1, v79
	v_add_nc_u32_e32 v81, 1, v78
	s_wait_dscnt 0x0
	v_cmp_lt_i64_e64 s9, v[7:8], v[5:6]
	v_cndmask_b32_e64 v2, v2, v4, s8
	v_cndmask_b32_e64 v1, v1, v3, s8
	;; [unrolled: 1-line block ×4, first 2 shown]
	s_wait_loadcnt 0x0
	s_barrier_signal -1
	s_barrier_wait -1
	v_cmp_ge_i32_e64 s10, v79, v55
	v_cmp_lt_i32_e64 s11, v78, v56
	v_mov_b32_e32 v78, v65
	global_inv scope:SCOPE_SE
	s_or_b32 s8, s10, s9
	s_wait_alu 0xfffe
	s_and_b32 s8, s11, s8
	s_wait_alu 0xfffe
	v_cndmask_b32_e64 v4, v6, v8, s8
	v_cndmask_b32_e64 v3, v5, v7, s8
	ds_store_2addr_b64 v17, v[1:2], v[3:4] offset1:1
	s_wait_loadcnt_dscnt 0x0
	s_barrier_signal -1
	s_barrier_wait -1
	global_inv scope:SCOPE_SE
	s_and_saveexec_b32 s9, s7
	s_cbranch_execz .LBB152_70
; %bb.67:                               ;   in Loop: Header=BB152_2 Depth=1
	v_dual_mov_b32 v78, v65 :: v_dual_mov_b32 v1, v66
	s_mov_b32 s10, 0
.LBB152_68:                             ;   Parent Loop BB152_2 Depth=1
                                        ; =>  This Inner Loop Header: Depth=2
	s_delay_alu instid0(VALU_DEP_1) | instskip(NEXT) | instid1(VALU_DEP_1)
	v_sub_nc_u32_e32 v2, v1, v78
	v_lshrrev_b32_e32 v2, 1, v2
	s_delay_alu instid0(VALU_DEP_1) | instskip(NEXT) | instid1(VALU_DEP_1)
	v_add_nc_u32_e32 v6, v2, v78
	v_not_b32_e32 v2, v6
	v_lshlrev_b32_e32 v3, 3, v6
	s_delay_alu instid0(VALU_DEP_2)
	v_lshl_add_u32 v4, v2, 3, v77
	ds_load_b64 v[2:3], v3
	ds_load_b64 v[4:5], v4
	s_wait_dscnt 0x0
	v_cmp_lt_i64_e64 s8, v[4:5], v[2:3]
	v_add_nc_u32_e32 v2, 1, v6
	s_wait_alu 0xf1ff
	s_delay_alu instid0(VALU_DEP_2) | instskip(NEXT) | instid1(VALU_DEP_2)
	v_cndmask_b32_e64 v1, v1, v6, s8
	v_cndmask_b32_e64 v78, v2, v78, s8
	s_delay_alu instid0(VALU_DEP_1) | instskip(SKIP_1) | instid1(SALU_CYCLE_1)
	v_cmp_ge_i32_e64 s8, v78, v1
	s_or_b32 s10, s8, s10
	s_and_not1_b32 exec_lo, exec_lo, s10
	s_cbranch_execnz .LBB152_68
; %bb.69:                               ;   in Loop: Header=BB152_2 Depth=1
	s_or_b32 exec_lo, exec_lo, s10
.LBB152_70:                             ;   in Loop: Header=BB152_2 Depth=1
	s_wait_alu 0xfffe
	s_or_b32 exec_lo, exec_lo, s9
	v_sub_nc_u32_e32 v79, v68, v78
	v_lshlrev_b32_e32 v7, 3, v78
	v_cmp_le_i32_e64 s9, 0x200, v78
                                        ; implicit-def: $vgpr5_vgpr6
	s_delay_alu instid0(VALU_DEP_3)
	v_lshlrev_b32_e32 v80, 3, v79
	v_cmp_gt_i32_e64 s10, 0x400, v79
	ds_load_b64 v[1:2], v7
	ds_load_b64 v[3:4], v80
	s_wait_dscnt 0x0
	v_cmp_lt_i64_e64 s8, v[3:4], v[1:2]
	s_or_b32 s8, s9, s8
	s_wait_alu 0xfffe
	s_and_b32 s8, s10, s8
	s_wait_alu 0xfffe
	s_xor_b32 s9, s8, -1
	s_wait_alu 0xfffe
	s_and_saveexec_b32 s10, s9
	s_delay_alu instid0(SALU_CYCLE_1)
	s_xor_b32 s9, exec_lo, s10
; %bb.71:                               ;   in Loop: Header=BB152_2 Depth=1
	ds_load_b64 v[5:6], v7 offset:8
	v_add_nc_u32_e32 v78, 1, v78
                                        ; implicit-def: $vgpr80
; %bb.72:                               ;   in Loop: Header=BB152_2 Depth=1
	s_wait_alu 0xfffe
	s_or_saveexec_b32 s9, s9
	v_dual_mov_b32 v8, v4 :: v_dual_mov_b32 v7, v3
	s_wait_alu 0xfffe
	s_xor_b32 exec_lo, exec_lo, s9
	s_cbranch_execz .LBB152_1
; %bb.73:                               ;   in Loop: Header=BB152_2 Depth=1
	ds_load_b64 v[7:8], v80 offset:8
	s_wait_dscnt 0x1
	v_dual_mov_b32 v6, v2 :: v_dual_add_nc_u32 v79, 1, v79
	v_mov_b32_e32 v5, v1
	s_branch .LBB152_1
.LBB152_74:
	v_lshlrev_b32_e32 v0, 3, v0
	s_add_nc_u64 s[0:1], s[14:15], s[18:19]
	s_clause 0x1
	global_store_b64 v0, v[1:2], s[0:1]
	global_store_b64 v0, v[3:4], s[0:1] offset:4096
	s_endpgm
	.section	.rodata,"a",@progbits
	.p2align	6, 0x0
	.amdhsa_kernel _Z16sort_keys_kernelIxLj512ELj2EN10test_utils4lessELj10EEvPKT_PS2_T2_
		.amdhsa_group_segment_fixed_size 8200
		.amdhsa_private_segment_fixed_size 0
		.amdhsa_kernarg_size 20
		.amdhsa_user_sgpr_count 2
		.amdhsa_user_sgpr_dispatch_ptr 0
		.amdhsa_user_sgpr_queue_ptr 0
		.amdhsa_user_sgpr_kernarg_segment_ptr 1
		.amdhsa_user_sgpr_dispatch_id 0
		.amdhsa_user_sgpr_private_segment_size 0
		.amdhsa_wavefront_size32 1
		.amdhsa_uses_dynamic_stack 0
		.amdhsa_enable_private_segment 0
		.amdhsa_system_sgpr_workgroup_id_x 1
		.amdhsa_system_sgpr_workgroup_id_y 0
		.amdhsa_system_sgpr_workgroup_id_z 0
		.amdhsa_system_sgpr_workgroup_info 0
		.amdhsa_system_vgpr_workitem_id 0
		.amdhsa_next_free_vgpr 82
		.amdhsa_next_free_sgpr 20
		.amdhsa_reserve_vcc 1
		.amdhsa_float_round_mode_32 0
		.amdhsa_float_round_mode_16_64 0
		.amdhsa_float_denorm_mode_32 3
		.amdhsa_float_denorm_mode_16_64 3
		.amdhsa_fp16_overflow 0
		.amdhsa_workgroup_processor_mode 1
		.amdhsa_memory_ordered 1
		.amdhsa_forward_progress 1
		.amdhsa_inst_pref_size 41
		.amdhsa_round_robin_scheduling 0
		.amdhsa_exception_fp_ieee_invalid_op 0
		.amdhsa_exception_fp_denorm_src 0
		.amdhsa_exception_fp_ieee_div_zero 0
		.amdhsa_exception_fp_ieee_overflow 0
		.amdhsa_exception_fp_ieee_underflow 0
		.amdhsa_exception_fp_ieee_inexact 0
		.amdhsa_exception_int_div_zero 0
	.end_amdhsa_kernel
	.section	.text._Z16sort_keys_kernelIxLj512ELj2EN10test_utils4lessELj10EEvPKT_PS2_T2_,"axG",@progbits,_Z16sort_keys_kernelIxLj512ELj2EN10test_utils4lessELj10EEvPKT_PS2_T2_,comdat
.Lfunc_end152:
	.size	_Z16sort_keys_kernelIxLj512ELj2EN10test_utils4lessELj10EEvPKT_PS2_T2_, .Lfunc_end152-_Z16sort_keys_kernelIxLj512ELj2EN10test_utils4lessELj10EEvPKT_PS2_T2_
                                        ; -- End function
	.set _Z16sort_keys_kernelIxLj512ELj2EN10test_utils4lessELj10EEvPKT_PS2_T2_.num_vgpr, 82
	.set _Z16sort_keys_kernelIxLj512ELj2EN10test_utils4lessELj10EEvPKT_PS2_T2_.num_agpr, 0
	.set _Z16sort_keys_kernelIxLj512ELj2EN10test_utils4lessELj10EEvPKT_PS2_T2_.numbered_sgpr, 20
	.set _Z16sort_keys_kernelIxLj512ELj2EN10test_utils4lessELj10EEvPKT_PS2_T2_.num_named_barrier, 0
	.set _Z16sort_keys_kernelIxLj512ELj2EN10test_utils4lessELj10EEvPKT_PS2_T2_.private_seg_size, 0
	.set _Z16sort_keys_kernelIxLj512ELj2EN10test_utils4lessELj10EEvPKT_PS2_T2_.uses_vcc, 1
	.set _Z16sort_keys_kernelIxLj512ELj2EN10test_utils4lessELj10EEvPKT_PS2_T2_.uses_flat_scratch, 0
	.set _Z16sort_keys_kernelIxLj512ELj2EN10test_utils4lessELj10EEvPKT_PS2_T2_.has_dyn_sized_stack, 0
	.set _Z16sort_keys_kernelIxLj512ELj2EN10test_utils4lessELj10EEvPKT_PS2_T2_.has_recursion, 0
	.set _Z16sort_keys_kernelIxLj512ELj2EN10test_utils4lessELj10EEvPKT_PS2_T2_.has_indirect_call, 0
	.section	.AMDGPU.csdata,"",@progbits
; Kernel info:
; codeLenInByte = 5204
; TotalNumSgprs: 22
; NumVgprs: 82
; ScratchSize: 0
; MemoryBound: 0
; FloatMode: 240
; IeeeMode: 1
; LDSByteSize: 8200 bytes/workgroup (compile time only)
; SGPRBlocks: 0
; VGPRBlocks: 10
; NumSGPRsForWavesPerEU: 22
; NumVGPRsForWavesPerEU: 82
; Occupancy: 16
; WaveLimiterHint : 1
; COMPUTE_PGM_RSRC2:SCRATCH_EN: 0
; COMPUTE_PGM_RSRC2:USER_SGPR: 2
; COMPUTE_PGM_RSRC2:TRAP_HANDLER: 0
; COMPUTE_PGM_RSRC2:TGID_X_EN: 1
; COMPUTE_PGM_RSRC2:TGID_Y_EN: 0
; COMPUTE_PGM_RSRC2:TGID_Z_EN: 0
; COMPUTE_PGM_RSRC2:TIDIG_COMP_CNT: 0
	.section	.text._Z17sort_pairs_kernelIxLj512ELj2EN10test_utils4lessELj10EEvPKT_PS2_T2_,"axG",@progbits,_Z17sort_pairs_kernelIxLj512ELj2EN10test_utils4lessELj10EEvPKT_PS2_T2_,comdat
	.protected	_Z17sort_pairs_kernelIxLj512ELj2EN10test_utils4lessELj10EEvPKT_PS2_T2_ ; -- Begin function _Z17sort_pairs_kernelIxLj512ELj2EN10test_utils4lessELj10EEvPKT_PS2_T2_
	.globl	_Z17sort_pairs_kernelIxLj512ELj2EN10test_utils4lessELj10EEvPKT_PS2_T2_
	.p2align	8
	.type	_Z17sort_pairs_kernelIxLj512ELj2EN10test_utils4lessELj10EEvPKT_PS2_T2_,@function
_Z17sort_pairs_kernelIxLj512ELj2EN10test_utils4lessELj10EEvPKT_PS2_T2_: ; @_Z17sort_pairs_kernelIxLj512ELj2EN10test_utils4lessELj10EEvPKT_PS2_T2_
; %bb.0:
	s_load_b128 s[12:15], s[0:1], 0x0
	s_lshl_b32 s18, ttmp9, 10
	s_mov_b32 s19, 0
	v_lshlrev_b32_e32 v1, 3, v0
	s_lshl_b64 s[16:17], s[18:19], 3
	v_lshlrev_b32_e32 v5, 1, v0
	v_lshlrev_b32_e32 v17, 4, v0
	s_delay_alu instid0(VALU_DEP_2)
	v_and_b32_e32 v18, 0x3fc, v5
	v_and_b32_e32 v6, 2, v5
	;; [unrolled: 1-line block ×5, first 2 shown]
	v_or_b32_e32 v29, 2, v18
	v_add_nc_u32_e32 v30, 4, v18
	v_and_b32_e32 v8, 14, v5
	v_and_b32_e32 v21, 0x3e0, v5
	;; [unrolled: 1-line block ×3, first 2 shown]
	s_wait_kmcnt 0x0
	s_add_nc_u64 s[0:1], s[12:13], s[16:17]
	v_and_b32_e32 v22, 0x3c0, v5
	s_clause 0x1
	global_load_b64 v[3:4], v1, s[0:1]
	global_load_b64 v[1:2], v1, s[0:1] offset:4096
	v_and_b32_e32 v10, 62, v5
	v_and_b32_e32 v23, 0x380, v5
	;; [unrolled: 1-line block ×7, first 2 shown]
	v_subrev_nc_u32_e64 v26, 0x200, v5 clamp
	v_min_i32_e32 v27, 0x200, v5
	v_add_nc_u32_e32 v28, 0x200, v5
	v_or_b32_e32 v32, 4, v19
	v_add_nc_u32_e32 v33, 8, v19
	v_lshlrev_b32_e32 v5, 3, v6
	v_sub_nc_u32_e32 v77, v30, v29
	v_or_b32_e32 v35, 8, v20
	v_add_nc_u32_e32 v36, 16, v20
	v_lshlrev_b32_e32 v14, 3, v7
	v_sub_nc_u32_e32 v78, v33, v32
	v_lshl_add_u32 v61, v29, 3, v5
	v_sub_nc_u32_e32 v5, v6, v77
	v_cmp_ge_i32_e64 s0, v6, v77
	v_or_b32_e32 v38, 16, v21
	v_add_nc_u32_e32 v39, 32, v21
	v_lshlrev_b32_e32 v15, 3, v8
	v_sub_nc_u32_e32 v79, v36, v35
	v_lshl_add_u32 v62, v32, 3, v14
	v_sub_nc_u32_e32 v14, v7, v78
	v_cndmask_b32_e64 v77, 0, v5, s0
	v_cmp_ge_i32_e64 s0, v7, v78
	v_or_b32_e32 v41, 32, v22
	v_add_nc_u32_e32 v42, 64, v22
	v_lshlrev_b32_e32 v16, 3, v9
	v_sub_nc_u32_e32 v80, v39, v38
	v_lshl_add_u32 v63, v35, 3, v15
	v_sub_nc_u32_e32 v15, v8, v79
	s_wait_alu 0xf1ff
	v_cndmask_b32_e64 v78, 0, v14, s0
	v_cmp_ge_i32_e64 s0, v8, v79
	v_or_b32_e32 v44, 64, v23
	v_add_nc_u32_e32 v45, 0x80, v23
	v_sub_nc_u32_e32 v81, v42, v41
	v_lshl_add_u32 v64, v38, 3, v16
	v_sub_nc_u32_e32 v16, v9, v80
	s_wait_alu 0xf1ff
	v_cndmask_b32_e64 v79, 0, v15, s0
	v_cmp_ge_i32_e64 s0, v9, v80
	v_or_b32_e32 v47, 0x80, v24
	v_add_nc_u32_e32 v48, 0x100, v24
	v_sub_nc_u32_e32 v82, v45, v44
	v_sub_nc_u32_e32 v85, v10, v81
	s_wait_alu 0xf1ff
	v_cndmask_b32_e64 v80, 0, v16, s0
	v_cmp_ge_i32_e64 s0, v10, v81
	v_or_b32_e32 v50, 0x100, v25
	v_add_nc_u32_e32 v51, 0x200, v25
	v_sub_nc_u32_e32 v83, v48, v47
	v_sub_nc_u32_e32 v86, v11, v82
	s_wait_alu 0xf1ff
	v_cndmask_b32_e64 v81, 0, v85, s0
	v_cmp_ge_i32_e64 s0, v11, v82
	v_sub_nc_u32_e32 v84, v51, v50
	v_sub_nc_u32_e32 v87, v12, v83
	;; [unrolled: 1-line block ×4, first 2 shown]
	s_wait_alu 0xf1ff
	v_cndmask_b32_e64 v82, 0, v86, s0
	v_cmp_ge_i32_e64 s0, v12, v83
	v_sub_nc_u32_e32 v71, v35, v20
	v_sub_nc_u32_e32 v72, v38, v21
	;; [unrolled: 1-line block ×7, first 2 shown]
	s_wait_alu 0xf1ff
	v_cndmask_b32_e64 v83, 0, v87, s0
	v_cmp_ge_i32_e64 s0, v13, v84
	v_lshlrev_b32_e32 v65, 3, v10
	v_lshlrev_b32_e32 v66, 3, v11
	;; [unrolled: 1-line block ×4, first 2 shown]
	v_min_i32_e32 v69, v6, v69
	v_min_i32_e32 v70, v7, v70
	;; [unrolled: 1-line block ×8, first 2 shown]
	s_wait_alu 0xf1ff
	v_cndmask_b32_e64 v84, 0, v88, s0
	v_add_nc_u32_e32 v54, v32, v7
	v_add_nc_u32_e32 v55, v35, v8
	v_lshlrev_b32_e32 v31, 3, v18
	v_lshlrev_b32_e32 v34, 3, v19
	;; [unrolled: 1-line block ×8, first 2 shown]
	v_add_nc_u32_e32 v53, v29, v6
	v_add_nc_u32_e32 v56, v38, v9
	v_add_nc_u32_e32 v57, v41, v10
	v_add_nc_u32_e32 v58, v44, v11
	v_add_nc_u32_e32 v59, v47, v12
	v_add_nc_u32_e32 v60, v50, v13
	v_lshl_add_u32 v65, v41, 3, v65
	v_lshl_add_u32 v66, v44, 3, v66
	;; [unrolled: 1-line block ×4, first 2 shown]
	v_cmp_lt_i32_e64 s0, v77, v69
	v_cmp_lt_i32_e64 s1, v78, v70
	;; [unrolled: 1-line block ×8, first 2 shown]
	v_add_nc_u32_e32 v85, 0x1000, v17
	v_cmp_lt_i32_e32 vcc_lo, v26, v27
	s_wait_loadcnt 0x1
	v_add_co_u32 v7, s8, v3, 1
	s_delay_alu instid0(VALU_DEP_1)
	v_add_co_ci_u32_e64 v8, null, 0, v4, s8
	s_wait_loadcnt 0x0
	v_add_co_u32 v5, s8, v1, 1
	s_wait_alu 0xf1ff
	v_add_co_ci_u32_e64 v6, null, 0, v2, s8
	s_branch .LBB153_2
.LBB153_1:                              ;   in Loop: Header=BB153_2 Depth=1
	s_or_b32 exec_lo, exec_lo, s9
	s_wait_dscnt 0x0
	s_delay_alu instid0(VALU_DEP_1)
	v_cmp_lt_i64_e64 s9, v[13:14], v[1:2]
	v_cmp_le_i32_e64 s10, 0x200, v15
	v_cmp_gt_i32_e64 s11, 0x400, v8
	s_wait_loadcnt 0x0
	s_barrier_signal -1
	s_barrier_wait -1
	s_or_b32 s9, s10, s9
	global_inv scope:SCOPE_SE
	s_wait_alu 0xfffe
	s_and_b32 s9, s11, s9
	ds_store_2addr_b64 v17, v[3:4], v[5:6] offset1:1
	s_wait_alu 0xfffe
	v_cndmask_b32_e64 v7, v15, v8, s9
	v_lshlrev_b32_e32 v3, 3, v16
	s_wait_loadcnt_dscnt 0x0
	s_barrier_signal -1
	s_barrier_wait -1
	v_lshlrev_b32_e32 v4, 3, v7
	global_inv scope:SCOPE_SE
	v_cndmask_b32_e64 v2, v2, v14, s9
	v_cndmask_b32_e64 v1, v1, v13, s9
	ds_load_b64 v[7:8], v3
	ds_load_b64 v[5:6], v4
	v_cndmask_b32_e64 v4, v10, v12, s8
	v_cndmask_b32_e64 v3, v9, v11, s8
	s_add_co_i32 s19, s19, 1
	s_delay_alu instid0(SALU_CYCLE_1)
	s_cmp_eq_u32 s19, 10
	s_cbranch_scc1 .LBB153_74
.LBB153_2:                              ; =>This Loop Header: Depth=1
                                        ;     Child Loop BB153_4 Depth 2
                                        ;     Child Loop BB153_12 Depth 2
	;; [unrolled: 1-line block ×9, first 2 shown]
	s_delay_alu instid0(VALU_DEP_1)
	v_cmp_lt_i64_e64 s8, v[1:2], v[3:4]
	s_barrier_signal -1
	s_barrier_wait -1
	global_inv scope:SCOPE_SE
	s_wait_alu 0xf1ff
	v_cndmask_b32_e64 v10, v2, v4, s8
	v_cndmask_b32_e64 v9, v1, v3, s8
	v_cndmask_b32_e64 v4, v4, v2, s8
	v_cndmask_b32_e64 v3, v3, v1, s8
	v_mov_b32_e32 v2, v77
	ds_store_2addr_b64 v17, v[3:4], v[9:10] offset1:1
	s_wait_loadcnt_dscnt 0x0
	s_barrier_signal -1
	s_barrier_wait -1
	global_inv scope:SCOPE_SE
	s_and_saveexec_b32 s10, s0
	s_cbranch_execz .LBB153_6
; %bb.3:                                ;   in Loop: Header=BB153_2 Depth=1
	v_dual_mov_b32 v2, v77 :: v_dual_mov_b32 v1, v69
	s_mov_b32 s11, 0
.LBB153_4:                              ;   Parent Loop BB153_2 Depth=1
                                        ; =>  This Inner Loop Header: Depth=2
	s_delay_alu instid0(VALU_DEP_1) | instskip(NEXT) | instid1(VALU_DEP_1)
	v_sub_nc_u32_e32 v3, v1, v2
	v_lshrrev_b32_e32 v3, 1, v3
	s_delay_alu instid0(VALU_DEP_1) | instskip(NEXT) | instid1(VALU_DEP_1)
	v_add_nc_u32_e32 v11, v3, v2
	v_not_b32_e32 v3, v11
	v_lshl_add_u32 v4, v11, 3, v31
	s_delay_alu instid0(VALU_DEP_2)
	v_lshl_add_u32 v9, v3, 3, v61
	ds_load_b64 v[3:4], v4
	ds_load_b64 v[9:10], v9
	s_wait_dscnt 0x0
	v_cmp_lt_i64_e64 s9, v[9:10], v[3:4]
	v_add_nc_u32_e32 v3, 1, v11
	s_wait_alu 0xf1ff
	s_delay_alu instid0(VALU_DEP_2) | instskip(NEXT) | instid1(VALU_DEP_2)
	v_cndmask_b32_e64 v1, v1, v11, s9
	v_cndmask_b32_e64 v2, v3, v2, s9
	s_delay_alu instid0(VALU_DEP_1) | instskip(SKIP_1) | instid1(SALU_CYCLE_1)
	v_cmp_ge_i32_e64 s9, v2, v1
	s_or_b32 s11, s9, s11
	s_and_not1_b32 exec_lo, exec_lo, s11
	s_cbranch_execnz .LBB153_4
; %bb.5:                                ;   in Loop: Header=BB153_2 Depth=1
	s_or_b32 exec_lo, exec_lo, s11
.LBB153_6:                              ;   in Loop: Header=BB153_2 Depth=1
	s_delay_alu instid0(SALU_CYCLE_1) | instskip(SKIP_3) | instid1(VALU_DEP_3)
	s_or_b32 exec_lo, exec_lo, s10
	v_sub_nc_u32_e32 v1, v53, v2
	v_lshl_add_u32 v4, v2, 3, v31
	v_add_nc_u32_e32 v2, v2, v18
                                        ; implicit-def: $vgpr13_vgpr14
	v_lshlrev_b32_e32 v3, 3, v1
	v_cmp_gt_i32_e64 s11, v30, v1
	s_delay_alu instid0(VALU_DEP_3)
	v_cmp_le_i32_e64 s10, v29, v2
	ds_load_b64 v[9:10], v4
	ds_load_b64 v[11:12], v3
	s_wait_dscnt 0x0
	v_cmp_lt_i64_e64 s9, v[11:12], v[9:10]
	s_or_b32 s9, s10, s9
	s_wait_alu 0xfffe
	s_and_b32 s9, s11, s9
	s_wait_alu 0xfffe
	s_xor_b32 s10, s9, -1
	s_delay_alu instid0(SALU_CYCLE_1) | instskip(NEXT) | instid1(SALU_CYCLE_1)
	s_and_saveexec_b32 s11, s10
	s_xor_b32 s10, exec_lo, s11
; %bb.7:                                ;   in Loop: Header=BB153_2 Depth=1
	ds_load_b64 v[13:14], v4 offset:8
                                        ; implicit-def: $vgpr3
; %bb.8:                                ;   in Loop: Header=BB153_2 Depth=1
	s_or_saveexec_b32 s10, s10
	v_dual_mov_b32 v16, v12 :: v_dual_mov_b32 v15, v11
	s_xor_b32 exec_lo, exec_lo, s10
	s_cbranch_execz .LBB153_10
; %bb.9:                                ;   in Loop: Header=BB153_2 Depth=1
	ds_load_b64 v[15:16], v3 offset:8
	s_wait_dscnt 0x1
	v_dual_mov_b32 v14, v10 :: v_dual_mov_b32 v13, v9
.LBB153_10:                             ;   in Loop: Header=BB153_2 Depth=1
	s_or_b32 exec_lo, exec_lo, s10
	v_add_nc_u32_e32 v3, 1, v2
	v_add_nc_u32_e32 v4, 1, v1
	s_wait_dscnt 0x0
	v_cmp_lt_i64_e64 s10, v[15:16], v[13:14]
	v_cndmask_b32_e64 v86, v2, v1, s9
	s_wait_loadcnt 0x0
	v_cndmask_b32_e64 v87, v3, v2, s9
	v_cndmask_b32_e64 v88, v1, v4, s9
	v_cndmask_b32_e64 v2, v6, v8, s8
	v_cndmask_b32_e64 v1, v5, v7, s8
	v_cndmask_b32_e64 v4, v8, v6, s8
	v_cmp_ge_i32_e64 s11, v87, v29
	v_cmp_lt_i32_e64 s12, v88, v30
	v_cndmask_b32_e64 v3, v7, v5, s8
	s_barrier_signal -1
	s_barrier_wait -1
	s_or_b32 s8, s11, s10
	global_inv scope:SCOPE_SE
	s_wait_alu 0xfffe
	s_and_b32 s8, s12, s8
	ds_store_2addr_b64 v17, v[3:4], v[1:2] offset1:1
	s_wait_alu 0xfffe
	v_cndmask_b32_e64 v5, v87, v88, s8
	v_lshlrev_b32_e32 v1, 3, v86
	s_wait_loadcnt_dscnt 0x0
	s_barrier_signal -1
	s_barrier_wait -1
	v_lshlrev_b32_e32 v3, 3, v5
	global_inv scope:SCOPE_SE
	v_cndmask_b32_e64 v6, v14, v16, s8
	v_cndmask_b32_e64 v8, v10, v12, s9
	ds_load_b64 v[1:2], v1
	ds_load_b64 v[3:4], v3
	v_cndmask_b32_e64 v7, v9, v11, s9
	v_cndmask_b32_e64 v5, v13, v15, s8
	v_mov_b32_e32 v9, v78
	s_wait_loadcnt_dscnt 0x0
	s_barrier_signal -1
	s_barrier_wait -1
	global_inv scope:SCOPE_SE
	ds_store_2addr_b64 v17, v[7:8], v[5:6] offset1:1
	s_wait_loadcnt_dscnt 0x0
	s_barrier_signal -1
	s_barrier_wait -1
	global_inv scope:SCOPE_SE
	s_and_saveexec_b32 s9, s1
	s_cbranch_execz .LBB153_14
; %bb.11:                               ;   in Loop: Header=BB153_2 Depth=1
	v_mov_b32_e32 v9, v78
	v_mov_b32_e32 v5, v70
	s_mov_b32 s10, 0
.LBB153_12:                             ;   Parent Loop BB153_2 Depth=1
                                        ; =>  This Inner Loop Header: Depth=2
	s_delay_alu instid0(VALU_DEP_1) | instskip(NEXT) | instid1(VALU_DEP_1)
	v_sub_nc_u32_e32 v6, v5, v9
	v_lshrrev_b32_e32 v6, 1, v6
	s_delay_alu instid0(VALU_DEP_1) | instskip(NEXT) | instid1(VALU_DEP_1)
	v_add_nc_u32_e32 v8, v6, v9
	v_not_b32_e32 v6, v8
	v_lshl_add_u32 v7, v8, 3, v34
	s_delay_alu instid0(VALU_DEP_2)
	v_lshl_add_u32 v10, v6, 3, v62
	ds_load_b64 v[6:7], v7
	ds_load_b64 v[10:11], v10
	s_wait_dscnt 0x0
	v_cmp_lt_i64_e64 s8, v[10:11], v[6:7]
	v_add_nc_u32_e32 v6, 1, v8
	s_wait_alu 0xf1ff
	s_delay_alu instid0(VALU_DEP_2) | instskip(NEXT) | instid1(VALU_DEP_2)
	v_cndmask_b32_e64 v5, v5, v8, s8
	v_cndmask_b32_e64 v9, v6, v9, s8
	s_delay_alu instid0(VALU_DEP_1) | instskip(SKIP_1) | instid1(SALU_CYCLE_1)
	v_cmp_ge_i32_e64 s8, v9, v5
	s_or_b32 s10, s8, s10
	s_and_not1_b32 exec_lo, exec_lo, s10
	s_cbranch_execnz .LBB153_12
; %bb.13:                               ;   in Loop: Header=BB153_2 Depth=1
	s_or_b32 exec_lo, exec_lo, s10
.LBB153_14:                             ;   in Loop: Header=BB153_2 Depth=1
	s_wait_alu 0xfffe
	s_or_b32 exec_lo, exec_lo, s9
	v_sub_nc_u32_e32 v13, v54, v9
	v_lshl_add_u32 v11, v9, 3, v34
	v_add_nc_u32_e32 v14, v9, v19
                                        ; implicit-def: $vgpr9_vgpr10
	s_delay_alu instid0(VALU_DEP_3) | instskip(SKIP_1) | instid1(VALU_DEP_3)
	v_lshlrev_b32_e32 v15, 3, v13
	v_cmp_gt_i32_e64 s10, v33, v13
	v_cmp_le_i32_e64 s9, v32, v14
	ds_load_b64 v[5:6], v11
	ds_load_b64 v[7:8], v15
	s_wait_dscnt 0x0
	v_cmp_lt_i64_e64 s8, v[7:8], v[5:6]
	s_or_b32 s8, s9, s8
	s_wait_alu 0xfffe
	s_and_b32 s8, s10, s8
	s_wait_alu 0xfffe
	s_xor_b32 s9, s8, -1
	s_wait_alu 0xfffe
	s_and_saveexec_b32 s10, s9
	s_delay_alu instid0(SALU_CYCLE_1)
	s_xor_b32 s9, exec_lo, s10
; %bb.15:                               ;   in Loop: Header=BB153_2 Depth=1
	ds_load_b64 v[9:10], v11 offset:8
                                        ; implicit-def: $vgpr15
; %bb.16:                               ;   in Loop: Header=BB153_2 Depth=1
	s_wait_alu 0xfffe
	s_or_saveexec_b32 s9, s9
	v_dual_mov_b32 v12, v8 :: v_dual_mov_b32 v11, v7
	s_wait_alu 0xfffe
	s_xor_b32 exec_lo, exec_lo, s9
	s_cbranch_execz .LBB153_18
; %bb.17:                               ;   in Loop: Header=BB153_2 Depth=1
	ds_load_b64 v[11:12], v15 offset:8
	s_wait_dscnt 0x1
	v_dual_mov_b32 v10, v6 :: v_dual_mov_b32 v9, v5
.LBB153_18:                             ;   in Loop: Header=BB153_2 Depth=1
	s_or_b32 exec_lo, exec_lo, s9
	v_add_nc_u32_e32 v15, 1, v14
	v_add_nc_u32_e32 v16, 1, v13
	s_wait_dscnt 0x0
	v_cmp_lt_i64_e64 s9, v[11:12], v[9:10]
	s_wait_loadcnt 0x0
	s_barrier_signal -1
	v_cndmask_b32_e64 v15, v15, v14, s8
	v_cndmask_b32_e64 v16, v13, v16, s8
	;; [unrolled: 1-line block ×3, first 2 shown]
	s_barrier_wait -1
	global_inv scope:SCOPE_SE
	v_cmp_ge_i32_e64 s10, v15, v32
	v_cmp_lt_i32_e64 s11, v16, v33
	ds_store_2addr_b64 v17, v[1:2], v[3:4] offset1:1
	v_lshlrev_b32_e32 v1, 3, v13
	s_wait_loadcnt_dscnt 0x0
	s_or_b32 s9, s10, s9
	s_barrier_signal -1
	s_wait_alu 0xfffe
	s_and_b32 s9, s11, s9
	s_barrier_wait -1
	s_wait_alu 0xfffe
	v_cndmask_b32_e64 v10, v10, v12, s9
	v_cndmask_b32_e64 v12, v15, v16, s9
	global_inv scope:SCOPE_SE
	v_cndmask_b32_e64 v6, v6, v8, s8
	v_cndmask_b32_e64 v5, v5, v7, s8
	;; [unrolled: 1-line block ×3, first 2 shown]
	v_lshlrev_b32_e32 v3, 3, v12
	ds_load_b64 v[1:2], v1
	ds_load_b64 v[3:4], v3
	s_wait_loadcnt_dscnt 0x0
	s_barrier_signal -1
	s_barrier_wait -1
	global_inv scope:SCOPE_SE
	ds_store_2addr_b64 v17, v[5:6], v[9:10] offset1:1
	v_mov_b32_e32 v9, v79
	s_wait_loadcnt_dscnt 0x0
	s_barrier_signal -1
	s_barrier_wait -1
	global_inv scope:SCOPE_SE
	s_and_saveexec_b32 s9, s2
	s_cbranch_execz .LBB153_22
; %bb.19:                               ;   in Loop: Header=BB153_2 Depth=1
	v_mov_b32_e32 v9, v79
	v_mov_b32_e32 v5, v71
	s_mov_b32 s10, 0
.LBB153_20:                             ;   Parent Loop BB153_2 Depth=1
                                        ; =>  This Inner Loop Header: Depth=2
	s_delay_alu instid0(VALU_DEP_1) | instskip(NEXT) | instid1(VALU_DEP_1)
	v_sub_nc_u32_e32 v6, v5, v9
	v_lshrrev_b32_e32 v6, 1, v6
	s_delay_alu instid0(VALU_DEP_1) | instskip(NEXT) | instid1(VALU_DEP_1)
	v_add_nc_u32_e32 v8, v6, v9
	v_not_b32_e32 v6, v8
	v_lshl_add_u32 v7, v8, 3, v37
	s_delay_alu instid0(VALU_DEP_2)
	v_lshl_add_u32 v10, v6, 3, v63
	ds_load_b64 v[6:7], v7
	ds_load_b64 v[10:11], v10
	s_wait_dscnt 0x0
	v_cmp_lt_i64_e64 s8, v[10:11], v[6:7]
	v_add_nc_u32_e32 v6, 1, v8
	s_wait_alu 0xf1ff
	s_delay_alu instid0(VALU_DEP_2) | instskip(NEXT) | instid1(VALU_DEP_2)
	v_cndmask_b32_e64 v5, v5, v8, s8
	v_cndmask_b32_e64 v9, v6, v9, s8
	s_delay_alu instid0(VALU_DEP_1) | instskip(SKIP_1) | instid1(SALU_CYCLE_1)
	v_cmp_ge_i32_e64 s8, v9, v5
	s_or_b32 s10, s8, s10
	s_and_not1_b32 exec_lo, exec_lo, s10
	s_cbranch_execnz .LBB153_20
; %bb.21:                               ;   in Loop: Header=BB153_2 Depth=1
	s_or_b32 exec_lo, exec_lo, s10
.LBB153_22:                             ;   in Loop: Header=BB153_2 Depth=1
	s_wait_alu 0xfffe
	s_or_b32 exec_lo, exec_lo, s9
	v_sub_nc_u32_e32 v13, v55, v9
	v_lshl_add_u32 v11, v9, 3, v37
	v_add_nc_u32_e32 v14, v9, v20
                                        ; implicit-def: $vgpr9_vgpr10
	s_delay_alu instid0(VALU_DEP_3) | instskip(SKIP_1) | instid1(VALU_DEP_3)
	v_lshlrev_b32_e32 v15, 3, v13
	v_cmp_gt_i32_e64 s10, v36, v13
	v_cmp_le_i32_e64 s9, v35, v14
	ds_load_b64 v[5:6], v11
	ds_load_b64 v[7:8], v15
	s_wait_dscnt 0x0
	v_cmp_lt_i64_e64 s8, v[7:8], v[5:6]
	s_or_b32 s8, s9, s8
	s_wait_alu 0xfffe
	s_and_b32 s8, s10, s8
	s_wait_alu 0xfffe
	s_xor_b32 s9, s8, -1
	s_wait_alu 0xfffe
	s_and_saveexec_b32 s10, s9
	s_delay_alu instid0(SALU_CYCLE_1)
	s_xor_b32 s9, exec_lo, s10
; %bb.23:                               ;   in Loop: Header=BB153_2 Depth=1
	ds_load_b64 v[9:10], v11 offset:8
                                        ; implicit-def: $vgpr15
; %bb.24:                               ;   in Loop: Header=BB153_2 Depth=1
	s_wait_alu 0xfffe
	s_or_saveexec_b32 s9, s9
	v_dual_mov_b32 v12, v8 :: v_dual_mov_b32 v11, v7
	s_wait_alu 0xfffe
	s_xor_b32 exec_lo, exec_lo, s9
	s_cbranch_execz .LBB153_26
; %bb.25:                               ;   in Loop: Header=BB153_2 Depth=1
	ds_load_b64 v[11:12], v15 offset:8
	s_wait_dscnt 0x1
	v_dual_mov_b32 v10, v6 :: v_dual_mov_b32 v9, v5
.LBB153_26:                             ;   in Loop: Header=BB153_2 Depth=1
	s_or_b32 exec_lo, exec_lo, s9
	v_add_nc_u32_e32 v15, 1, v14
	v_add_nc_u32_e32 v16, 1, v13
	s_wait_dscnt 0x0
	v_cmp_lt_i64_e64 s9, v[11:12], v[9:10]
	s_wait_loadcnt 0x0
	s_barrier_signal -1
	v_cndmask_b32_e64 v15, v15, v14, s8
	v_cndmask_b32_e64 v16, v13, v16, s8
	;; [unrolled: 1-line block ×3, first 2 shown]
	s_barrier_wait -1
	global_inv scope:SCOPE_SE
	v_cmp_ge_i32_e64 s10, v15, v35
	v_cmp_lt_i32_e64 s11, v16, v36
	ds_store_2addr_b64 v17, v[1:2], v[3:4] offset1:1
	v_lshlrev_b32_e32 v1, 3, v13
	s_wait_loadcnt_dscnt 0x0
	s_or_b32 s9, s10, s9
	s_barrier_signal -1
	s_wait_alu 0xfffe
	s_and_b32 s9, s11, s9
	s_barrier_wait -1
	s_wait_alu 0xfffe
	v_cndmask_b32_e64 v10, v10, v12, s9
	v_cndmask_b32_e64 v12, v15, v16, s9
	global_inv scope:SCOPE_SE
	v_cndmask_b32_e64 v6, v6, v8, s8
	v_cndmask_b32_e64 v5, v5, v7, s8
	;; [unrolled: 1-line block ×3, first 2 shown]
	v_lshlrev_b32_e32 v3, 3, v12
	ds_load_b64 v[1:2], v1
	ds_load_b64 v[3:4], v3
	s_wait_loadcnt_dscnt 0x0
	s_barrier_signal -1
	s_barrier_wait -1
	global_inv scope:SCOPE_SE
	ds_store_2addr_b64 v17, v[5:6], v[9:10] offset1:1
	v_mov_b32_e32 v9, v80
	s_wait_loadcnt_dscnt 0x0
	s_barrier_signal -1
	s_barrier_wait -1
	global_inv scope:SCOPE_SE
	s_and_saveexec_b32 s9, s3
	s_cbranch_execz .LBB153_30
; %bb.27:                               ;   in Loop: Header=BB153_2 Depth=1
	v_mov_b32_e32 v9, v80
	v_mov_b32_e32 v5, v72
	s_mov_b32 s10, 0
.LBB153_28:                             ;   Parent Loop BB153_2 Depth=1
                                        ; =>  This Inner Loop Header: Depth=2
	s_delay_alu instid0(VALU_DEP_1) | instskip(NEXT) | instid1(VALU_DEP_1)
	v_sub_nc_u32_e32 v6, v5, v9
	v_lshrrev_b32_e32 v6, 1, v6
	s_delay_alu instid0(VALU_DEP_1) | instskip(NEXT) | instid1(VALU_DEP_1)
	v_add_nc_u32_e32 v8, v6, v9
	v_not_b32_e32 v6, v8
	v_lshl_add_u32 v7, v8, 3, v40
	s_delay_alu instid0(VALU_DEP_2)
	v_lshl_add_u32 v10, v6, 3, v64
	ds_load_b64 v[6:7], v7
	ds_load_b64 v[10:11], v10
	s_wait_dscnt 0x0
	v_cmp_lt_i64_e64 s8, v[10:11], v[6:7]
	v_add_nc_u32_e32 v6, 1, v8
	s_wait_alu 0xf1ff
	s_delay_alu instid0(VALU_DEP_2) | instskip(NEXT) | instid1(VALU_DEP_2)
	v_cndmask_b32_e64 v5, v5, v8, s8
	v_cndmask_b32_e64 v9, v6, v9, s8
	s_delay_alu instid0(VALU_DEP_1) | instskip(SKIP_1) | instid1(SALU_CYCLE_1)
	v_cmp_ge_i32_e64 s8, v9, v5
	s_or_b32 s10, s8, s10
	s_and_not1_b32 exec_lo, exec_lo, s10
	s_cbranch_execnz .LBB153_28
; %bb.29:                               ;   in Loop: Header=BB153_2 Depth=1
	s_or_b32 exec_lo, exec_lo, s10
.LBB153_30:                             ;   in Loop: Header=BB153_2 Depth=1
	s_wait_alu 0xfffe
	s_or_b32 exec_lo, exec_lo, s9
	v_sub_nc_u32_e32 v13, v56, v9
	v_lshl_add_u32 v11, v9, 3, v40
	v_add_nc_u32_e32 v14, v9, v21
                                        ; implicit-def: $vgpr9_vgpr10
	s_delay_alu instid0(VALU_DEP_3) | instskip(SKIP_1) | instid1(VALU_DEP_3)
	v_lshlrev_b32_e32 v15, 3, v13
	v_cmp_gt_i32_e64 s10, v39, v13
	v_cmp_le_i32_e64 s9, v38, v14
	ds_load_b64 v[5:6], v11
	ds_load_b64 v[7:8], v15
	s_wait_dscnt 0x0
	v_cmp_lt_i64_e64 s8, v[7:8], v[5:6]
	s_or_b32 s8, s9, s8
	s_wait_alu 0xfffe
	s_and_b32 s8, s10, s8
	s_wait_alu 0xfffe
	s_xor_b32 s9, s8, -1
	s_wait_alu 0xfffe
	s_and_saveexec_b32 s10, s9
	s_delay_alu instid0(SALU_CYCLE_1)
	s_xor_b32 s9, exec_lo, s10
; %bb.31:                               ;   in Loop: Header=BB153_2 Depth=1
	ds_load_b64 v[9:10], v11 offset:8
                                        ; implicit-def: $vgpr15
; %bb.32:                               ;   in Loop: Header=BB153_2 Depth=1
	s_wait_alu 0xfffe
	s_or_saveexec_b32 s9, s9
	v_dual_mov_b32 v12, v8 :: v_dual_mov_b32 v11, v7
	s_wait_alu 0xfffe
	s_xor_b32 exec_lo, exec_lo, s9
	s_cbranch_execz .LBB153_34
; %bb.33:                               ;   in Loop: Header=BB153_2 Depth=1
	ds_load_b64 v[11:12], v15 offset:8
	s_wait_dscnt 0x1
	v_dual_mov_b32 v10, v6 :: v_dual_mov_b32 v9, v5
.LBB153_34:                             ;   in Loop: Header=BB153_2 Depth=1
	s_or_b32 exec_lo, exec_lo, s9
	v_add_nc_u32_e32 v15, 1, v14
	v_add_nc_u32_e32 v16, 1, v13
	s_wait_dscnt 0x0
	v_cmp_lt_i64_e64 s9, v[11:12], v[9:10]
	s_wait_loadcnt 0x0
	s_barrier_signal -1
	v_cndmask_b32_e64 v15, v15, v14, s8
	v_cndmask_b32_e64 v16, v13, v16, s8
	;; [unrolled: 1-line block ×3, first 2 shown]
	s_barrier_wait -1
	global_inv scope:SCOPE_SE
	v_cmp_ge_i32_e64 s10, v15, v38
	v_cmp_lt_i32_e64 s11, v16, v39
	ds_store_2addr_b64 v17, v[1:2], v[3:4] offset1:1
	v_lshlrev_b32_e32 v1, 3, v13
	s_wait_loadcnt_dscnt 0x0
	s_or_b32 s9, s10, s9
	s_barrier_signal -1
	s_wait_alu 0xfffe
	s_and_b32 s9, s11, s9
	s_barrier_wait -1
	s_wait_alu 0xfffe
	v_cndmask_b32_e64 v10, v10, v12, s9
	v_cndmask_b32_e64 v12, v15, v16, s9
	global_inv scope:SCOPE_SE
	v_cndmask_b32_e64 v6, v6, v8, s8
	v_cndmask_b32_e64 v5, v5, v7, s8
	;; [unrolled: 1-line block ×3, first 2 shown]
	v_lshlrev_b32_e32 v3, 3, v12
	ds_load_b64 v[1:2], v1
	ds_load_b64 v[3:4], v3
	s_wait_loadcnt_dscnt 0x0
	s_barrier_signal -1
	s_barrier_wait -1
	global_inv scope:SCOPE_SE
	ds_store_2addr_b64 v17, v[5:6], v[9:10] offset1:1
	v_mov_b32_e32 v9, v81
	s_wait_loadcnt_dscnt 0x0
	s_barrier_signal -1
	s_barrier_wait -1
	global_inv scope:SCOPE_SE
	s_and_saveexec_b32 s9, s4
	s_cbranch_execz .LBB153_38
; %bb.35:                               ;   in Loop: Header=BB153_2 Depth=1
	v_mov_b32_e32 v9, v81
	v_mov_b32_e32 v5, v73
	s_mov_b32 s10, 0
.LBB153_36:                             ;   Parent Loop BB153_2 Depth=1
                                        ; =>  This Inner Loop Header: Depth=2
	s_delay_alu instid0(VALU_DEP_1) | instskip(NEXT) | instid1(VALU_DEP_1)
	v_sub_nc_u32_e32 v6, v5, v9
	v_lshrrev_b32_e32 v6, 1, v6
	s_delay_alu instid0(VALU_DEP_1) | instskip(NEXT) | instid1(VALU_DEP_1)
	v_add_nc_u32_e32 v8, v6, v9
	v_not_b32_e32 v6, v8
	v_lshl_add_u32 v7, v8, 3, v43
	s_delay_alu instid0(VALU_DEP_2)
	v_lshl_add_u32 v10, v6, 3, v65
	ds_load_b64 v[6:7], v7
	ds_load_b64 v[10:11], v10
	s_wait_dscnt 0x0
	v_cmp_lt_i64_e64 s8, v[10:11], v[6:7]
	v_add_nc_u32_e32 v6, 1, v8
	s_wait_alu 0xf1ff
	s_delay_alu instid0(VALU_DEP_2) | instskip(NEXT) | instid1(VALU_DEP_2)
	v_cndmask_b32_e64 v5, v5, v8, s8
	v_cndmask_b32_e64 v9, v6, v9, s8
	s_delay_alu instid0(VALU_DEP_1) | instskip(SKIP_1) | instid1(SALU_CYCLE_1)
	v_cmp_ge_i32_e64 s8, v9, v5
	s_or_b32 s10, s8, s10
	s_and_not1_b32 exec_lo, exec_lo, s10
	s_cbranch_execnz .LBB153_36
; %bb.37:                               ;   in Loop: Header=BB153_2 Depth=1
	s_or_b32 exec_lo, exec_lo, s10
.LBB153_38:                             ;   in Loop: Header=BB153_2 Depth=1
	s_wait_alu 0xfffe
	s_or_b32 exec_lo, exec_lo, s9
	v_sub_nc_u32_e32 v13, v57, v9
	v_lshl_add_u32 v11, v9, 3, v43
	v_add_nc_u32_e32 v14, v9, v22
                                        ; implicit-def: $vgpr9_vgpr10
	s_delay_alu instid0(VALU_DEP_3) | instskip(SKIP_1) | instid1(VALU_DEP_3)
	v_lshlrev_b32_e32 v15, 3, v13
	v_cmp_gt_i32_e64 s10, v42, v13
	v_cmp_le_i32_e64 s9, v41, v14
	ds_load_b64 v[5:6], v11
	ds_load_b64 v[7:8], v15
	s_wait_dscnt 0x0
	v_cmp_lt_i64_e64 s8, v[7:8], v[5:6]
	s_or_b32 s8, s9, s8
	s_wait_alu 0xfffe
	s_and_b32 s8, s10, s8
	s_wait_alu 0xfffe
	s_xor_b32 s9, s8, -1
	s_wait_alu 0xfffe
	s_and_saveexec_b32 s10, s9
	s_delay_alu instid0(SALU_CYCLE_1)
	s_xor_b32 s9, exec_lo, s10
; %bb.39:                               ;   in Loop: Header=BB153_2 Depth=1
	ds_load_b64 v[9:10], v11 offset:8
                                        ; implicit-def: $vgpr15
; %bb.40:                               ;   in Loop: Header=BB153_2 Depth=1
	s_wait_alu 0xfffe
	s_or_saveexec_b32 s9, s9
	v_dual_mov_b32 v12, v8 :: v_dual_mov_b32 v11, v7
	s_wait_alu 0xfffe
	s_xor_b32 exec_lo, exec_lo, s9
	s_cbranch_execz .LBB153_42
; %bb.41:                               ;   in Loop: Header=BB153_2 Depth=1
	ds_load_b64 v[11:12], v15 offset:8
	s_wait_dscnt 0x1
	v_dual_mov_b32 v10, v6 :: v_dual_mov_b32 v9, v5
.LBB153_42:                             ;   in Loop: Header=BB153_2 Depth=1
	s_or_b32 exec_lo, exec_lo, s9
	v_add_nc_u32_e32 v15, 1, v14
	v_add_nc_u32_e32 v16, 1, v13
	s_wait_dscnt 0x0
	v_cmp_lt_i64_e64 s9, v[11:12], v[9:10]
	s_wait_loadcnt 0x0
	s_barrier_signal -1
	v_cndmask_b32_e64 v15, v15, v14, s8
	v_cndmask_b32_e64 v16, v13, v16, s8
	;; [unrolled: 1-line block ×3, first 2 shown]
	s_barrier_wait -1
	global_inv scope:SCOPE_SE
	v_cmp_ge_i32_e64 s10, v15, v41
	v_cmp_lt_i32_e64 s11, v16, v42
	ds_store_2addr_b64 v17, v[1:2], v[3:4] offset1:1
	v_lshlrev_b32_e32 v1, 3, v13
	s_wait_loadcnt_dscnt 0x0
	s_or_b32 s9, s10, s9
	s_barrier_signal -1
	s_wait_alu 0xfffe
	s_and_b32 s9, s11, s9
	s_barrier_wait -1
	s_wait_alu 0xfffe
	v_cndmask_b32_e64 v10, v10, v12, s9
	v_cndmask_b32_e64 v12, v15, v16, s9
	global_inv scope:SCOPE_SE
	v_cndmask_b32_e64 v6, v6, v8, s8
	v_cndmask_b32_e64 v5, v5, v7, s8
	v_cndmask_b32_e64 v9, v9, v11, s9
	v_lshlrev_b32_e32 v3, 3, v12
	ds_load_b64 v[1:2], v1
	ds_load_b64 v[3:4], v3
	s_wait_loadcnt_dscnt 0x0
	s_barrier_signal -1
	s_barrier_wait -1
	global_inv scope:SCOPE_SE
	ds_store_2addr_b64 v17, v[5:6], v[9:10] offset1:1
	v_mov_b32_e32 v9, v82
	s_wait_loadcnt_dscnt 0x0
	s_barrier_signal -1
	s_barrier_wait -1
	global_inv scope:SCOPE_SE
	s_and_saveexec_b32 s9, s5
	s_cbranch_execz .LBB153_46
; %bb.43:                               ;   in Loop: Header=BB153_2 Depth=1
	v_mov_b32_e32 v9, v82
	v_mov_b32_e32 v5, v74
	s_mov_b32 s10, 0
.LBB153_44:                             ;   Parent Loop BB153_2 Depth=1
                                        ; =>  This Inner Loop Header: Depth=2
	s_delay_alu instid0(VALU_DEP_1) | instskip(NEXT) | instid1(VALU_DEP_1)
	v_sub_nc_u32_e32 v6, v5, v9
	v_lshrrev_b32_e32 v6, 1, v6
	s_delay_alu instid0(VALU_DEP_1) | instskip(NEXT) | instid1(VALU_DEP_1)
	v_add_nc_u32_e32 v8, v6, v9
	v_not_b32_e32 v6, v8
	v_lshl_add_u32 v7, v8, 3, v46
	s_delay_alu instid0(VALU_DEP_2)
	v_lshl_add_u32 v10, v6, 3, v66
	ds_load_b64 v[6:7], v7
	ds_load_b64 v[10:11], v10
	s_wait_dscnt 0x0
	v_cmp_lt_i64_e64 s8, v[10:11], v[6:7]
	v_add_nc_u32_e32 v6, 1, v8
	s_wait_alu 0xf1ff
	s_delay_alu instid0(VALU_DEP_2) | instskip(NEXT) | instid1(VALU_DEP_2)
	v_cndmask_b32_e64 v5, v5, v8, s8
	v_cndmask_b32_e64 v9, v6, v9, s8
	s_delay_alu instid0(VALU_DEP_1) | instskip(SKIP_1) | instid1(SALU_CYCLE_1)
	v_cmp_ge_i32_e64 s8, v9, v5
	s_or_b32 s10, s8, s10
	s_and_not1_b32 exec_lo, exec_lo, s10
	s_cbranch_execnz .LBB153_44
; %bb.45:                               ;   in Loop: Header=BB153_2 Depth=1
	s_or_b32 exec_lo, exec_lo, s10
.LBB153_46:                             ;   in Loop: Header=BB153_2 Depth=1
	s_wait_alu 0xfffe
	s_or_b32 exec_lo, exec_lo, s9
	v_sub_nc_u32_e32 v13, v58, v9
	v_lshl_add_u32 v11, v9, 3, v46
	v_add_nc_u32_e32 v14, v9, v23
                                        ; implicit-def: $vgpr9_vgpr10
	s_delay_alu instid0(VALU_DEP_3) | instskip(SKIP_1) | instid1(VALU_DEP_3)
	v_lshlrev_b32_e32 v15, 3, v13
	v_cmp_gt_i32_e64 s10, v45, v13
	v_cmp_le_i32_e64 s9, v44, v14
	ds_load_b64 v[5:6], v11
	ds_load_b64 v[7:8], v15
	s_wait_dscnt 0x0
	v_cmp_lt_i64_e64 s8, v[7:8], v[5:6]
	s_or_b32 s8, s9, s8
	s_wait_alu 0xfffe
	s_and_b32 s8, s10, s8
	s_wait_alu 0xfffe
	s_xor_b32 s9, s8, -1
	s_wait_alu 0xfffe
	s_and_saveexec_b32 s10, s9
	s_delay_alu instid0(SALU_CYCLE_1)
	s_xor_b32 s9, exec_lo, s10
; %bb.47:                               ;   in Loop: Header=BB153_2 Depth=1
	ds_load_b64 v[9:10], v11 offset:8
                                        ; implicit-def: $vgpr15
; %bb.48:                               ;   in Loop: Header=BB153_2 Depth=1
	s_wait_alu 0xfffe
	s_or_saveexec_b32 s9, s9
	v_dual_mov_b32 v12, v8 :: v_dual_mov_b32 v11, v7
	s_wait_alu 0xfffe
	s_xor_b32 exec_lo, exec_lo, s9
	s_cbranch_execz .LBB153_50
; %bb.49:                               ;   in Loop: Header=BB153_2 Depth=1
	ds_load_b64 v[11:12], v15 offset:8
	s_wait_dscnt 0x1
	v_dual_mov_b32 v10, v6 :: v_dual_mov_b32 v9, v5
.LBB153_50:                             ;   in Loop: Header=BB153_2 Depth=1
	s_or_b32 exec_lo, exec_lo, s9
	v_add_nc_u32_e32 v15, 1, v14
	v_add_nc_u32_e32 v16, 1, v13
	s_wait_dscnt 0x0
	v_cmp_lt_i64_e64 s9, v[11:12], v[9:10]
	s_wait_loadcnt 0x0
	s_barrier_signal -1
	v_cndmask_b32_e64 v15, v15, v14, s8
	v_cndmask_b32_e64 v16, v13, v16, s8
	;; [unrolled: 1-line block ×3, first 2 shown]
	s_barrier_wait -1
	global_inv scope:SCOPE_SE
	v_cmp_ge_i32_e64 s10, v15, v44
	v_cmp_lt_i32_e64 s11, v16, v45
	ds_store_2addr_b64 v17, v[1:2], v[3:4] offset1:1
	v_lshlrev_b32_e32 v1, 3, v13
	s_wait_loadcnt_dscnt 0x0
	s_or_b32 s9, s10, s9
	s_barrier_signal -1
	s_wait_alu 0xfffe
	s_and_b32 s9, s11, s9
	s_barrier_wait -1
	s_wait_alu 0xfffe
	v_cndmask_b32_e64 v10, v10, v12, s9
	v_cndmask_b32_e64 v12, v15, v16, s9
	global_inv scope:SCOPE_SE
	v_cndmask_b32_e64 v6, v6, v8, s8
	v_cndmask_b32_e64 v5, v5, v7, s8
	;; [unrolled: 1-line block ×3, first 2 shown]
	v_lshlrev_b32_e32 v3, 3, v12
	ds_load_b64 v[1:2], v1
	ds_load_b64 v[3:4], v3
	s_wait_loadcnt_dscnt 0x0
	s_barrier_signal -1
	s_barrier_wait -1
	global_inv scope:SCOPE_SE
	ds_store_2addr_b64 v17, v[5:6], v[9:10] offset1:1
	v_mov_b32_e32 v9, v83
	s_wait_loadcnt_dscnt 0x0
	s_barrier_signal -1
	s_barrier_wait -1
	global_inv scope:SCOPE_SE
	s_and_saveexec_b32 s9, s6
	s_cbranch_execz .LBB153_54
; %bb.51:                               ;   in Loop: Header=BB153_2 Depth=1
	v_mov_b32_e32 v9, v83
	v_mov_b32_e32 v5, v75
	s_mov_b32 s10, 0
.LBB153_52:                             ;   Parent Loop BB153_2 Depth=1
                                        ; =>  This Inner Loop Header: Depth=2
	s_delay_alu instid0(VALU_DEP_1) | instskip(NEXT) | instid1(VALU_DEP_1)
	v_sub_nc_u32_e32 v6, v5, v9
	v_lshrrev_b32_e32 v6, 1, v6
	s_delay_alu instid0(VALU_DEP_1) | instskip(NEXT) | instid1(VALU_DEP_1)
	v_add_nc_u32_e32 v8, v6, v9
	v_not_b32_e32 v6, v8
	v_lshl_add_u32 v7, v8, 3, v49
	s_delay_alu instid0(VALU_DEP_2)
	v_lshl_add_u32 v10, v6, 3, v67
	ds_load_b64 v[6:7], v7
	ds_load_b64 v[10:11], v10
	s_wait_dscnt 0x0
	v_cmp_lt_i64_e64 s8, v[10:11], v[6:7]
	v_add_nc_u32_e32 v6, 1, v8
	s_wait_alu 0xf1ff
	s_delay_alu instid0(VALU_DEP_2) | instskip(NEXT) | instid1(VALU_DEP_2)
	v_cndmask_b32_e64 v5, v5, v8, s8
	v_cndmask_b32_e64 v9, v6, v9, s8
	s_delay_alu instid0(VALU_DEP_1) | instskip(SKIP_1) | instid1(SALU_CYCLE_1)
	v_cmp_ge_i32_e64 s8, v9, v5
	s_or_b32 s10, s8, s10
	s_and_not1_b32 exec_lo, exec_lo, s10
	s_cbranch_execnz .LBB153_52
; %bb.53:                               ;   in Loop: Header=BB153_2 Depth=1
	s_or_b32 exec_lo, exec_lo, s10
.LBB153_54:                             ;   in Loop: Header=BB153_2 Depth=1
	s_wait_alu 0xfffe
	s_or_b32 exec_lo, exec_lo, s9
	v_sub_nc_u32_e32 v13, v59, v9
	v_lshl_add_u32 v11, v9, 3, v49
	v_add_nc_u32_e32 v14, v9, v24
                                        ; implicit-def: $vgpr9_vgpr10
	s_delay_alu instid0(VALU_DEP_3) | instskip(SKIP_1) | instid1(VALU_DEP_3)
	v_lshlrev_b32_e32 v15, 3, v13
	v_cmp_gt_i32_e64 s10, v48, v13
	v_cmp_le_i32_e64 s9, v47, v14
	ds_load_b64 v[5:6], v11
	ds_load_b64 v[7:8], v15
	s_wait_dscnt 0x0
	v_cmp_lt_i64_e64 s8, v[7:8], v[5:6]
	s_or_b32 s8, s9, s8
	s_wait_alu 0xfffe
	s_and_b32 s8, s10, s8
	s_wait_alu 0xfffe
	s_xor_b32 s9, s8, -1
	s_wait_alu 0xfffe
	s_and_saveexec_b32 s10, s9
	s_delay_alu instid0(SALU_CYCLE_1)
	s_xor_b32 s9, exec_lo, s10
; %bb.55:                               ;   in Loop: Header=BB153_2 Depth=1
	ds_load_b64 v[9:10], v11 offset:8
                                        ; implicit-def: $vgpr15
; %bb.56:                               ;   in Loop: Header=BB153_2 Depth=1
	s_wait_alu 0xfffe
	s_or_saveexec_b32 s9, s9
	v_dual_mov_b32 v12, v8 :: v_dual_mov_b32 v11, v7
	s_wait_alu 0xfffe
	s_xor_b32 exec_lo, exec_lo, s9
	s_cbranch_execz .LBB153_58
; %bb.57:                               ;   in Loop: Header=BB153_2 Depth=1
	ds_load_b64 v[11:12], v15 offset:8
	s_wait_dscnt 0x1
	v_dual_mov_b32 v10, v6 :: v_dual_mov_b32 v9, v5
.LBB153_58:                             ;   in Loop: Header=BB153_2 Depth=1
	s_or_b32 exec_lo, exec_lo, s9
	v_add_nc_u32_e32 v15, 1, v14
	v_add_nc_u32_e32 v16, 1, v13
	s_wait_dscnt 0x0
	v_cmp_lt_i64_e64 s9, v[11:12], v[9:10]
	s_wait_loadcnt 0x0
	s_barrier_signal -1
	v_cndmask_b32_e64 v15, v15, v14, s8
	v_cndmask_b32_e64 v16, v13, v16, s8
	;; [unrolled: 1-line block ×3, first 2 shown]
	s_barrier_wait -1
	global_inv scope:SCOPE_SE
	v_cmp_ge_i32_e64 s10, v15, v47
	v_cmp_lt_i32_e64 s11, v16, v48
	ds_store_2addr_b64 v17, v[1:2], v[3:4] offset1:1
	v_lshlrev_b32_e32 v1, 3, v13
	s_wait_loadcnt_dscnt 0x0
	s_or_b32 s9, s10, s9
	s_barrier_signal -1
	s_wait_alu 0xfffe
	s_and_b32 s9, s11, s9
	s_barrier_wait -1
	s_wait_alu 0xfffe
	v_cndmask_b32_e64 v10, v10, v12, s9
	v_cndmask_b32_e64 v12, v15, v16, s9
	global_inv scope:SCOPE_SE
	v_cndmask_b32_e64 v6, v6, v8, s8
	v_cndmask_b32_e64 v5, v5, v7, s8
	;; [unrolled: 1-line block ×3, first 2 shown]
	v_lshlrev_b32_e32 v3, 3, v12
	ds_load_b64 v[1:2], v1
	ds_load_b64 v[3:4], v3
	s_wait_loadcnt_dscnt 0x0
	s_barrier_signal -1
	s_barrier_wait -1
	global_inv scope:SCOPE_SE
	ds_store_2addr_b64 v17, v[5:6], v[9:10] offset1:1
	v_mov_b32_e32 v6, v84
	s_wait_loadcnt_dscnt 0x0
	s_barrier_signal -1
	s_barrier_wait -1
	global_inv scope:SCOPE_SE
	s_and_saveexec_b32 s9, s7
	s_cbranch_execz .LBB153_62
; %bb.59:                               ;   in Loop: Header=BB153_2 Depth=1
	v_dual_mov_b32 v6, v84 :: v_dual_mov_b32 v5, v76
	s_mov_b32 s10, 0
.LBB153_60:                             ;   Parent Loop BB153_2 Depth=1
                                        ; =>  This Inner Loop Header: Depth=2
	s_delay_alu instid0(VALU_DEP_1) | instskip(NEXT) | instid1(VALU_DEP_1)
	v_sub_nc_u32_e32 v7, v5, v6
	v_lshrrev_b32_e32 v7, 1, v7
	s_delay_alu instid0(VALU_DEP_1) | instskip(NEXT) | instid1(VALU_DEP_1)
	v_add_nc_u32_e32 v11, v7, v6
	v_not_b32_e32 v7, v11
	v_lshl_add_u32 v8, v11, 3, v52
	s_delay_alu instid0(VALU_DEP_2)
	v_lshl_add_u32 v9, v7, 3, v68
	ds_load_b64 v[7:8], v8
	ds_load_b64 v[9:10], v9
	s_wait_dscnt 0x0
	v_cmp_lt_i64_e64 s8, v[9:10], v[7:8]
	v_add_nc_u32_e32 v7, 1, v11
	s_wait_alu 0xf1ff
	s_delay_alu instid0(VALU_DEP_2) | instskip(NEXT) | instid1(VALU_DEP_2)
	v_cndmask_b32_e64 v5, v5, v11, s8
	v_cndmask_b32_e64 v6, v7, v6, s8
	s_delay_alu instid0(VALU_DEP_1) | instskip(SKIP_1) | instid1(SALU_CYCLE_1)
	v_cmp_ge_i32_e64 s8, v6, v5
	s_or_b32 s10, s8, s10
	s_and_not1_b32 exec_lo, exec_lo, s10
	s_cbranch_execnz .LBB153_60
; %bb.61:                               ;   in Loop: Header=BB153_2 Depth=1
	s_or_b32 exec_lo, exec_lo, s10
.LBB153_62:                             ;   in Loop: Header=BB153_2 Depth=1
	s_wait_alu 0xfffe
	s_or_b32 exec_lo, exec_lo, s9
	v_sub_nc_u32_e32 v5, v60, v6
	v_lshl_add_u32 v13, v6, 3, v52
	v_add_nc_u32_e32 v6, v6, v25
                                        ; implicit-def: $vgpr11_vgpr12
	s_delay_alu instid0(VALU_DEP_3) | instskip(SKIP_1) | instid1(VALU_DEP_3)
	v_lshlrev_b32_e32 v15, 3, v5
	v_cmp_gt_i32_e64 s10, v51, v5
	v_cmp_le_i32_e64 s9, v50, v6
	ds_load_b64 v[7:8], v13
	ds_load_b64 v[9:10], v15
	s_wait_dscnt 0x0
	v_cmp_lt_i64_e64 s8, v[9:10], v[7:8]
	s_or_b32 s8, s9, s8
	s_wait_alu 0xfffe
	s_and_b32 s8, s10, s8
	s_wait_alu 0xfffe
	s_xor_b32 s9, s8, -1
	s_wait_alu 0xfffe
	s_and_saveexec_b32 s10, s9
	s_delay_alu instid0(SALU_CYCLE_1)
	s_xor_b32 s9, exec_lo, s10
; %bb.63:                               ;   in Loop: Header=BB153_2 Depth=1
	ds_load_b64 v[11:12], v13 offset:8
                                        ; implicit-def: $vgpr15
; %bb.64:                               ;   in Loop: Header=BB153_2 Depth=1
	s_wait_alu 0xfffe
	s_or_saveexec_b32 s9, s9
	v_dual_mov_b32 v14, v10 :: v_dual_mov_b32 v13, v9
	s_wait_alu 0xfffe
	s_xor_b32 exec_lo, exec_lo, s9
	s_cbranch_execz .LBB153_66
; %bb.65:                               ;   in Loop: Header=BB153_2 Depth=1
	ds_load_b64 v[13:14], v15 offset:8
	s_wait_dscnt 0x1
	v_dual_mov_b32 v12, v8 :: v_dual_mov_b32 v11, v7
.LBB153_66:                             ;   in Loop: Header=BB153_2 Depth=1
	s_or_b32 exec_lo, exec_lo, s9
	v_add_nc_u32_e32 v15, 1, v6
	v_add_nc_u32_e32 v16, 1, v5
	s_wait_dscnt 0x0
	v_cmp_lt_i64_e64 s9, v[13:14], v[11:12]
	s_wait_loadcnt 0x0
	s_barrier_signal -1
	v_cndmask_b32_e64 v15, v15, v6, s8
	v_cndmask_b32_e64 v16, v5, v16, s8
	;; [unrolled: 1-line block ×3, first 2 shown]
	s_barrier_wait -1
	global_inv scope:SCOPE_SE
	v_cmp_ge_i32_e64 s10, v15, v50
	v_cmp_lt_i32_e64 s11, v16, v51
	ds_store_2addr_b64 v17, v[1:2], v[3:4] offset1:1
	v_lshlrev_b32_e32 v1, 3, v5
	s_wait_loadcnt_dscnt 0x0
	s_or_b32 s9, s10, s9
	s_barrier_signal -1
	s_wait_alu 0xfffe
	s_and_b32 s9, s11, s9
	s_barrier_wait -1
	s_wait_alu 0xfffe
	v_cndmask_b32_e64 v6, v15, v16, s9
	global_inv scope:SCOPE_SE
	v_cndmask_b32_e64 v12, v12, v14, s9
	v_cndmask_b32_e64 v11, v11, v13, s9
	v_lshlrev_b32_e32 v2, 3, v6
	ds_load_b64 v[3:4], v1
	ds_load_b64 v[5:6], v2
	v_cndmask_b32_e64 v2, v8, v10, s8
	v_cndmask_b32_e64 v1, v7, v9, s8
	v_mov_b32_e32 v7, v26
	s_wait_loadcnt_dscnt 0x0
	s_barrier_signal -1
	s_barrier_wait -1
	global_inv scope:SCOPE_SE
	ds_store_2addr_b64 v17, v[1:2], v[11:12] offset1:1
	s_wait_loadcnt_dscnt 0x0
	s_barrier_signal -1
	s_barrier_wait -1
	global_inv scope:SCOPE_SE
	s_and_saveexec_b32 s9, vcc_lo
	s_cbranch_execz .LBB153_70
; %bb.67:                               ;   in Loop: Header=BB153_2 Depth=1
	v_mov_b32_e32 v7, v26
	v_mov_b32_e32 v1, v27
	s_mov_b32 s10, 0
.LBB153_68:                             ;   Parent Loop BB153_2 Depth=1
                                        ; =>  This Inner Loop Header: Depth=2
	s_delay_alu instid0(VALU_DEP_1) | instskip(NEXT) | instid1(VALU_DEP_1)
	v_sub_nc_u32_e32 v2, v1, v7
	v_lshrrev_b32_e32 v2, 1, v2
	s_delay_alu instid0(VALU_DEP_1) | instskip(NEXT) | instid1(VALU_DEP_1)
	v_add_nc_u32_e32 v2, v2, v7
	v_not_b32_e32 v8, v2
	v_lshlrev_b32_e32 v9, 3, v2
	s_delay_alu instid0(VALU_DEP_2)
	v_lshl_add_u32 v10, v8, 3, v85
	ds_load_b64 v[8:9], v9
	ds_load_b64 v[10:11], v10
	s_wait_dscnt 0x0
	v_cmp_lt_i64_e64 s8, v[10:11], v[8:9]
	v_add_nc_u32_e32 v8, 1, v2
	s_wait_alu 0xf1ff
	s_delay_alu instid0(VALU_DEP_2) | instskip(NEXT) | instid1(VALU_DEP_2)
	v_cndmask_b32_e64 v1, v1, v2, s8
	v_cndmask_b32_e64 v7, v8, v7, s8
	s_delay_alu instid0(VALU_DEP_1) | instskip(SKIP_1) | instid1(SALU_CYCLE_1)
	v_cmp_ge_i32_e64 s8, v7, v1
	s_or_b32 s10, s8, s10
	s_and_not1_b32 exec_lo, exec_lo, s10
	s_cbranch_execnz .LBB153_68
; %bb.69:                               ;   in Loop: Header=BB153_2 Depth=1
	s_or_b32 exec_lo, exec_lo, s10
.LBB153_70:                             ;   in Loop: Header=BB153_2 Depth=1
	s_wait_alu 0xfffe
	s_or_b32 exec_lo, exec_lo, s9
	v_sub_nc_u32_e32 v8, v28, v7
	v_lshlrev_b32_e32 v13, 3, v7
	v_cmp_le_i32_e64 s9, 0x200, v7
                                        ; implicit-def: $vgpr1_vgpr2
                                        ; implicit-def: $vgpr15
	s_delay_alu instid0(VALU_DEP_3)
	v_lshlrev_b32_e32 v86, 3, v8
	v_cmp_gt_i32_e64 s10, 0x400, v8
	ds_load_b64 v[9:10], v13
	ds_load_b64 v[11:12], v86
	s_wait_dscnt 0x0
	v_cmp_lt_i64_e64 s8, v[11:12], v[9:10]
	s_or_b32 s8, s9, s8
	s_wait_alu 0xfffe
	s_and_b32 s8, s10, s8
	s_wait_alu 0xfffe
	s_xor_b32 s9, s8, -1
	s_wait_alu 0xfffe
	s_and_saveexec_b32 s10, s9
	s_delay_alu instid0(SALU_CYCLE_1)
	s_xor_b32 s9, exec_lo, s10
; %bb.71:                               ;   in Loop: Header=BB153_2 Depth=1
	ds_load_b64 v[1:2], v13 offset:8
	v_add_nc_u32_e32 v15, 1, v7
                                        ; implicit-def: $vgpr86
; %bb.72:                               ;   in Loop: Header=BB153_2 Depth=1
	s_wait_alu 0xfffe
	s_or_saveexec_b32 s9, s9
	v_mov_b32_e32 v14, v12
	v_dual_mov_b32 v16, v7 :: v_dual_mov_b32 v13, v11
	s_wait_alu 0xfffe
	s_xor_b32 exec_lo, exec_lo, s9
	s_cbranch_execz .LBB153_1
; %bb.73:                               ;   in Loop: Header=BB153_2 Depth=1
	ds_load_b64 v[13:14], v86 offset:8
	s_wait_dscnt 0x1
	v_dual_mov_b32 v16, v8 :: v_dual_add_nc_u32 v1, 1, v8
	s_delay_alu instid0(VALU_DEP_1)
	v_dual_mov_b32 v15, v7 :: v_dual_mov_b32 v8, v1
	v_dual_mov_b32 v1, v9 :: v_dual_mov_b32 v2, v10
	s_branch .LBB153_1
.LBB153_74:
	s_wait_dscnt 0x1
	v_add_co_u32 v3, vcc_lo, v3, v7
	s_delay_alu instid0(VALU_DEP_1)
	v_add_co_ci_u32_e64 v4, null, v4, v8, vcc_lo
	v_lshlrev_b32_e32 v7, 3, v0
	s_wait_dscnt 0x0
	v_add_co_u32 v0, vcc_lo, v1, v5
	s_wait_alu 0xfffd
	v_add_co_ci_u32_e64 v1, null, v2, v6, vcc_lo
	s_add_nc_u64 s[0:1], s[14:15], s[16:17]
	s_clause 0x1
	global_store_b64 v7, v[3:4], s[0:1]
	global_store_b64 v7, v[0:1], s[0:1] offset:4096
	s_endpgm
	.section	.rodata,"a",@progbits
	.p2align	6, 0x0
	.amdhsa_kernel _Z17sort_pairs_kernelIxLj512ELj2EN10test_utils4lessELj10EEvPKT_PS2_T2_
		.amdhsa_group_segment_fixed_size 8200
		.amdhsa_private_segment_fixed_size 0
		.amdhsa_kernarg_size 20
		.amdhsa_user_sgpr_count 2
		.amdhsa_user_sgpr_dispatch_ptr 0
		.amdhsa_user_sgpr_queue_ptr 0
		.amdhsa_user_sgpr_kernarg_segment_ptr 1
		.amdhsa_user_sgpr_dispatch_id 0
		.amdhsa_user_sgpr_private_segment_size 0
		.amdhsa_wavefront_size32 1
		.amdhsa_uses_dynamic_stack 0
		.amdhsa_enable_private_segment 0
		.amdhsa_system_sgpr_workgroup_id_x 1
		.amdhsa_system_sgpr_workgroup_id_y 0
		.amdhsa_system_sgpr_workgroup_id_z 0
		.amdhsa_system_sgpr_workgroup_info 0
		.amdhsa_system_vgpr_workitem_id 0
		.amdhsa_next_free_vgpr 89
		.amdhsa_next_free_sgpr 20
		.amdhsa_reserve_vcc 1
		.amdhsa_float_round_mode_32 0
		.amdhsa_float_round_mode_16_64 0
		.amdhsa_float_denorm_mode_32 3
		.amdhsa_float_denorm_mode_16_64 3
		.amdhsa_fp16_overflow 0
		.amdhsa_workgroup_processor_mode 1
		.amdhsa_memory_ordered 1
		.amdhsa_forward_progress 1
		.amdhsa_inst_pref_size 49
		.amdhsa_round_robin_scheduling 0
		.amdhsa_exception_fp_ieee_invalid_op 0
		.amdhsa_exception_fp_denorm_src 0
		.amdhsa_exception_fp_ieee_div_zero 0
		.amdhsa_exception_fp_ieee_overflow 0
		.amdhsa_exception_fp_ieee_underflow 0
		.amdhsa_exception_fp_ieee_inexact 0
		.amdhsa_exception_int_div_zero 0
	.end_amdhsa_kernel
	.section	.text._Z17sort_pairs_kernelIxLj512ELj2EN10test_utils4lessELj10EEvPKT_PS2_T2_,"axG",@progbits,_Z17sort_pairs_kernelIxLj512ELj2EN10test_utils4lessELj10EEvPKT_PS2_T2_,comdat
.Lfunc_end153:
	.size	_Z17sort_pairs_kernelIxLj512ELj2EN10test_utils4lessELj10EEvPKT_PS2_T2_, .Lfunc_end153-_Z17sort_pairs_kernelIxLj512ELj2EN10test_utils4lessELj10EEvPKT_PS2_T2_
                                        ; -- End function
	.set _Z17sort_pairs_kernelIxLj512ELj2EN10test_utils4lessELj10EEvPKT_PS2_T2_.num_vgpr, 89
	.set _Z17sort_pairs_kernelIxLj512ELj2EN10test_utils4lessELj10EEvPKT_PS2_T2_.num_agpr, 0
	.set _Z17sort_pairs_kernelIxLj512ELj2EN10test_utils4lessELj10EEvPKT_PS2_T2_.numbered_sgpr, 20
	.set _Z17sort_pairs_kernelIxLj512ELj2EN10test_utils4lessELj10EEvPKT_PS2_T2_.num_named_barrier, 0
	.set _Z17sort_pairs_kernelIxLj512ELj2EN10test_utils4lessELj10EEvPKT_PS2_T2_.private_seg_size, 0
	.set _Z17sort_pairs_kernelIxLj512ELj2EN10test_utils4lessELj10EEvPKT_PS2_T2_.uses_vcc, 1
	.set _Z17sort_pairs_kernelIxLj512ELj2EN10test_utils4lessELj10EEvPKT_PS2_T2_.uses_flat_scratch, 0
	.set _Z17sort_pairs_kernelIxLj512ELj2EN10test_utils4lessELj10EEvPKT_PS2_T2_.has_dyn_sized_stack, 0
	.set _Z17sort_pairs_kernelIxLj512ELj2EN10test_utils4lessELj10EEvPKT_PS2_T2_.has_recursion, 0
	.set _Z17sort_pairs_kernelIxLj512ELj2EN10test_utils4lessELj10EEvPKT_PS2_T2_.has_indirect_call, 0
	.section	.AMDGPU.csdata,"",@progbits
; Kernel info:
; codeLenInByte = 6224
; TotalNumSgprs: 22
; NumVgprs: 89
; ScratchSize: 0
; MemoryBound: 0
; FloatMode: 240
; IeeeMode: 1
; LDSByteSize: 8200 bytes/workgroup (compile time only)
; SGPRBlocks: 0
; VGPRBlocks: 11
; NumSGPRsForWavesPerEU: 22
; NumVGPRsForWavesPerEU: 89
; Occupancy: 16
; WaveLimiterHint : 1
; COMPUTE_PGM_RSRC2:SCRATCH_EN: 0
; COMPUTE_PGM_RSRC2:USER_SGPR: 2
; COMPUTE_PGM_RSRC2:TRAP_HANDLER: 0
; COMPUTE_PGM_RSRC2:TGID_X_EN: 1
; COMPUTE_PGM_RSRC2:TGID_Y_EN: 0
; COMPUTE_PGM_RSRC2:TGID_Z_EN: 0
; COMPUTE_PGM_RSRC2:TIDIG_COMP_CNT: 0
	.section	.text._Z16sort_keys_kernelIxLj512ELj3EN10test_utils4lessELj10EEvPKT_PS2_T2_,"axG",@progbits,_Z16sort_keys_kernelIxLj512ELj3EN10test_utils4lessELj10EEvPKT_PS2_T2_,comdat
	.protected	_Z16sort_keys_kernelIxLj512ELj3EN10test_utils4lessELj10EEvPKT_PS2_T2_ ; -- Begin function _Z16sort_keys_kernelIxLj512ELj3EN10test_utils4lessELj10EEvPKT_PS2_T2_
	.globl	_Z16sort_keys_kernelIxLj512ELj3EN10test_utils4lessELj10EEvPKT_PS2_T2_
	.p2align	8
	.type	_Z16sort_keys_kernelIxLj512ELj3EN10test_utils4lessELj10EEvPKT_PS2_T2_,@function
_Z16sort_keys_kernelIxLj512ELj3EN10test_utils4lessELj10EEvPKT_PS2_T2_: ; @_Z16sort_keys_kernelIxLj512ELj3EN10test_utils4lessELj10EEvPKT_PS2_T2_
; %bb.0:
	s_load_b128 s[12:15], s[0:1], 0x0
	s_mul_i32 s16, ttmp9, 0x600
	s_mov_b32 s17, 0
	v_lshlrev_b32_e32 v1, 3, v0
	s_lshl_b64 s[18:19], s[16:17], 3
	v_and_b32_e32 v7, 0x1fe, v0
	v_and_b32_e32 v10, 0x1fc, v0
	v_and_b32_e32 v11, 1, v0
	v_and_b32_e32 v84, 3, v0
	v_and_b32_e32 v30, 0x1f0, v0
	v_mul_u32_u24_e32 v7, 3, v7
	v_and_b32_e32 v85, 7, v0
	v_cmp_eq_u32_e32 vcc_lo, 1, v11
	v_and_b32_e32 v55, 0x180, v0
	v_and_b32_e32 v87, 15, v0
	v_min_u32_e32 v8, 0x5fd, v7
	v_min_u32_e32 v9, 0x5fa, v7
	;; [unrolled: 1-line block ×3, first 2 shown]
	v_mul_u32_u24_e32 v73, 3, v85
	v_and_b32_e32 v38, 0x1e0, v0
	s_wait_kmcnt 0x0
	s_add_nc_u64 s[0:1], s[12:13], s[18:19]
	v_add_nc_u32_e32 v13, 3, v8
	s_clause 0x2
	global_load_b64 v[3:4], v1, s[0:1]
	global_load_b64 v[5:6], v1, s[0:1] offset:4096
	global_load_b64 v[1:2], v1, s[0:1] offset:8192
	v_add_nc_u32_e32 v14, 6, v9
	v_mul_u32_u24_e32 v9, 3, v10
	v_cndmask_b32_e64 v10, 0, 3, vcc_lo
	v_and_b32_e32 v41, 0x1c0, v0
	v_and_b32_e32 v56, 0x100, v0
	v_sub_nc_u32_e32 v11, v14, v13
	v_min_u32_e32 v12, 0x5fa, v9
	v_min_u32_e32 v18, 0x5f4, v9
	v_min_u32_e32 v20, 0x600, v9
	v_and_b32_e32 v9, 0x1f8, v0
	v_sub_nc_u32_e32 v7, v10, v11
	v_add_nc_u32_e32 v17, 6, v12
	v_add_nc_u32_e32 v18, 12, v18
	v_cmp_ge_i32_e32 vcc_lo, v10, v11
	v_mul_u32_u24_e32 v9, 3, v9
	v_mul_u32_u24_e32 v60, 3, v55
	;; [unrolled: 1-line block ×3, first 2 shown]
	v_sub_nc_u32_e32 v11, v18, v17
	s_wait_alu 0xfffd
	v_cndmask_b32_e32 v19, 0, v7, vcc_lo
	v_mul_u32_u24_e32 v7, 3, v84
	v_min_u32_e32 v28, 0x5e8, v9
	v_min_u32_e32 v29, 0x600, v9
	v_mul_u32_u24_e32 v43, 3, v38
	v_mul_u32_u24_e32 v47, 3, v41
	v_sub_nc_u32_e32 v23, v7, v11
	v_cmp_ge_i32_e64 s0, v7, v11
	v_min_u32_e32 v11, 0x5f4, v9
	v_add_nc_u32_e32 v28, 24, v28
	v_mul_u32_u24_e32 v9, 3, v30
	v_mul_u32_u24_e32 v61, 3, v56
	v_min_u32_e32 v92, 0x540, v60
	v_add_nc_u32_e32 v27, 12, v11
	v_min_u32_e32 v57, 0x480, v60
	v_min_u32_e32 v86, 0x5e8, v9
	;; [unrolled: 1-line block ×4, first 2 shown]
	v_sub_nc_u32_e32 v34, v28, v27
	v_min_u32_e32 v89, 0x5a0, v47
	v_add_nc_u32_e32 v32, 24, v86
	v_add_nc_u32_e32 v33, 48, v33
	v_min_u32_e32 v45, 0x540, v47
	v_sub_nc_u32_e32 v36, v73, v34
	v_cmp_ge_i32_e64 s1, v73, v34
	v_and_b32_e32 v91, 0x7f, v0
	v_min_u32_e32 v93, 0x480, v61
	v_min_u32_e32 v59, 0x300, v61
	v_add_nc_u32_e32 v56, 0xc0, v92
	v_cndmask_b32_e64 v34, 0, v36, s1
	v_min_u32_e32 v36, 0x600, v9
	v_sub_nc_u32_e32 v9, v33, v32
	v_add_nc_u32_e32 v57, 0x180, v57
	v_and_b32_e32 v88, 31, v0
	v_add_nc_u32_e32 v42, 0x60, v42
	v_and_b32_e32 v90, 63, v0
	v_sub_nc_u32_e32 v39, v77, v9
	v_cmp_ge_i32_e64 s2, v77, v9
	v_min_u32_e32 v9, 0x5d0, v43
	v_add_nc_u32_e32 v44, 0x60, v89
	v_add_nc_u32_e32 v45, 0xc0, v45
	v_mul_u32_u24_e32 v80, 3, v91
	v_and_b32_e32 v94, 0xff, v0
	v_add_nc_u32_e32 v41, 48, v9
	v_add_nc_u32_e32 v58, 0x180, v93
	;; [unrolled: 1-line block ×3, first 2 shown]
	v_sub_nc_u32_e32 v63, v57, v56
	v_min_u32_e32 v61, 0x600, v61
	v_sub_nc_u32_e32 v24, v17, v20
	v_mul_u32_u24_e32 v78, 3, v88
	v_min_u32_e32 v43, 0x600, v43
	v_sub_nc_u32_e32 v46, v42, v41
	v_mul_u32_u24_e32 v79, 3, v90
	v_sub_nc_u32_e32 v51, v45, v44
	v_min_u32_e32 v47, 0x600, v47
	v_min_u32_e32 v60, 0x600, v60
	v_mul_u32_u24_e32 v81, 3, v94
	v_sub_nc_u32_e32 v65, v59, v58
	v_sub_nc_u32_e32 v66, v80, v63
	;; [unrolled: 1-line block ×3, first 2 shown]
	v_cmp_ge_i32_e64 s5, v80, v63
	v_min_i32_e32 v24, v7, v24
	v_sub_nc_u32_e32 v35, v27, v29
	v_sub_nc_u32_e32 v40, v32, v36
	;; [unrolled: 1-line block ×4, first 2 shown]
	v_cmp_ge_i32_e64 s3, v78, v46
	v_sub_nc_u32_e32 v52, v79, v51
	v_sub_nc_u32_e32 v53, v44, v47
	v_cmp_ge_i32_e64 s4, v79, v51
	v_sub_nc_u32_e32 v64, v56, v60
	v_sub_nc_u32_e32 v68, v81, v65
	v_cndmask_b32_e64 v63, 0, v66, s5
	v_cmp_ge_i32_e64 s5, v81, v65
	v_min_i32_e32 v66, v81, v67
	v_mul_u32_u24_e32 v67, 3, v0
	v_lshlrev_b32_e32 v7, 3, v7
	v_sub_nc_u32_e32 v21, v13, v16
	v_cndmask_b32_e64 v23, 0, v23, s0
	v_min_i32_e32 v35, v73, v35
	v_cndmask_b32_e64 v39, 0, v39, s2
	v_min_i32_e32 v40, v77, v40
	;; [unrolled: 2-line block ×4, first 2 shown]
	v_min_i32_e32 v64, v80, v64
	s_wait_alu 0xf1ff
	v_cndmask_b32_e64 v65, 0, v68, s5
	v_subrev_nc_u32_e64 v70, 0x300, v67 clamp
	v_min_i32_e32 v71, 0x300, v67
	v_lshlrev_b32_e32 v74, 3, v10
	v_lshlrev_b32_e32 v76, 3, v73
	v_lshl_add_u32 v75, v12, 3, v7
	v_lshlrev_b32_e32 v7, 3, v77
	v_lshlrev_b32_e32 v78, 3, v78
	;; [unrolled: 1-line block ×5, first 2 shown]
	v_mul_u32_u24_e32 v15, 24, v0
	v_min_i32_e32 v21, v10, v21
	v_lshlrev_b32_e32 v22, 3, v16
	v_add_nc_u32_e32 v25, v13, v10
	v_lshlrev_b32_e32 v26, 3, v20
	v_cmp_lt_i32_e64 s0, v23, v24
	v_mad_u32_u24 v30, v84, 3, v17
	v_lshlrev_b32_e32 v31, 3, v29
	v_cmp_lt_i32_e64 s1, v34, v35
	v_mad_u32_u24 v37, v85, 3, v27
	;; [unrolled: 3-line block ×7, first 2 shown]
	v_cmp_lt_i32_e64 s7, v70, v71
	v_mad_u32_u24 v73, v0, 3, 0x300
	v_lshl_add_u32 v74, v8, 3, v74
	v_lshl_add_u32 v76, v11, 3, v76
	v_lshl_add_u32 v77, v86, 3, v7
	v_lshl_add_u32 v78, v9, 3, v78
	v_lshl_add_u32 v79, v89, 3, v79
	v_lshl_add_u32 v80, v92, 3, v80
	v_lshl_add_u32 v81, v93, 3, v81
	v_add_nc_u32_e32 v82, v8, v10
	v_lshlrev_b32_e32 v83, 3, v67
	v_mad_u32_u24 v84, v84, 3, v12
	v_mad_u32_u24 v85, v85, 3, v11
	;; [unrolled: 1-line block ×7, first 2 shown]
	v_cmp_lt_i32_e32 vcc_lo, v19, v21
	s_branch .LBB154_2
.LBB154_1:                              ;   in Loop: Header=BB154_2 Depth=1
	s_or_b32 exec_lo, exec_lo, s10
	s_wait_dscnt 0x0
	s_delay_alu instid0(VALU_DEP_1)
	v_cmp_lt_i64_e64 s10, v[11:12], v[9:10]
	v_cmp_le_i32_e64 s11, 0x300, v92
	v_cmp_gt_i32_e64 s12, 0x600, v91
	v_cndmask_b32_e64 v4, v2, v4, s8
	v_cndmask_b32_e64 v3, v1, v3, s8
	;; [unrolled: 1-line block ×3, first 2 shown]
	s_or_b32 s8, s11, s10
	v_cndmask_b32_e64 v5, v5, v7, s9
	s_wait_alu 0xfffe
	s_and_b32 s8, s12, s8
	s_add_co_i32 s17, s17, 1
	s_wait_alu 0xfffe
	v_cndmask_b32_e64 v2, v10, v12, s8
	v_cndmask_b32_e64 v1, v9, v11, s8
	s_cmp_eq_u32 s17, 10
	s_cbranch_scc1 .LBB154_110
.LBB154_2:                              ; =>This Loop Header: Depth=1
                                        ;     Child Loop BB154_4 Depth 2
                                        ;     Child Loop BB154_16 Depth 2
	;; [unrolled: 1-line block ×9, first 2 shown]
	s_wait_loadcnt 0x1
	v_cmp_gt_i64_e64 s8, v[5:6], v[3:4]
	s_wait_loadcnt 0x0
	s_barrier_signal -1
	s_barrier_wait -1
	global_inv scope:SCOPE_SE
	s_wait_alu 0xf1ff
	v_cndmask_b32_e64 v8, v4, v6, s8
	v_cndmask_b32_e64 v7, v3, v5, s8
	v_cmp_lt_i64_e64 s8, v[5:6], v[3:4]
	s_delay_alu instid0(VALU_DEP_2) | instskip(SKIP_1) | instid1(VALU_DEP_2)
	v_cmp_lt_i64_e64 s9, v[1:2], v[7:8]
	s_wait_alu 0xf1ff
	v_cndmask_b32_e64 v10, v4, v6, s8
	v_cndmask_b32_e64 v9, v3, v5, s8
	v_cndmask_b32_e64 v4, v6, v4, s8
	v_cndmask_b32_e64 v5, v5, v3, s8
	v_cndmask_b32_e64 v3, v2, v8, s9
	v_cndmask_b32_e64 v6, v7, v1, s9
	v_cmp_lt_i64_e64 s8, v[1:2], v[9:10]
	v_cndmask_b32_e64 v4, v4, v2, s9
	v_cndmask_b32_e64 v5, v5, v1, s9
	;; [unrolled: 1-line block ×3, first 2 shown]
	s_wait_alu 0xf1ff
	s_delay_alu instid0(VALU_DEP_3) | instskip(NEXT) | instid1(VALU_DEP_3)
	v_cndmask_b32_e64 v12, v4, v10, s8
	v_cndmask_b32_e64 v11, v5, v9, s8
	s_delay_alu instid0(VALU_DEP_3)
	v_cndmask_b32_e64 v10, v10, v2, s8
	v_cndmask_b32_e64 v9, v9, v6, s8
	v_mov_b32_e32 v5, v19
	v_cndmask_b32_e64 v2, v1, v7, s9
	ds_store_2addr_b64 v15, v[9:10], v[11:12] offset1:1
	ds_store_b64 v15, v[2:3] offset:16
	s_wait_loadcnt_dscnt 0x0
	s_barrier_signal -1
	s_barrier_wait -1
	global_inv scope:SCOPE_SE
	s_and_saveexec_b32 s9, vcc_lo
	s_cbranch_execz .LBB154_6
; %bb.3:                                ;   in Loop: Header=BB154_2 Depth=1
	v_mov_b32_e32 v5, v19
	v_mov_b32_e32 v1, v21
	s_mov_b32 s10, 0
.LBB154_4:                              ;   Parent Loop BB154_2 Depth=1
                                        ; =>  This Inner Loop Header: Depth=2
	s_delay_alu instid0(VALU_DEP_1) | instskip(NEXT) | instid1(VALU_DEP_1)
	v_sub_nc_u32_e32 v2, v1, v5
	v_lshrrev_b32_e32 v2, 1, v2
	s_delay_alu instid0(VALU_DEP_1) | instskip(NEXT) | instid1(VALU_DEP_1)
	v_add_nc_u32_e32 v4, v2, v5
	v_not_b32_e32 v2, v4
	v_lshl_add_u32 v3, v4, 3, v22
	s_delay_alu instid0(VALU_DEP_2)
	v_lshl_add_u32 v6, v2, 3, v74
	ds_load_b64 v[2:3], v3
	ds_load_b64 v[6:7], v6 offset:24
	s_wait_dscnt 0x0
	v_cmp_lt_i64_e64 s8, v[6:7], v[2:3]
	v_add_nc_u32_e32 v2, 1, v4
	s_wait_alu 0xf1ff
	s_delay_alu instid0(VALU_DEP_2) | instskip(NEXT) | instid1(VALU_DEP_2)
	v_cndmask_b32_e64 v1, v1, v4, s8
	v_cndmask_b32_e64 v5, v2, v5, s8
	s_delay_alu instid0(VALU_DEP_1) | instskip(SKIP_1) | instid1(SALU_CYCLE_1)
	v_cmp_ge_i32_e64 s8, v5, v1
	s_or_b32 s10, s8, s10
	s_and_not1_b32 exec_lo, exec_lo, s10
	s_cbranch_execnz .LBB154_4
; %bb.5:                                ;   in Loop: Header=BB154_2 Depth=1
	s_or_b32 exec_lo, exec_lo, s10
.LBB154_6:                              ;   in Loop: Header=BB154_2 Depth=1
	s_wait_alu 0xfffe
	s_or_b32 exec_lo, exec_lo, s9
	v_sub_nc_u32_e32 v1, v82, v5
	v_lshl_add_u32 v7, v5, 3, v22
	v_add_nc_u32_e32 v9, v5, v16
	v_sub_nc_u32_e32 v10, v25, v5
                                        ; implicit-def: $vgpr5_vgpr6
	s_delay_alu instid0(VALU_DEP_4)
	v_lshlrev_b32_e32 v11, 3, v1
	ds_load_b64 v[1:2], v7
	ds_load_b64 v[3:4], v11 offset:24
	v_cmp_le_i32_e64 s9, v13, v9
	v_cmp_gt_i32_e64 s10, v14, v10
	s_wait_dscnt 0x0
	v_cmp_lt_i64_e64 s8, v[3:4], v[1:2]
	s_or_b32 s8, s9, s8
	s_wait_alu 0xfffe
	s_and_b32 s8, s10, s8
	s_wait_alu 0xfffe
	s_xor_b32 s9, s8, -1
	s_wait_alu 0xfffe
	s_and_saveexec_b32 s10, s9
	s_delay_alu instid0(SALU_CYCLE_1)
	s_xor_b32 s9, exec_lo, s10
; %bb.7:                                ;   in Loop: Header=BB154_2 Depth=1
	ds_load_b64 v[5:6], v7 offset:8
                                        ; implicit-def: $vgpr11
; %bb.8:                                ;   in Loop: Header=BB154_2 Depth=1
	s_wait_alu 0xfffe
	s_or_saveexec_b32 s9, s9
	v_dual_mov_b32 v8, v4 :: v_dual_mov_b32 v7, v3
	s_wait_alu 0xfffe
	s_xor_b32 exec_lo, exec_lo, s9
	s_cbranch_execz .LBB154_10
; %bb.9:                                ;   in Loop: Header=BB154_2 Depth=1
	ds_load_b64 v[7:8], v11 offset:32
	s_wait_dscnt 0x1
	v_dual_mov_b32 v6, v2 :: v_dual_mov_b32 v5, v1
.LBB154_10:                             ;   in Loop: Header=BB154_2 Depth=1
	s_or_b32 exec_lo, exec_lo, s9
	v_add_nc_u32_e32 v11, 1, v9
	v_add_nc_u32_e32 v12, 1, v10
	s_wait_dscnt 0x0
	v_cmp_lt_i64_e64 s9, v[7:8], v[5:6]
	s_delay_alu instid0(VALU_DEP_3) | instskip(NEXT) | instid1(VALU_DEP_3)
	v_cndmask_b32_e64 v92, v11, v9, s8
	v_cndmask_b32_e64 v91, v10, v12, s8
                                        ; implicit-def: $vgpr9_vgpr10
	s_delay_alu instid0(VALU_DEP_2) | instskip(NEXT) | instid1(VALU_DEP_2)
	v_cmp_ge_i32_e64 s10, v92, v13
	v_cmp_lt_i32_e64 s11, v91, v14
	s_or_b32 s9, s10, s9
	s_wait_alu 0xfffe
	s_and_b32 s9, s11, s9
	s_wait_alu 0xfffe
	s_xor_b32 s10, s9, -1
	s_delay_alu instid0(SALU_CYCLE_1) | instskip(NEXT) | instid1(SALU_CYCLE_1)
	s_and_saveexec_b32 s11, s10
	s_xor_b32 s10, exec_lo, s11
; %bb.11:                               ;   in Loop: Header=BB154_2 Depth=1
	v_lshlrev_b32_e32 v9, 3, v92
	ds_load_b64 v[9:10], v9 offset:8
; %bb.12:                               ;   in Loop: Header=BB154_2 Depth=1
	s_or_saveexec_b32 s10, s10
	v_dual_mov_b32 v12, v8 :: v_dual_mov_b32 v11, v7
	s_xor_b32 exec_lo, exec_lo, s10
	s_cbranch_execz .LBB154_14
; %bb.13:                               ;   in Loop: Header=BB154_2 Depth=1
	s_wait_dscnt 0x0
	v_lshlrev_b32_e32 v9, 3, v91
	ds_load_b64 v[11:12], v9 offset:8
	v_dual_mov_b32 v10, v6 :: v_dual_mov_b32 v9, v5
.LBB154_14:                             ;   in Loop: Header=BB154_2 Depth=1
	s_or_b32 exec_lo, exec_lo, s10
	v_add_nc_u32_e32 v93, 1, v92
	v_add_nc_u32_e32 v94, 1, v91
	v_cndmask_b32_e64 v8, v6, v8, s9
	v_cndmask_b32_e64 v7, v5, v7, s9
	v_mov_b32_e32 v5, v23
	v_cndmask_b32_e64 v92, v93, v92, s9
	v_cndmask_b32_e64 v6, v91, v94, s9
	s_wait_dscnt 0x0
	v_cmp_lt_i64_e64 s9, v[11:12], v[9:10]
	v_cndmask_b32_e64 v2, v2, v4, s8
	v_cndmask_b32_e64 v1, v1, v3, s8
	v_cmp_ge_i32_e64 s10, v92, v13
	v_cmp_lt_i32_e64 s11, v6, v14
	s_wait_loadcnt 0x0
	s_barrier_signal -1
	s_barrier_wait -1
	s_or_b32 s8, s10, s9
	global_inv scope:SCOPE_SE
	s_wait_alu 0xfffe
	s_and_b32 s8, s11, s8
	s_wait_alu 0xfffe
	v_cndmask_b32_e64 v4, v10, v12, s8
	v_cndmask_b32_e64 v3, v9, v11, s8
	ds_store_2addr_b64 v15, v[1:2], v[7:8] offset1:1
	ds_store_b64 v15, v[3:4] offset:16
	s_wait_loadcnt_dscnt 0x0
	s_barrier_signal -1
	s_barrier_wait -1
	global_inv scope:SCOPE_SE
	s_and_saveexec_b32 s9, s0
	s_cbranch_execz .LBB154_18
; %bb.15:                               ;   in Loop: Header=BB154_2 Depth=1
	v_mov_b32_e32 v5, v23
	v_mov_b32_e32 v1, v24
	s_mov_b32 s10, 0
.LBB154_16:                             ;   Parent Loop BB154_2 Depth=1
                                        ; =>  This Inner Loop Header: Depth=2
	s_delay_alu instid0(VALU_DEP_1) | instskip(NEXT) | instid1(VALU_DEP_1)
	v_sub_nc_u32_e32 v2, v1, v5
	v_lshrrev_b32_e32 v2, 1, v2
	s_delay_alu instid0(VALU_DEP_1) | instskip(NEXT) | instid1(VALU_DEP_1)
	v_add_nc_u32_e32 v4, v2, v5
	v_not_b32_e32 v2, v4
	v_lshl_add_u32 v3, v4, 3, v26
	s_delay_alu instid0(VALU_DEP_2)
	v_lshl_add_u32 v6, v2, 3, v75
	ds_load_b64 v[2:3], v3
	ds_load_b64 v[6:7], v6 offset:48
	s_wait_dscnt 0x0
	v_cmp_lt_i64_e64 s8, v[6:7], v[2:3]
	v_add_nc_u32_e32 v2, 1, v4
	s_wait_alu 0xf1ff
	s_delay_alu instid0(VALU_DEP_2) | instskip(NEXT) | instid1(VALU_DEP_2)
	v_cndmask_b32_e64 v1, v1, v4, s8
	v_cndmask_b32_e64 v5, v2, v5, s8
	s_delay_alu instid0(VALU_DEP_1) | instskip(SKIP_1) | instid1(SALU_CYCLE_1)
	v_cmp_ge_i32_e64 s8, v5, v1
	s_or_b32 s10, s8, s10
	s_and_not1_b32 exec_lo, exec_lo, s10
	s_cbranch_execnz .LBB154_16
; %bb.17:                               ;   in Loop: Header=BB154_2 Depth=1
	s_or_b32 exec_lo, exec_lo, s10
.LBB154_18:                             ;   in Loop: Header=BB154_2 Depth=1
	s_wait_alu 0xfffe
	s_or_b32 exec_lo, exec_lo, s9
	v_sub_nc_u32_e32 v1, v84, v5
	v_lshl_add_u32 v7, v5, 3, v26
	v_add_nc_u32_e32 v9, v5, v20
	v_sub_nc_u32_e32 v10, v30, v5
                                        ; implicit-def: $vgpr5_vgpr6
	s_delay_alu instid0(VALU_DEP_4)
	v_lshlrev_b32_e32 v11, 3, v1
	ds_load_b64 v[1:2], v7
	ds_load_b64 v[3:4], v11 offset:48
	v_cmp_le_i32_e64 s9, v17, v9
	v_cmp_gt_i32_e64 s10, v18, v10
	s_wait_dscnt 0x0
	v_cmp_lt_i64_e64 s8, v[3:4], v[1:2]
	s_or_b32 s8, s9, s8
	s_wait_alu 0xfffe
	s_and_b32 s8, s10, s8
	s_wait_alu 0xfffe
	s_xor_b32 s9, s8, -1
	s_wait_alu 0xfffe
	s_and_saveexec_b32 s10, s9
	s_delay_alu instid0(SALU_CYCLE_1)
	s_xor_b32 s9, exec_lo, s10
; %bb.19:                               ;   in Loop: Header=BB154_2 Depth=1
	ds_load_b64 v[5:6], v7 offset:8
                                        ; implicit-def: $vgpr11
; %bb.20:                               ;   in Loop: Header=BB154_2 Depth=1
	s_wait_alu 0xfffe
	s_or_saveexec_b32 s9, s9
	v_dual_mov_b32 v8, v4 :: v_dual_mov_b32 v7, v3
	s_wait_alu 0xfffe
	s_xor_b32 exec_lo, exec_lo, s9
	s_cbranch_execz .LBB154_22
; %bb.21:                               ;   in Loop: Header=BB154_2 Depth=1
	ds_load_b64 v[7:8], v11 offset:56
	s_wait_dscnt 0x1
	v_dual_mov_b32 v6, v2 :: v_dual_mov_b32 v5, v1
.LBB154_22:                             ;   in Loop: Header=BB154_2 Depth=1
	s_or_b32 exec_lo, exec_lo, s9
	v_add_nc_u32_e32 v11, 1, v9
	v_add_nc_u32_e32 v12, 1, v10
	s_wait_dscnt 0x0
	v_cmp_lt_i64_e64 s9, v[7:8], v[5:6]
	s_delay_alu instid0(VALU_DEP_3) | instskip(NEXT) | instid1(VALU_DEP_3)
	v_cndmask_b32_e64 v92, v11, v9, s8
	v_cndmask_b32_e64 v91, v10, v12, s8
                                        ; implicit-def: $vgpr9_vgpr10
	s_delay_alu instid0(VALU_DEP_2) | instskip(NEXT) | instid1(VALU_DEP_2)
	v_cmp_ge_i32_e64 s10, v92, v17
	v_cmp_lt_i32_e64 s11, v91, v18
	s_or_b32 s9, s10, s9
	s_wait_alu 0xfffe
	s_and_b32 s9, s11, s9
	s_wait_alu 0xfffe
	s_xor_b32 s10, s9, -1
	s_delay_alu instid0(SALU_CYCLE_1) | instskip(NEXT) | instid1(SALU_CYCLE_1)
	s_and_saveexec_b32 s11, s10
	s_xor_b32 s10, exec_lo, s11
; %bb.23:                               ;   in Loop: Header=BB154_2 Depth=1
	v_lshlrev_b32_e32 v9, 3, v92
	ds_load_b64 v[9:10], v9 offset:8
; %bb.24:                               ;   in Loop: Header=BB154_2 Depth=1
	s_or_saveexec_b32 s10, s10
	v_dual_mov_b32 v12, v8 :: v_dual_mov_b32 v11, v7
	s_xor_b32 exec_lo, exec_lo, s10
	s_cbranch_execz .LBB154_26
; %bb.25:                               ;   in Loop: Header=BB154_2 Depth=1
	s_wait_dscnt 0x0
	v_lshlrev_b32_e32 v9, 3, v91
	ds_load_b64 v[11:12], v9 offset:8
	v_dual_mov_b32 v10, v6 :: v_dual_mov_b32 v9, v5
.LBB154_26:                             ;   in Loop: Header=BB154_2 Depth=1
	s_or_b32 exec_lo, exec_lo, s10
	v_add_nc_u32_e32 v93, 1, v92
	v_add_nc_u32_e32 v94, 1, v91
	v_cndmask_b32_e64 v8, v6, v8, s9
	v_cndmask_b32_e64 v7, v5, v7, s9
	v_mov_b32_e32 v5, v34
	v_cndmask_b32_e64 v92, v93, v92, s9
	v_cndmask_b32_e64 v6, v91, v94, s9
	s_wait_dscnt 0x0
	v_cmp_lt_i64_e64 s9, v[11:12], v[9:10]
	v_cndmask_b32_e64 v2, v2, v4, s8
	v_cndmask_b32_e64 v1, v1, v3, s8
	v_cmp_ge_i32_e64 s10, v92, v17
	v_cmp_lt_i32_e64 s11, v6, v18
	s_wait_loadcnt 0x0
	s_barrier_signal -1
	s_barrier_wait -1
	s_or_b32 s8, s10, s9
	global_inv scope:SCOPE_SE
	s_wait_alu 0xfffe
	s_and_b32 s8, s11, s8
	s_wait_alu 0xfffe
	v_cndmask_b32_e64 v4, v10, v12, s8
	v_cndmask_b32_e64 v3, v9, v11, s8
	ds_store_2addr_b64 v15, v[1:2], v[7:8] offset1:1
	ds_store_b64 v15, v[3:4] offset:16
	s_wait_loadcnt_dscnt 0x0
	s_barrier_signal -1
	s_barrier_wait -1
	global_inv scope:SCOPE_SE
	s_and_saveexec_b32 s9, s1
	s_cbranch_execz .LBB154_30
; %bb.27:                               ;   in Loop: Header=BB154_2 Depth=1
	v_mov_b32_e32 v5, v34
	v_mov_b32_e32 v1, v35
	s_mov_b32 s10, 0
.LBB154_28:                             ;   Parent Loop BB154_2 Depth=1
                                        ; =>  This Inner Loop Header: Depth=2
	s_delay_alu instid0(VALU_DEP_1) | instskip(NEXT) | instid1(VALU_DEP_1)
	v_sub_nc_u32_e32 v2, v1, v5
	v_lshrrev_b32_e32 v2, 1, v2
	s_delay_alu instid0(VALU_DEP_1) | instskip(NEXT) | instid1(VALU_DEP_1)
	v_add_nc_u32_e32 v4, v2, v5
	v_not_b32_e32 v2, v4
	v_lshl_add_u32 v3, v4, 3, v31
	s_delay_alu instid0(VALU_DEP_2)
	v_lshl_add_u32 v6, v2, 3, v76
	ds_load_b64 v[2:3], v3
	ds_load_b64 v[6:7], v6 offset:96
	s_wait_dscnt 0x0
	v_cmp_lt_i64_e64 s8, v[6:7], v[2:3]
	v_add_nc_u32_e32 v2, 1, v4
	s_wait_alu 0xf1ff
	s_delay_alu instid0(VALU_DEP_2) | instskip(NEXT) | instid1(VALU_DEP_2)
	v_cndmask_b32_e64 v1, v1, v4, s8
	v_cndmask_b32_e64 v5, v2, v5, s8
	s_delay_alu instid0(VALU_DEP_1) | instskip(SKIP_1) | instid1(SALU_CYCLE_1)
	v_cmp_ge_i32_e64 s8, v5, v1
	s_or_b32 s10, s8, s10
	s_and_not1_b32 exec_lo, exec_lo, s10
	s_cbranch_execnz .LBB154_28
; %bb.29:                               ;   in Loop: Header=BB154_2 Depth=1
	s_or_b32 exec_lo, exec_lo, s10
.LBB154_30:                             ;   in Loop: Header=BB154_2 Depth=1
	s_wait_alu 0xfffe
	s_or_b32 exec_lo, exec_lo, s9
	v_sub_nc_u32_e32 v1, v85, v5
	v_lshl_add_u32 v7, v5, 3, v31
	v_add_nc_u32_e32 v9, v5, v29
	v_sub_nc_u32_e32 v10, v37, v5
                                        ; implicit-def: $vgpr5_vgpr6
	s_delay_alu instid0(VALU_DEP_4)
	v_lshlrev_b32_e32 v11, 3, v1
	ds_load_b64 v[1:2], v7
	ds_load_b64 v[3:4], v11 offset:96
	v_cmp_le_i32_e64 s9, v27, v9
	v_cmp_gt_i32_e64 s10, v28, v10
	s_wait_dscnt 0x0
	v_cmp_lt_i64_e64 s8, v[3:4], v[1:2]
	s_or_b32 s8, s9, s8
	s_wait_alu 0xfffe
	s_and_b32 s8, s10, s8
	s_wait_alu 0xfffe
	s_xor_b32 s9, s8, -1
	s_wait_alu 0xfffe
	s_and_saveexec_b32 s10, s9
	s_delay_alu instid0(SALU_CYCLE_1)
	s_xor_b32 s9, exec_lo, s10
; %bb.31:                               ;   in Loop: Header=BB154_2 Depth=1
	ds_load_b64 v[5:6], v7 offset:8
                                        ; implicit-def: $vgpr11
; %bb.32:                               ;   in Loop: Header=BB154_2 Depth=1
	s_wait_alu 0xfffe
	s_or_saveexec_b32 s9, s9
	v_dual_mov_b32 v8, v4 :: v_dual_mov_b32 v7, v3
	s_wait_alu 0xfffe
	s_xor_b32 exec_lo, exec_lo, s9
	s_cbranch_execz .LBB154_34
; %bb.33:                               ;   in Loop: Header=BB154_2 Depth=1
	ds_load_b64 v[7:8], v11 offset:104
	s_wait_dscnt 0x1
	v_dual_mov_b32 v6, v2 :: v_dual_mov_b32 v5, v1
.LBB154_34:                             ;   in Loop: Header=BB154_2 Depth=1
	s_or_b32 exec_lo, exec_lo, s9
	v_add_nc_u32_e32 v11, 1, v9
	v_add_nc_u32_e32 v12, 1, v10
	s_wait_dscnt 0x0
	v_cmp_lt_i64_e64 s9, v[7:8], v[5:6]
	s_delay_alu instid0(VALU_DEP_3) | instskip(NEXT) | instid1(VALU_DEP_3)
	v_cndmask_b32_e64 v92, v11, v9, s8
	v_cndmask_b32_e64 v91, v10, v12, s8
                                        ; implicit-def: $vgpr9_vgpr10
	s_delay_alu instid0(VALU_DEP_2) | instskip(NEXT) | instid1(VALU_DEP_2)
	v_cmp_ge_i32_e64 s10, v92, v27
	v_cmp_lt_i32_e64 s11, v91, v28
	s_or_b32 s9, s10, s9
	s_wait_alu 0xfffe
	s_and_b32 s9, s11, s9
	s_wait_alu 0xfffe
	s_xor_b32 s10, s9, -1
	s_delay_alu instid0(SALU_CYCLE_1) | instskip(NEXT) | instid1(SALU_CYCLE_1)
	s_and_saveexec_b32 s11, s10
	s_xor_b32 s10, exec_lo, s11
; %bb.35:                               ;   in Loop: Header=BB154_2 Depth=1
	v_lshlrev_b32_e32 v9, 3, v92
	ds_load_b64 v[9:10], v9 offset:8
; %bb.36:                               ;   in Loop: Header=BB154_2 Depth=1
	s_or_saveexec_b32 s10, s10
	v_dual_mov_b32 v12, v8 :: v_dual_mov_b32 v11, v7
	s_xor_b32 exec_lo, exec_lo, s10
	s_cbranch_execz .LBB154_38
; %bb.37:                               ;   in Loop: Header=BB154_2 Depth=1
	s_wait_dscnt 0x0
	v_lshlrev_b32_e32 v9, 3, v91
	ds_load_b64 v[11:12], v9 offset:8
	v_dual_mov_b32 v10, v6 :: v_dual_mov_b32 v9, v5
.LBB154_38:                             ;   in Loop: Header=BB154_2 Depth=1
	s_or_b32 exec_lo, exec_lo, s10
	v_add_nc_u32_e32 v93, 1, v92
	v_add_nc_u32_e32 v94, 1, v91
	v_cndmask_b32_e64 v8, v6, v8, s9
	v_cndmask_b32_e64 v7, v5, v7, s9
	v_mov_b32_e32 v5, v39
	v_cndmask_b32_e64 v92, v93, v92, s9
	v_cndmask_b32_e64 v6, v91, v94, s9
	s_wait_dscnt 0x0
	v_cmp_lt_i64_e64 s9, v[11:12], v[9:10]
	v_cndmask_b32_e64 v2, v2, v4, s8
	v_cndmask_b32_e64 v1, v1, v3, s8
	v_cmp_ge_i32_e64 s10, v92, v27
	v_cmp_lt_i32_e64 s11, v6, v28
	s_wait_loadcnt 0x0
	s_barrier_signal -1
	s_barrier_wait -1
	s_or_b32 s8, s10, s9
	global_inv scope:SCOPE_SE
	s_wait_alu 0xfffe
	s_and_b32 s8, s11, s8
	s_wait_alu 0xfffe
	v_cndmask_b32_e64 v4, v10, v12, s8
	v_cndmask_b32_e64 v3, v9, v11, s8
	ds_store_2addr_b64 v15, v[1:2], v[7:8] offset1:1
	ds_store_b64 v15, v[3:4] offset:16
	s_wait_loadcnt_dscnt 0x0
	s_barrier_signal -1
	s_barrier_wait -1
	global_inv scope:SCOPE_SE
	s_and_saveexec_b32 s9, s2
	s_cbranch_execz .LBB154_42
; %bb.39:                               ;   in Loop: Header=BB154_2 Depth=1
	v_mov_b32_e32 v5, v39
	v_mov_b32_e32 v1, v40
	s_mov_b32 s10, 0
.LBB154_40:                             ;   Parent Loop BB154_2 Depth=1
                                        ; =>  This Inner Loop Header: Depth=2
	s_delay_alu instid0(VALU_DEP_1) | instskip(NEXT) | instid1(VALU_DEP_1)
	v_sub_nc_u32_e32 v2, v1, v5
	v_lshrrev_b32_e32 v2, 1, v2
	s_delay_alu instid0(VALU_DEP_1) | instskip(NEXT) | instid1(VALU_DEP_1)
	v_add_nc_u32_e32 v4, v2, v5
	v_not_b32_e32 v2, v4
	v_lshl_add_u32 v3, v4, 3, v38
	s_delay_alu instid0(VALU_DEP_2)
	v_lshl_add_u32 v6, v2, 3, v77
	ds_load_b64 v[2:3], v3
	ds_load_b64 v[6:7], v6 offset:192
	s_wait_dscnt 0x0
	v_cmp_lt_i64_e64 s8, v[6:7], v[2:3]
	v_add_nc_u32_e32 v2, 1, v4
	s_wait_alu 0xf1ff
	s_delay_alu instid0(VALU_DEP_2) | instskip(NEXT) | instid1(VALU_DEP_2)
	v_cndmask_b32_e64 v1, v1, v4, s8
	v_cndmask_b32_e64 v5, v2, v5, s8
	s_delay_alu instid0(VALU_DEP_1) | instskip(SKIP_1) | instid1(SALU_CYCLE_1)
	v_cmp_ge_i32_e64 s8, v5, v1
	s_or_b32 s10, s8, s10
	s_and_not1_b32 exec_lo, exec_lo, s10
	s_cbranch_execnz .LBB154_40
; %bb.41:                               ;   in Loop: Header=BB154_2 Depth=1
	s_or_b32 exec_lo, exec_lo, s10
.LBB154_42:                             ;   in Loop: Header=BB154_2 Depth=1
	s_wait_alu 0xfffe
	s_or_b32 exec_lo, exec_lo, s9
	v_sub_nc_u32_e32 v1, v86, v5
	v_lshl_add_u32 v7, v5, 3, v38
	v_add_nc_u32_e32 v9, v5, v36
	v_sub_nc_u32_e32 v10, v49, v5
                                        ; implicit-def: $vgpr5_vgpr6
	s_delay_alu instid0(VALU_DEP_4)
	v_lshlrev_b32_e32 v11, 3, v1
	ds_load_b64 v[1:2], v7
	ds_load_b64 v[3:4], v11 offset:192
	v_cmp_le_i32_e64 s9, v32, v9
	v_cmp_gt_i32_e64 s10, v33, v10
	s_wait_dscnt 0x0
	v_cmp_lt_i64_e64 s8, v[3:4], v[1:2]
	s_or_b32 s8, s9, s8
	s_wait_alu 0xfffe
	s_and_b32 s8, s10, s8
	s_wait_alu 0xfffe
	s_xor_b32 s9, s8, -1
	s_wait_alu 0xfffe
	s_and_saveexec_b32 s10, s9
	s_delay_alu instid0(SALU_CYCLE_1)
	s_xor_b32 s9, exec_lo, s10
; %bb.43:                               ;   in Loop: Header=BB154_2 Depth=1
	ds_load_b64 v[5:6], v7 offset:8
                                        ; implicit-def: $vgpr11
; %bb.44:                               ;   in Loop: Header=BB154_2 Depth=1
	s_wait_alu 0xfffe
	s_or_saveexec_b32 s9, s9
	v_dual_mov_b32 v8, v4 :: v_dual_mov_b32 v7, v3
	s_wait_alu 0xfffe
	s_xor_b32 exec_lo, exec_lo, s9
	s_cbranch_execz .LBB154_46
; %bb.45:                               ;   in Loop: Header=BB154_2 Depth=1
	ds_load_b64 v[7:8], v11 offset:200
	s_wait_dscnt 0x1
	v_dual_mov_b32 v6, v2 :: v_dual_mov_b32 v5, v1
.LBB154_46:                             ;   in Loop: Header=BB154_2 Depth=1
	s_or_b32 exec_lo, exec_lo, s9
	v_add_nc_u32_e32 v11, 1, v9
	v_add_nc_u32_e32 v12, 1, v10
	s_wait_dscnt 0x0
	v_cmp_lt_i64_e64 s9, v[7:8], v[5:6]
	s_delay_alu instid0(VALU_DEP_3) | instskip(NEXT) | instid1(VALU_DEP_3)
	v_cndmask_b32_e64 v92, v11, v9, s8
	v_cndmask_b32_e64 v91, v10, v12, s8
                                        ; implicit-def: $vgpr9_vgpr10
	s_delay_alu instid0(VALU_DEP_2) | instskip(NEXT) | instid1(VALU_DEP_2)
	v_cmp_ge_i32_e64 s10, v92, v32
	v_cmp_lt_i32_e64 s11, v91, v33
	s_or_b32 s9, s10, s9
	s_wait_alu 0xfffe
	s_and_b32 s9, s11, s9
	s_wait_alu 0xfffe
	s_xor_b32 s10, s9, -1
	s_delay_alu instid0(SALU_CYCLE_1) | instskip(NEXT) | instid1(SALU_CYCLE_1)
	s_and_saveexec_b32 s11, s10
	s_xor_b32 s10, exec_lo, s11
; %bb.47:                               ;   in Loop: Header=BB154_2 Depth=1
	v_lshlrev_b32_e32 v9, 3, v92
	ds_load_b64 v[9:10], v9 offset:8
; %bb.48:                               ;   in Loop: Header=BB154_2 Depth=1
	s_or_saveexec_b32 s10, s10
	v_dual_mov_b32 v12, v8 :: v_dual_mov_b32 v11, v7
	s_xor_b32 exec_lo, exec_lo, s10
	s_cbranch_execz .LBB154_50
; %bb.49:                               ;   in Loop: Header=BB154_2 Depth=1
	s_wait_dscnt 0x0
	v_lshlrev_b32_e32 v9, 3, v91
	ds_load_b64 v[11:12], v9 offset:8
	v_dual_mov_b32 v10, v6 :: v_dual_mov_b32 v9, v5
.LBB154_50:                             ;   in Loop: Header=BB154_2 Depth=1
	s_or_b32 exec_lo, exec_lo, s10
	v_add_nc_u32_e32 v93, 1, v92
	v_add_nc_u32_e32 v94, 1, v91
	v_cndmask_b32_e64 v8, v6, v8, s9
	v_cndmask_b32_e64 v7, v5, v7, s9
	v_mov_b32_e32 v5, v46
	v_cndmask_b32_e64 v92, v93, v92, s9
	v_cndmask_b32_e64 v6, v91, v94, s9
	s_wait_dscnt 0x0
	v_cmp_lt_i64_e64 s9, v[11:12], v[9:10]
	v_cndmask_b32_e64 v2, v2, v4, s8
	v_cndmask_b32_e64 v1, v1, v3, s8
	v_cmp_ge_i32_e64 s10, v92, v32
	v_cmp_lt_i32_e64 s11, v6, v33
	s_wait_loadcnt 0x0
	s_barrier_signal -1
	s_barrier_wait -1
	s_or_b32 s8, s10, s9
	global_inv scope:SCOPE_SE
	s_wait_alu 0xfffe
	s_and_b32 s8, s11, s8
	s_wait_alu 0xfffe
	v_cndmask_b32_e64 v4, v10, v12, s8
	v_cndmask_b32_e64 v3, v9, v11, s8
	ds_store_2addr_b64 v15, v[1:2], v[7:8] offset1:1
	ds_store_b64 v15, v[3:4] offset:16
	s_wait_loadcnt_dscnt 0x0
	s_barrier_signal -1
	s_barrier_wait -1
	global_inv scope:SCOPE_SE
	s_and_saveexec_b32 s9, s3
	s_cbranch_execz .LBB154_54
; %bb.51:                               ;   in Loop: Header=BB154_2 Depth=1
	v_mov_b32_e32 v5, v46
	v_mov_b32_e32 v1, v48
	s_mov_b32 s10, 0
.LBB154_52:                             ;   Parent Loop BB154_2 Depth=1
                                        ; =>  This Inner Loop Header: Depth=2
	s_delay_alu instid0(VALU_DEP_1) | instskip(NEXT) | instid1(VALU_DEP_1)
	v_sub_nc_u32_e32 v2, v1, v5
	v_lshrrev_b32_e32 v2, 1, v2
	s_delay_alu instid0(VALU_DEP_1) | instskip(NEXT) | instid1(VALU_DEP_1)
	v_add_nc_u32_e32 v4, v2, v5
	v_not_b32_e32 v2, v4
	v_lshl_add_u32 v3, v4, 3, v50
	s_delay_alu instid0(VALU_DEP_2)
	v_lshl_add_u32 v6, v2, 3, v78
	ds_load_b64 v[2:3], v3
	ds_load_b64 v[6:7], v6 offset:384
	s_wait_dscnt 0x0
	v_cmp_lt_i64_e64 s8, v[6:7], v[2:3]
	v_add_nc_u32_e32 v2, 1, v4
	s_wait_alu 0xf1ff
	s_delay_alu instid0(VALU_DEP_2) | instskip(NEXT) | instid1(VALU_DEP_2)
	v_cndmask_b32_e64 v1, v1, v4, s8
	v_cndmask_b32_e64 v5, v2, v5, s8
	s_delay_alu instid0(VALU_DEP_1) | instskip(SKIP_1) | instid1(SALU_CYCLE_1)
	v_cmp_ge_i32_e64 s8, v5, v1
	s_or_b32 s10, s8, s10
	s_and_not1_b32 exec_lo, exec_lo, s10
	s_cbranch_execnz .LBB154_52
; %bb.53:                               ;   in Loop: Header=BB154_2 Depth=1
	s_or_b32 exec_lo, exec_lo, s10
.LBB154_54:                             ;   in Loop: Header=BB154_2 Depth=1
	s_wait_alu 0xfffe
	s_or_b32 exec_lo, exec_lo, s9
	v_sub_nc_u32_e32 v1, v87, v5
	v_lshl_add_u32 v7, v5, 3, v50
	v_add_nc_u32_e32 v9, v5, v43
	v_sub_nc_u32_e32 v10, v53, v5
                                        ; implicit-def: $vgpr5_vgpr6
	s_delay_alu instid0(VALU_DEP_4)
	v_lshlrev_b32_e32 v11, 3, v1
	ds_load_b64 v[1:2], v7
	ds_load_b64 v[3:4], v11 offset:384
	v_cmp_le_i32_e64 s9, v41, v9
	v_cmp_gt_i32_e64 s10, v42, v10
	s_wait_dscnt 0x0
	v_cmp_lt_i64_e64 s8, v[3:4], v[1:2]
	s_or_b32 s8, s9, s8
	s_wait_alu 0xfffe
	s_and_b32 s8, s10, s8
	s_wait_alu 0xfffe
	s_xor_b32 s9, s8, -1
	s_wait_alu 0xfffe
	s_and_saveexec_b32 s10, s9
	s_delay_alu instid0(SALU_CYCLE_1)
	s_xor_b32 s9, exec_lo, s10
; %bb.55:                               ;   in Loop: Header=BB154_2 Depth=1
	ds_load_b64 v[5:6], v7 offset:8
                                        ; implicit-def: $vgpr11
; %bb.56:                               ;   in Loop: Header=BB154_2 Depth=1
	s_wait_alu 0xfffe
	s_or_saveexec_b32 s9, s9
	v_dual_mov_b32 v8, v4 :: v_dual_mov_b32 v7, v3
	s_wait_alu 0xfffe
	s_xor_b32 exec_lo, exec_lo, s9
	s_cbranch_execz .LBB154_58
; %bb.57:                               ;   in Loop: Header=BB154_2 Depth=1
	ds_load_b64 v[7:8], v11 offset:392
	s_wait_dscnt 0x1
	v_dual_mov_b32 v6, v2 :: v_dual_mov_b32 v5, v1
.LBB154_58:                             ;   in Loop: Header=BB154_2 Depth=1
	s_or_b32 exec_lo, exec_lo, s9
	v_add_nc_u32_e32 v11, 1, v9
	v_add_nc_u32_e32 v12, 1, v10
	s_wait_dscnt 0x0
	v_cmp_lt_i64_e64 s9, v[7:8], v[5:6]
	s_delay_alu instid0(VALU_DEP_3) | instskip(NEXT) | instid1(VALU_DEP_3)
	v_cndmask_b32_e64 v92, v11, v9, s8
	v_cndmask_b32_e64 v91, v10, v12, s8
                                        ; implicit-def: $vgpr9_vgpr10
	s_delay_alu instid0(VALU_DEP_2) | instskip(NEXT) | instid1(VALU_DEP_2)
	v_cmp_ge_i32_e64 s10, v92, v41
	v_cmp_lt_i32_e64 s11, v91, v42
	s_or_b32 s9, s10, s9
	s_wait_alu 0xfffe
	s_and_b32 s9, s11, s9
	s_wait_alu 0xfffe
	s_xor_b32 s10, s9, -1
	s_delay_alu instid0(SALU_CYCLE_1) | instskip(NEXT) | instid1(SALU_CYCLE_1)
	s_and_saveexec_b32 s11, s10
	s_xor_b32 s10, exec_lo, s11
; %bb.59:                               ;   in Loop: Header=BB154_2 Depth=1
	v_lshlrev_b32_e32 v9, 3, v92
	ds_load_b64 v[9:10], v9 offset:8
; %bb.60:                               ;   in Loop: Header=BB154_2 Depth=1
	s_or_saveexec_b32 s10, s10
	v_dual_mov_b32 v12, v8 :: v_dual_mov_b32 v11, v7
	s_xor_b32 exec_lo, exec_lo, s10
	s_cbranch_execz .LBB154_62
; %bb.61:                               ;   in Loop: Header=BB154_2 Depth=1
	s_wait_dscnt 0x0
	v_lshlrev_b32_e32 v9, 3, v91
	ds_load_b64 v[11:12], v9 offset:8
	v_dual_mov_b32 v10, v6 :: v_dual_mov_b32 v9, v5
.LBB154_62:                             ;   in Loop: Header=BB154_2 Depth=1
	s_or_b32 exec_lo, exec_lo, s10
	v_add_nc_u32_e32 v93, 1, v92
	v_add_nc_u32_e32 v94, 1, v91
	v_cndmask_b32_e64 v8, v6, v8, s9
	v_cndmask_b32_e64 v7, v5, v7, s9
	v_mov_b32_e32 v5, v51
	v_cndmask_b32_e64 v92, v93, v92, s9
	v_cndmask_b32_e64 v6, v91, v94, s9
	s_wait_dscnt 0x0
	v_cmp_lt_i64_e64 s9, v[11:12], v[9:10]
	v_cndmask_b32_e64 v2, v2, v4, s8
	v_cndmask_b32_e64 v1, v1, v3, s8
	v_cmp_ge_i32_e64 s10, v92, v41
	v_cmp_lt_i32_e64 s11, v6, v42
	s_wait_loadcnt 0x0
	s_barrier_signal -1
	s_barrier_wait -1
	s_or_b32 s8, s10, s9
	global_inv scope:SCOPE_SE
	s_wait_alu 0xfffe
	s_and_b32 s8, s11, s8
	s_wait_alu 0xfffe
	v_cndmask_b32_e64 v4, v10, v12, s8
	v_cndmask_b32_e64 v3, v9, v11, s8
	ds_store_2addr_b64 v15, v[1:2], v[7:8] offset1:1
	ds_store_b64 v15, v[3:4] offset:16
	s_wait_loadcnt_dscnt 0x0
	s_barrier_signal -1
	s_barrier_wait -1
	global_inv scope:SCOPE_SE
	s_and_saveexec_b32 s9, s4
	s_cbranch_execz .LBB154_66
; %bb.63:                               ;   in Loop: Header=BB154_2 Depth=1
	v_mov_b32_e32 v5, v51
	v_mov_b32_e32 v1, v52
	s_mov_b32 s10, 0
.LBB154_64:                             ;   Parent Loop BB154_2 Depth=1
                                        ; =>  This Inner Loop Header: Depth=2
	s_delay_alu instid0(VALU_DEP_1) | instskip(NEXT) | instid1(VALU_DEP_1)
	v_sub_nc_u32_e32 v2, v1, v5
	v_lshrrev_b32_e32 v2, 1, v2
	s_delay_alu instid0(VALU_DEP_1) | instskip(NEXT) | instid1(VALU_DEP_1)
	v_add_nc_u32_e32 v4, v2, v5
	v_not_b32_e32 v2, v4
	v_lshl_add_u32 v3, v4, 3, v54
	s_delay_alu instid0(VALU_DEP_2)
	v_lshl_add_u32 v6, v2, 3, v79
	ds_load_b64 v[2:3], v3
	ds_load_b64 v[6:7], v6 offset:768
	s_wait_dscnt 0x0
	v_cmp_lt_i64_e64 s8, v[6:7], v[2:3]
	v_add_nc_u32_e32 v2, 1, v4
	s_wait_alu 0xf1ff
	s_delay_alu instid0(VALU_DEP_2) | instskip(NEXT) | instid1(VALU_DEP_2)
	v_cndmask_b32_e64 v1, v1, v4, s8
	v_cndmask_b32_e64 v5, v2, v5, s8
	s_delay_alu instid0(VALU_DEP_1) | instskip(SKIP_1) | instid1(SALU_CYCLE_1)
	v_cmp_ge_i32_e64 s8, v5, v1
	s_or_b32 s10, s8, s10
	s_and_not1_b32 exec_lo, exec_lo, s10
	s_cbranch_execnz .LBB154_64
; %bb.65:                               ;   in Loop: Header=BB154_2 Depth=1
	s_or_b32 exec_lo, exec_lo, s10
.LBB154_66:                             ;   in Loop: Header=BB154_2 Depth=1
	s_wait_alu 0xfffe
	s_or_b32 exec_lo, exec_lo, s9
	v_sub_nc_u32_e32 v1, v88, v5
	v_lshl_add_u32 v7, v5, 3, v54
	v_add_nc_u32_e32 v9, v5, v47
	v_sub_nc_u32_e32 v10, v55, v5
                                        ; implicit-def: $vgpr5_vgpr6
	s_delay_alu instid0(VALU_DEP_4)
	v_lshlrev_b32_e32 v11, 3, v1
	ds_load_b64 v[1:2], v7
	ds_load_b64 v[3:4], v11 offset:768
	v_cmp_le_i32_e64 s9, v44, v9
	v_cmp_gt_i32_e64 s10, v45, v10
	s_wait_dscnt 0x0
	v_cmp_lt_i64_e64 s8, v[3:4], v[1:2]
	s_or_b32 s8, s9, s8
	s_wait_alu 0xfffe
	s_and_b32 s8, s10, s8
	s_wait_alu 0xfffe
	s_xor_b32 s9, s8, -1
	s_wait_alu 0xfffe
	s_and_saveexec_b32 s10, s9
	s_delay_alu instid0(SALU_CYCLE_1)
	s_xor_b32 s9, exec_lo, s10
; %bb.67:                               ;   in Loop: Header=BB154_2 Depth=1
	ds_load_b64 v[5:6], v7 offset:8
                                        ; implicit-def: $vgpr11
; %bb.68:                               ;   in Loop: Header=BB154_2 Depth=1
	s_wait_alu 0xfffe
	s_or_saveexec_b32 s9, s9
	v_dual_mov_b32 v8, v4 :: v_dual_mov_b32 v7, v3
	s_wait_alu 0xfffe
	s_xor_b32 exec_lo, exec_lo, s9
	s_cbranch_execz .LBB154_70
; %bb.69:                               ;   in Loop: Header=BB154_2 Depth=1
	ds_load_b64 v[7:8], v11 offset:776
	s_wait_dscnt 0x1
	v_dual_mov_b32 v6, v2 :: v_dual_mov_b32 v5, v1
.LBB154_70:                             ;   in Loop: Header=BB154_2 Depth=1
	s_or_b32 exec_lo, exec_lo, s9
	v_add_nc_u32_e32 v11, 1, v9
	v_add_nc_u32_e32 v12, 1, v10
	s_wait_dscnt 0x0
	v_cmp_lt_i64_e64 s9, v[7:8], v[5:6]
	s_delay_alu instid0(VALU_DEP_3) | instskip(NEXT) | instid1(VALU_DEP_3)
	v_cndmask_b32_e64 v92, v11, v9, s8
	v_cndmask_b32_e64 v91, v10, v12, s8
                                        ; implicit-def: $vgpr9_vgpr10
	s_delay_alu instid0(VALU_DEP_2) | instskip(NEXT) | instid1(VALU_DEP_2)
	v_cmp_ge_i32_e64 s10, v92, v44
	v_cmp_lt_i32_e64 s11, v91, v45
	s_or_b32 s9, s10, s9
	s_wait_alu 0xfffe
	s_and_b32 s9, s11, s9
	s_wait_alu 0xfffe
	s_xor_b32 s10, s9, -1
	s_delay_alu instid0(SALU_CYCLE_1) | instskip(NEXT) | instid1(SALU_CYCLE_1)
	s_and_saveexec_b32 s11, s10
	s_xor_b32 s10, exec_lo, s11
; %bb.71:                               ;   in Loop: Header=BB154_2 Depth=1
	v_lshlrev_b32_e32 v9, 3, v92
	ds_load_b64 v[9:10], v9 offset:8
; %bb.72:                               ;   in Loop: Header=BB154_2 Depth=1
	s_or_saveexec_b32 s10, s10
	v_dual_mov_b32 v12, v8 :: v_dual_mov_b32 v11, v7
	s_xor_b32 exec_lo, exec_lo, s10
	s_cbranch_execz .LBB154_74
; %bb.73:                               ;   in Loop: Header=BB154_2 Depth=1
	s_wait_dscnt 0x0
	v_lshlrev_b32_e32 v9, 3, v91
	ds_load_b64 v[11:12], v9 offset:8
	v_dual_mov_b32 v10, v6 :: v_dual_mov_b32 v9, v5
.LBB154_74:                             ;   in Loop: Header=BB154_2 Depth=1
	s_or_b32 exec_lo, exec_lo, s10
	v_add_nc_u32_e32 v93, 1, v92
	v_add_nc_u32_e32 v94, 1, v91
	v_cndmask_b32_e64 v8, v6, v8, s9
	v_cndmask_b32_e64 v7, v5, v7, s9
	v_mov_b32_e32 v5, v63
	v_cndmask_b32_e64 v92, v93, v92, s9
	v_cndmask_b32_e64 v6, v91, v94, s9
	s_wait_dscnt 0x0
	v_cmp_lt_i64_e64 s9, v[11:12], v[9:10]
	v_cndmask_b32_e64 v2, v2, v4, s8
	v_cndmask_b32_e64 v1, v1, v3, s8
	v_cmp_ge_i32_e64 s10, v92, v44
	v_cmp_lt_i32_e64 s11, v6, v45
	s_wait_loadcnt 0x0
	s_barrier_signal -1
	s_barrier_wait -1
	s_or_b32 s8, s10, s9
	global_inv scope:SCOPE_SE
	s_wait_alu 0xfffe
	s_and_b32 s8, s11, s8
	s_wait_alu 0xfffe
	v_cndmask_b32_e64 v4, v10, v12, s8
	v_cndmask_b32_e64 v3, v9, v11, s8
	ds_store_2addr_b64 v15, v[1:2], v[7:8] offset1:1
	ds_store_b64 v15, v[3:4] offset:16
	s_wait_loadcnt_dscnt 0x0
	s_barrier_signal -1
	s_barrier_wait -1
	global_inv scope:SCOPE_SE
	s_and_saveexec_b32 s9, s5
	s_cbranch_execz .LBB154_78
; %bb.75:                               ;   in Loop: Header=BB154_2 Depth=1
	v_mov_b32_e32 v5, v63
	v_mov_b32_e32 v1, v64
	s_mov_b32 s10, 0
.LBB154_76:                             ;   Parent Loop BB154_2 Depth=1
                                        ; =>  This Inner Loop Header: Depth=2
	s_delay_alu instid0(VALU_DEP_1) | instskip(NEXT) | instid1(VALU_DEP_1)
	v_sub_nc_u32_e32 v2, v1, v5
	v_lshrrev_b32_e32 v2, 1, v2
	s_delay_alu instid0(VALU_DEP_1) | instskip(NEXT) | instid1(VALU_DEP_1)
	v_add_nc_u32_e32 v4, v2, v5
	v_not_b32_e32 v2, v4
	v_lshl_add_u32 v3, v4, 3, v62
	s_delay_alu instid0(VALU_DEP_2)
	v_lshl_add_u32 v6, v2, 3, v80
	ds_load_b64 v[2:3], v3
	ds_load_b64 v[6:7], v6 offset:1536
	s_wait_dscnt 0x0
	v_cmp_lt_i64_e64 s8, v[6:7], v[2:3]
	v_add_nc_u32_e32 v2, 1, v4
	s_wait_alu 0xf1ff
	s_delay_alu instid0(VALU_DEP_2) | instskip(NEXT) | instid1(VALU_DEP_2)
	v_cndmask_b32_e64 v1, v1, v4, s8
	v_cndmask_b32_e64 v5, v2, v5, s8
	s_delay_alu instid0(VALU_DEP_1) | instskip(SKIP_1) | instid1(SALU_CYCLE_1)
	v_cmp_ge_i32_e64 s8, v5, v1
	s_or_b32 s10, s8, s10
	s_and_not1_b32 exec_lo, exec_lo, s10
	s_cbranch_execnz .LBB154_76
; %bb.77:                               ;   in Loop: Header=BB154_2 Depth=1
	s_or_b32 exec_lo, exec_lo, s10
.LBB154_78:                             ;   in Loop: Header=BB154_2 Depth=1
	s_wait_alu 0xfffe
	s_or_b32 exec_lo, exec_lo, s9
	v_sub_nc_u32_e32 v1, v89, v5
	v_lshl_add_u32 v7, v5, 3, v62
	v_add_nc_u32_e32 v9, v5, v60
	v_sub_nc_u32_e32 v10, v68, v5
                                        ; implicit-def: $vgpr5_vgpr6
	s_delay_alu instid0(VALU_DEP_4)
	v_lshlrev_b32_e32 v11, 3, v1
	ds_load_b64 v[1:2], v7
	ds_load_b64 v[3:4], v11 offset:1536
	v_cmp_le_i32_e64 s9, v56, v9
	v_cmp_gt_i32_e64 s10, v57, v10
	s_wait_dscnt 0x0
	v_cmp_lt_i64_e64 s8, v[3:4], v[1:2]
	s_or_b32 s8, s9, s8
	s_wait_alu 0xfffe
	s_and_b32 s8, s10, s8
	s_wait_alu 0xfffe
	s_xor_b32 s9, s8, -1
	s_wait_alu 0xfffe
	s_and_saveexec_b32 s10, s9
	s_delay_alu instid0(SALU_CYCLE_1)
	s_xor_b32 s9, exec_lo, s10
; %bb.79:                               ;   in Loop: Header=BB154_2 Depth=1
	ds_load_b64 v[5:6], v7 offset:8
                                        ; implicit-def: $vgpr11
; %bb.80:                               ;   in Loop: Header=BB154_2 Depth=1
	s_wait_alu 0xfffe
	s_or_saveexec_b32 s9, s9
	v_dual_mov_b32 v8, v4 :: v_dual_mov_b32 v7, v3
	s_wait_alu 0xfffe
	s_xor_b32 exec_lo, exec_lo, s9
	s_cbranch_execz .LBB154_82
; %bb.81:                               ;   in Loop: Header=BB154_2 Depth=1
	ds_load_b64 v[7:8], v11 offset:1544
	s_wait_dscnt 0x1
	v_dual_mov_b32 v6, v2 :: v_dual_mov_b32 v5, v1
.LBB154_82:                             ;   in Loop: Header=BB154_2 Depth=1
	s_or_b32 exec_lo, exec_lo, s9
	v_add_nc_u32_e32 v11, 1, v9
	v_add_nc_u32_e32 v12, 1, v10
	s_wait_dscnt 0x0
	v_cmp_lt_i64_e64 s9, v[7:8], v[5:6]
	s_delay_alu instid0(VALU_DEP_3) | instskip(NEXT) | instid1(VALU_DEP_3)
	v_cndmask_b32_e64 v92, v11, v9, s8
	v_cndmask_b32_e64 v91, v10, v12, s8
                                        ; implicit-def: $vgpr9_vgpr10
	s_delay_alu instid0(VALU_DEP_2) | instskip(NEXT) | instid1(VALU_DEP_2)
	v_cmp_ge_i32_e64 s10, v92, v56
	v_cmp_lt_i32_e64 s11, v91, v57
	s_or_b32 s9, s10, s9
	s_wait_alu 0xfffe
	s_and_b32 s9, s11, s9
	s_wait_alu 0xfffe
	s_xor_b32 s10, s9, -1
	s_delay_alu instid0(SALU_CYCLE_1) | instskip(NEXT) | instid1(SALU_CYCLE_1)
	s_and_saveexec_b32 s11, s10
	s_xor_b32 s10, exec_lo, s11
; %bb.83:                               ;   in Loop: Header=BB154_2 Depth=1
	v_lshlrev_b32_e32 v9, 3, v92
	ds_load_b64 v[9:10], v9 offset:8
; %bb.84:                               ;   in Loop: Header=BB154_2 Depth=1
	s_or_saveexec_b32 s10, s10
	v_dual_mov_b32 v12, v8 :: v_dual_mov_b32 v11, v7
	s_xor_b32 exec_lo, exec_lo, s10
	s_cbranch_execz .LBB154_86
; %bb.85:                               ;   in Loop: Header=BB154_2 Depth=1
	s_wait_dscnt 0x0
	v_lshlrev_b32_e32 v9, 3, v91
	ds_load_b64 v[11:12], v9 offset:8
	v_dual_mov_b32 v10, v6 :: v_dual_mov_b32 v9, v5
.LBB154_86:                             ;   in Loop: Header=BB154_2 Depth=1
	s_or_b32 exec_lo, exec_lo, s10
	v_add_nc_u32_e32 v93, 1, v92
	v_add_nc_u32_e32 v94, 1, v91
	v_cndmask_b32_e64 v8, v6, v8, s9
	v_cndmask_b32_e64 v7, v5, v7, s9
	v_mov_b32_e32 v5, v65
	v_cndmask_b32_e64 v92, v93, v92, s9
	v_cndmask_b32_e64 v6, v91, v94, s9
	s_wait_dscnt 0x0
	v_cmp_lt_i64_e64 s9, v[11:12], v[9:10]
	v_cndmask_b32_e64 v2, v2, v4, s8
	v_cndmask_b32_e64 v1, v1, v3, s8
	v_cmp_ge_i32_e64 s10, v92, v56
	v_cmp_lt_i32_e64 s11, v6, v57
	s_wait_loadcnt 0x0
	s_barrier_signal -1
	s_barrier_wait -1
	s_or_b32 s8, s10, s9
	global_inv scope:SCOPE_SE
	s_wait_alu 0xfffe
	s_and_b32 s8, s11, s8
	s_wait_alu 0xfffe
	v_cndmask_b32_e64 v4, v10, v12, s8
	v_cndmask_b32_e64 v3, v9, v11, s8
	ds_store_2addr_b64 v15, v[1:2], v[7:8] offset1:1
	ds_store_b64 v15, v[3:4] offset:16
	s_wait_loadcnt_dscnt 0x0
	s_barrier_signal -1
	s_barrier_wait -1
	global_inv scope:SCOPE_SE
	s_and_saveexec_b32 s9, s6
	s_cbranch_execz .LBB154_90
; %bb.87:                               ;   in Loop: Header=BB154_2 Depth=1
	v_mov_b32_e32 v5, v65
	v_mov_b32_e32 v1, v66
	s_mov_b32 s10, 0
.LBB154_88:                             ;   Parent Loop BB154_2 Depth=1
                                        ; =>  This Inner Loop Header: Depth=2
	s_delay_alu instid0(VALU_DEP_1) | instskip(NEXT) | instid1(VALU_DEP_1)
	v_sub_nc_u32_e32 v2, v1, v5
	v_lshrrev_b32_e32 v2, 1, v2
	s_delay_alu instid0(VALU_DEP_1) | instskip(NEXT) | instid1(VALU_DEP_1)
	v_add_nc_u32_e32 v4, v2, v5
	v_not_b32_e32 v2, v4
	v_lshl_add_u32 v3, v4, 3, v69
	s_delay_alu instid0(VALU_DEP_2)
	v_lshl_add_u32 v6, v2, 3, v81
	ds_load_b64 v[2:3], v3
	ds_load_b64 v[6:7], v6 offset:3072
	s_wait_dscnt 0x0
	v_cmp_lt_i64_e64 s8, v[6:7], v[2:3]
	v_add_nc_u32_e32 v2, 1, v4
	s_wait_alu 0xf1ff
	s_delay_alu instid0(VALU_DEP_2) | instskip(NEXT) | instid1(VALU_DEP_2)
	v_cndmask_b32_e64 v1, v1, v4, s8
	v_cndmask_b32_e64 v5, v2, v5, s8
	s_delay_alu instid0(VALU_DEP_1) | instskip(SKIP_1) | instid1(SALU_CYCLE_1)
	v_cmp_ge_i32_e64 s8, v5, v1
	s_or_b32 s10, s8, s10
	s_and_not1_b32 exec_lo, exec_lo, s10
	s_cbranch_execnz .LBB154_88
; %bb.89:                               ;   in Loop: Header=BB154_2 Depth=1
	s_or_b32 exec_lo, exec_lo, s10
.LBB154_90:                             ;   in Loop: Header=BB154_2 Depth=1
	s_wait_alu 0xfffe
	s_or_b32 exec_lo, exec_lo, s9
	v_sub_nc_u32_e32 v1, v90, v5
	v_lshl_add_u32 v7, v5, 3, v69
	v_add_nc_u32_e32 v9, v5, v61
	v_sub_nc_u32_e32 v10, v72, v5
                                        ; implicit-def: $vgpr5_vgpr6
	s_delay_alu instid0(VALU_DEP_4)
	v_lshlrev_b32_e32 v11, 3, v1
	ds_load_b64 v[1:2], v7
	ds_load_b64 v[3:4], v11 offset:3072
	v_cmp_le_i32_e64 s9, v58, v9
	v_cmp_gt_i32_e64 s10, v59, v10
	s_wait_dscnt 0x0
	v_cmp_lt_i64_e64 s8, v[3:4], v[1:2]
	s_or_b32 s8, s9, s8
	s_wait_alu 0xfffe
	s_and_b32 s8, s10, s8
	s_wait_alu 0xfffe
	s_xor_b32 s9, s8, -1
	s_wait_alu 0xfffe
	s_and_saveexec_b32 s10, s9
	s_delay_alu instid0(SALU_CYCLE_1)
	s_xor_b32 s9, exec_lo, s10
; %bb.91:                               ;   in Loop: Header=BB154_2 Depth=1
	ds_load_b64 v[5:6], v7 offset:8
                                        ; implicit-def: $vgpr11
; %bb.92:                               ;   in Loop: Header=BB154_2 Depth=1
	s_wait_alu 0xfffe
	s_or_saveexec_b32 s9, s9
	v_dual_mov_b32 v8, v4 :: v_dual_mov_b32 v7, v3
	s_wait_alu 0xfffe
	s_xor_b32 exec_lo, exec_lo, s9
	s_cbranch_execz .LBB154_94
; %bb.93:                               ;   in Loop: Header=BB154_2 Depth=1
	ds_load_b64 v[7:8], v11 offset:3080
	s_wait_dscnt 0x1
	v_dual_mov_b32 v6, v2 :: v_dual_mov_b32 v5, v1
.LBB154_94:                             ;   in Loop: Header=BB154_2 Depth=1
	s_or_b32 exec_lo, exec_lo, s9
	v_add_nc_u32_e32 v11, 1, v9
	v_add_nc_u32_e32 v12, 1, v10
	s_wait_dscnt 0x0
	v_cmp_lt_i64_e64 s9, v[7:8], v[5:6]
	s_delay_alu instid0(VALU_DEP_3) | instskip(NEXT) | instid1(VALU_DEP_3)
	v_cndmask_b32_e64 v92, v11, v9, s8
	v_cndmask_b32_e64 v91, v10, v12, s8
                                        ; implicit-def: $vgpr9_vgpr10
	s_delay_alu instid0(VALU_DEP_2) | instskip(NEXT) | instid1(VALU_DEP_2)
	v_cmp_ge_i32_e64 s10, v92, v58
	v_cmp_lt_i32_e64 s11, v91, v59
	s_or_b32 s9, s10, s9
	s_wait_alu 0xfffe
	s_and_b32 s9, s11, s9
	s_wait_alu 0xfffe
	s_xor_b32 s10, s9, -1
	s_delay_alu instid0(SALU_CYCLE_1) | instskip(NEXT) | instid1(SALU_CYCLE_1)
	s_and_saveexec_b32 s11, s10
	s_xor_b32 s10, exec_lo, s11
; %bb.95:                               ;   in Loop: Header=BB154_2 Depth=1
	v_lshlrev_b32_e32 v9, 3, v92
	ds_load_b64 v[9:10], v9 offset:8
; %bb.96:                               ;   in Loop: Header=BB154_2 Depth=1
	s_or_saveexec_b32 s10, s10
	v_dual_mov_b32 v12, v8 :: v_dual_mov_b32 v11, v7
	s_xor_b32 exec_lo, exec_lo, s10
	s_cbranch_execz .LBB154_98
; %bb.97:                               ;   in Loop: Header=BB154_2 Depth=1
	s_wait_dscnt 0x0
	v_lshlrev_b32_e32 v9, 3, v91
	ds_load_b64 v[11:12], v9 offset:8
	v_dual_mov_b32 v10, v6 :: v_dual_mov_b32 v9, v5
.LBB154_98:                             ;   in Loop: Header=BB154_2 Depth=1
	s_or_b32 exec_lo, exec_lo, s10
	v_add_nc_u32_e32 v93, 1, v92
	v_add_nc_u32_e32 v94, 1, v91
	v_cndmask_b32_e64 v6, v6, v8, s9
	v_cndmask_b32_e64 v5, v5, v7, s9
	v_cndmask_b32_e64 v2, v2, v4, s8
	v_cndmask_b32_e64 v92, v93, v92, s9
	v_cndmask_b32_e64 v8, v91, v94, s9
	s_wait_dscnt 0x0
	v_cmp_lt_i64_e64 s9, v[11:12], v[9:10]
	v_cndmask_b32_e64 v1, v1, v3, s8
	s_wait_loadcnt 0x0
	v_cmp_ge_i32_e64 s10, v92, v58
	v_cmp_lt_i32_e64 s11, v8, v59
	s_barrier_signal -1
	s_barrier_wait -1
	global_inv scope:SCOPE_SE
	s_or_b32 s8, s10, s9
	s_wait_alu 0xfffe
	s_and_b32 s8, s11, s8
	s_wait_alu 0xfffe
	v_cndmask_b32_e64 v3, v9, v11, s8
	v_mov_b32_e32 v9, v70
	v_cndmask_b32_e64 v4, v10, v12, s8
	ds_store_2addr_b64 v15, v[1:2], v[5:6] offset1:1
	ds_store_b64 v15, v[3:4] offset:16
	s_wait_loadcnt_dscnt 0x0
	s_barrier_signal -1
	s_barrier_wait -1
	global_inv scope:SCOPE_SE
	s_and_saveexec_b32 s9, s7
	s_cbranch_execz .LBB154_102
; %bb.99:                               ;   in Loop: Header=BB154_2 Depth=1
	v_mov_b32_e32 v9, v70
	v_mov_b32_e32 v1, v71
	s_mov_b32 s10, 0
.LBB154_100:                            ;   Parent Loop BB154_2 Depth=1
                                        ; =>  This Inner Loop Header: Depth=2
	s_delay_alu instid0(VALU_DEP_1) | instskip(NEXT) | instid1(VALU_DEP_1)
	v_sub_nc_u32_e32 v2, v1, v9
	v_lshrrev_b32_e32 v2, 1, v2
	s_delay_alu instid0(VALU_DEP_1) | instskip(NEXT) | instid1(VALU_DEP_1)
	v_add_nc_u32_e32 v6, v2, v9
	v_not_b32_e32 v2, v6
	v_lshlrev_b32_e32 v3, 3, v6
	s_delay_alu instid0(VALU_DEP_2)
	v_lshl_add_u32 v4, v2, 3, v83
	ds_load_b64 v[2:3], v3
	ds_load_b64 v[4:5], v4 offset:6144
	s_wait_dscnt 0x0
	v_cmp_lt_i64_e64 s8, v[4:5], v[2:3]
	v_add_nc_u32_e32 v2, 1, v6
	s_wait_alu 0xf1ff
	s_delay_alu instid0(VALU_DEP_2) | instskip(NEXT) | instid1(VALU_DEP_2)
	v_cndmask_b32_e64 v1, v1, v6, s8
	v_cndmask_b32_e64 v9, v2, v9, s8
	s_delay_alu instid0(VALU_DEP_1) | instskip(SKIP_1) | instid1(SALU_CYCLE_1)
	v_cmp_ge_i32_e64 s8, v9, v1
	s_or_b32 s10, s8, s10
	s_and_not1_b32 exec_lo, exec_lo, s10
	s_cbranch_execnz .LBB154_100
; %bb.101:                              ;   in Loop: Header=BB154_2 Depth=1
	s_or_b32 exec_lo, exec_lo, s10
.LBB154_102:                            ;   in Loop: Header=BB154_2 Depth=1
	s_wait_alu 0xfffe
	s_or_b32 exec_lo, exec_lo, s9
	v_sub_nc_u32_e32 v1, v67, v9
	v_lshlrev_b32_e32 v7, 3, v9
	v_sub_nc_u32_e32 v10, v73, v9
	v_cmp_le_i32_e64 s9, 0x300, v9
                                        ; implicit-def: $vgpr5_vgpr6
	s_delay_alu instid0(VALU_DEP_4)
	v_lshlrev_b32_e32 v11, 3, v1
	ds_load_b64 v[1:2], v7
	ds_load_b64 v[3:4], v11 offset:6144
	v_cmp_gt_i32_e64 s10, 0x600, v10
	s_wait_dscnt 0x0
	v_cmp_lt_i64_e64 s8, v[3:4], v[1:2]
	s_or_b32 s8, s9, s8
	s_wait_alu 0xfffe
	s_and_b32 s8, s10, s8
	s_wait_alu 0xfffe
	s_xor_b32 s9, s8, -1
	s_wait_alu 0xfffe
	s_and_saveexec_b32 s10, s9
	s_delay_alu instid0(SALU_CYCLE_1)
	s_xor_b32 s9, exec_lo, s10
; %bb.103:                              ;   in Loop: Header=BB154_2 Depth=1
	ds_load_b64 v[5:6], v7 offset:8
                                        ; implicit-def: $vgpr11
; %bb.104:                              ;   in Loop: Header=BB154_2 Depth=1
	s_wait_alu 0xfffe
	s_or_saveexec_b32 s9, s9
	v_dual_mov_b32 v8, v4 :: v_dual_mov_b32 v7, v3
	s_wait_alu 0xfffe
	s_xor_b32 exec_lo, exec_lo, s9
	s_cbranch_execz .LBB154_106
; %bb.105:                              ;   in Loop: Header=BB154_2 Depth=1
	ds_load_b64 v[7:8], v11 offset:6152
	s_wait_dscnt 0x1
	v_dual_mov_b32 v6, v2 :: v_dual_mov_b32 v5, v1
.LBB154_106:                            ;   in Loop: Header=BB154_2 Depth=1
	s_or_b32 exec_lo, exec_lo, s9
	v_add_nc_u32_e32 v11, 1, v9
	v_add_nc_u32_e32 v12, 1, v10
	s_wait_dscnt 0x0
	v_cmp_lt_i64_e64 s9, v[7:8], v[5:6]
                                        ; implicit-def: $vgpr92
	s_delay_alu instid0(VALU_DEP_3) | instskip(NEXT) | instid1(VALU_DEP_3)
	v_cndmask_b32_e64 v93, v11, v9, s8
	v_cndmask_b32_e64 v91, v10, v12, s8
                                        ; implicit-def: $vgpr9_vgpr10
	s_delay_alu instid0(VALU_DEP_2) | instskip(NEXT) | instid1(VALU_DEP_2)
	v_cmp_le_i32_e64 s10, 0x300, v93
	v_cmp_gt_i32_e64 s11, 0x600, v91
	s_or_b32 s9, s10, s9
	s_wait_alu 0xfffe
	s_and_b32 s9, s11, s9
	s_wait_alu 0xfffe
	s_xor_b32 s10, s9, -1
	s_delay_alu instid0(SALU_CYCLE_1) | instskip(NEXT) | instid1(SALU_CYCLE_1)
	s_and_saveexec_b32 s11, s10
	s_xor_b32 s10, exec_lo, s11
; %bb.107:                              ;   in Loop: Header=BB154_2 Depth=1
	v_lshlrev_b32_e32 v9, 3, v93
	v_add_nc_u32_e32 v92, 1, v93
                                        ; implicit-def: $vgpr93
	ds_load_b64 v[9:10], v9 offset:8
; %bb.108:                              ;   in Loop: Header=BB154_2 Depth=1
	s_or_saveexec_b32 s10, s10
	v_dual_mov_b32 v12, v8 :: v_dual_mov_b32 v11, v7
	s_xor_b32 exec_lo, exec_lo, s10
	s_cbranch_execz .LBB154_1
; %bb.109:                              ;   in Loop: Header=BB154_2 Depth=1
	s_wait_dscnt 0x0
	v_dual_mov_b32 v92, v93 :: v_dual_lshlrev_b32 v9, 3, v91
	v_add_nc_u32_e32 v91, 1, v91
	ds_load_b64 v[11:12], v9 offset:8
	v_dual_mov_b32 v10, v6 :: v_dual_mov_b32 v9, v5
	s_branch .LBB154_1
.LBB154_110:
	v_lshlrev_b32_e32 v0, 3, v0
	s_add_nc_u64 s[0:1], s[14:15], s[18:19]
	s_clause 0x2
	global_store_b64 v0, v[3:4], s[0:1]
	global_store_b64 v0, v[5:6], s[0:1] offset:4096
	global_store_b64 v0, v[1:2], s[0:1] offset:8192
	s_endpgm
	.section	.rodata,"a",@progbits
	.p2align	6, 0x0
	.amdhsa_kernel _Z16sort_keys_kernelIxLj512ELj3EN10test_utils4lessELj10EEvPKT_PS2_T2_
		.amdhsa_group_segment_fixed_size 12296
		.amdhsa_private_segment_fixed_size 0
		.amdhsa_kernarg_size 20
		.amdhsa_user_sgpr_count 2
		.amdhsa_user_sgpr_dispatch_ptr 0
		.amdhsa_user_sgpr_queue_ptr 0
		.amdhsa_user_sgpr_kernarg_segment_ptr 1
		.amdhsa_user_sgpr_dispatch_id 0
		.amdhsa_user_sgpr_private_segment_size 0
		.amdhsa_wavefront_size32 1
		.amdhsa_uses_dynamic_stack 0
		.amdhsa_enable_private_segment 0
		.amdhsa_system_sgpr_workgroup_id_x 1
		.amdhsa_system_sgpr_workgroup_id_y 0
		.amdhsa_system_sgpr_workgroup_id_z 0
		.amdhsa_system_sgpr_workgroup_info 0
		.amdhsa_system_vgpr_workitem_id 0
		.amdhsa_next_free_vgpr 95
		.amdhsa_next_free_sgpr 20
		.amdhsa_reserve_vcc 1
		.amdhsa_float_round_mode_32 0
		.amdhsa_float_round_mode_16_64 0
		.amdhsa_float_denorm_mode_32 3
		.amdhsa_float_denorm_mode_16_64 3
		.amdhsa_fp16_overflow 0
		.amdhsa_workgroup_processor_mode 1
		.amdhsa_memory_ordered 1
		.amdhsa_forward_progress 1
		.amdhsa_inst_pref_size 58
		.amdhsa_round_robin_scheduling 0
		.amdhsa_exception_fp_ieee_invalid_op 0
		.amdhsa_exception_fp_denorm_src 0
		.amdhsa_exception_fp_ieee_div_zero 0
		.amdhsa_exception_fp_ieee_overflow 0
		.amdhsa_exception_fp_ieee_underflow 0
		.amdhsa_exception_fp_ieee_inexact 0
		.amdhsa_exception_int_div_zero 0
	.end_amdhsa_kernel
	.section	.text._Z16sort_keys_kernelIxLj512ELj3EN10test_utils4lessELj10EEvPKT_PS2_T2_,"axG",@progbits,_Z16sort_keys_kernelIxLj512ELj3EN10test_utils4lessELj10EEvPKT_PS2_T2_,comdat
.Lfunc_end154:
	.size	_Z16sort_keys_kernelIxLj512ELj3EN10test_utils4lessELj10EEvPKT_PS2_T2_, .Lfunc_end154-_Z16sort_keys_kernelIxLj512ELj3EN10test_utils4lessELj10EEvPKT_PS2_T2_
                                        ; -- End function
	.set _Z16sort_keys_kernelIxLj512ELj3EN10test_utils4lessELj10EEvPKT_PS2_T2_.num_vgpr, 95
	.set _Z16sort_keys_kernelIxLj512ELj3EN10test_utils4lessELj10EEvPKT_PS2_T2_.num_agpr, 0
	.set _Z16sort_keys_kernelIxLj512ELj3EN10test_utils4lessELj10EEvPKT_PS2_T2_.numbered_sgpr, 20
	.set _Z16sort_keys_kernelIxLj512ELj3EN10test_utils4lessELj10EEvPKT_PS2_T2_.num_named_barrier, 0
	.set _Z16sort_keys_kernelIxLj512ELj3EN10test_utils4lessELj10EEvPKT_PS2_T2_.private_seg_size, 0
	.set _Z16sort_keys_kernelIxLj512ELj3EN10test_utils4lessELj10EEvPKT_PS2_T2_.uses_vcc, 1
	.set _Z16sort_keys_kernelIxLj512ELj3EN10test_utils4lessELj10EEvPKT_PS2_T2_.uses_flat_scratch, 0
	.set _Z16sort_keys_kernelIxLj512ELj3EN10test_utils4lessELj10EEvPKT_PS2_T2_.has_dyn_sized_stack, 0
	.set _Z16sort_keys_kernelIxLj512ELj3EN10test_utils4lessELj10EEvPKT_PS2_T2_.has_recursion, 0
	.set _Z16sort_keys_kernelIxLj512ELj3EN10test_utils4lessELj10EEvPKT_PS2_T2_.has_indirect_call, 0
	.section	.AMDGPU.csdata,"",@progbits
; Kernel info:
; codeLenInByte = 7356
; TotalNumSgprs: 22
; NumVgprs: 95
; ScratchSize: 0
; MemoryBound: 0
; FloatMode: 240
; IeeeMode: 1
; LDSByteSize: 12296 bytes/workgroup (compile time only)
; SGPRBlocks: 0
; VGPRBlocks: 11
; NumSGPRsForWavesPerEU: 22
; NumVGPRsForWavesPerEU: 95
; Occupancy: 16
; WaveLimiterHint : 1
; COMPUTE_PGM_RSRC2:SCRATCH_EN: 0
; COMPUTE_PGM_RSRC2:USER_SGPR: 2
; COMPUTE_PGM_RSRC2:TRAP_HANDLER: 0
; COMPUTE_PGM_RSRC2:TGID_X_EN: 1
; COMPUTE_PGM_RSRC2:TGID_Y_EN: 0
; COMPUTE_PGM_RSRC2:TGID_Z_EN: 0
; COMPUTE_PGM_RSRC2:TIDIG_COMP_CNT: 0
	.section	.text._Z17sort_pairs_kernelIxLj512ELj3EN10test_utils4lessELj10EEvPKT_PS2_T2_,"axG",@progbits,_Z17sort_pairs_kernelIxLj512ELj3EN10test_utils4lessELj10EEvPKT_PS2_T2_,comdat
	.protected	_Z17sort_pairs_kernelIxLj512ELj3EN10test_utils4lessELj10EEvPKT_PS2_T2_ ; -- Begin function _Z17sort_pairs_kernelIxLj512ELj3EN10test_utils4lessELj10EEvPKT_PS2_T2_
	.globl	_Z17sort_pairs_kernelIxLj512ELj3EN10test_utils4lessELj10EEvPKT_PS2_T2_
	.p2align	8
	.type	_Z17sort_pairs_kernelIxLj512ELj3EN10test_utils4lessELj10EEvPKT_PS2_T2_,@function
_Z17sort_pairs_kernelIxLj512ELj3EN10test_utils4lessELj10EEvPKT_PS2_T2_: ; @_Z17sort_pairs_kernelIxLj512ELj3EN10test_utils4lessELj10EEvPKT_PS2_T2_
; %bb.0:
	s_load_b128 s[16:19], s[0:1], 0x0
	s_mul_i32 s14, ttmp9, 0x600
	s_mov_b32 s15, 0
	v_lshlrev_b32_e32 v1, 3, v0
	s_lshl_b64 s[20:21], s[14:15], 3
	v_and_b32_e32 v7, 0x1fe, v0
	v_and_b32_e32 v9, 0x1fc, v0
	;; [unrolled: 1-line block ×5, first 2 shown]
	v_mul_u32_u24_e32 v7, 3, v7
	v_mul_u32_u24_e32 v9, 3, v9
	v_and_b32_e32 v15, 0x1e0, v0
	v_cmp_eq_u32_e32 vcc_lo, 1, v8
	v_mul_u32_u24_e32 v11, 3, v11
	v_min_u32_e32 v31, 0x600, v7
	v_min_u32_e32 v71, 0x5fd, v7
	;; [unrolled: 1-line block ×3, first 2 shown]
	v_mul_u32_u24_e32 v13, 3, v13
	v_min_u32_e32 v32, 0x600, v9
	s_wait_kmcnt 0x0
	s_add_nc_u64 s[0:1], s[16:17], s[20:21]
	v_min_u32_e32 v72, 0x5fa, v9
	s_clause 0x2
	global_load_b64 v[5:6], v1, s[0:1]
	global_load_b64 v[3:4], v1, s[0:1] offset:4096
	global_load_b64 v[1:2], v1, s[0:1] offset:8192
	v_min_u32_e32 v9, 0x5f4, v9
	v_add_nc_u32_e32 v39, 3, v71
	v_add_nc_u32_e32 v40, 6, v7
	v_and_b32_e32 v10, 3, v0
	v_and_b32_e32 v17, 0x1c0, v0
	v_cndmask_b32_e64 v8, 0, 3, vcc_lo
	v_mul_u32_u24_e32 v15, 3, v15
	v_min_u32_e32 v33, 0x600, v11
	v_min_u32_e32 v73, 0x5f4, v11
	;; [unrolled: 1-line block ×6, first 2 shown]
	v_add_nc_u32_e32 v42, 6, v72
	v_add_nc_u32_e32 v43, 12, v9
	v_sub_nc_u32_e32 v9, v40, v39
	v_and_b32_e32 v12, 7, v0
	v_and_b32_e32 v19, 0x180, v0
	v_mul_u32_u24_e32 v23, 3, v10
	v_mul_u32_u24_e32 v17, 3, v17
	v_min_u32_e32 v35, 0x600, v15
	v_min_u32_e32 v75, 0x5d0, v15
	;; [unrolled: 1-line block ×3, first 2 shown]
	v_add_nc_u32_e32 v45, 12, v73
	v_add_nc_u32_e32 v46, 24, v11
	;; [unrolled: 1-line block ×3, first 2 shown]
	v_sub_nc_u32_e32 v7, v39, v31
	v_sub_nc_u32_e32 v13, v43, v42
	;; [unrolled: 1-line block ×3, first 2 shown]
	v_cmp_ge_i32_e64 s0, v8, v9
	v_and_b32_e32 v14, 15, v0
	v_and_b32_e32 v21, 0x100, v0
	v_mul_u32_u24_e32 v24, 3, v12
	v_mul_u32_u24_e32 v19, 3, v19
	v_min_u32_e32 v36, 0x600, v17
	v_min_u32_e32 v76, 0x5a0, v17
	;; [unrolled: 1-line block ×3, first 2 shown]
	v_lshlrev_b32_e32 v64, 3, v23
	v_add_nc_u32_e32 v48, 24, v74
	v_add_nc_u32_e32 v52, 0x60, v15
	v_sub_nc_u32_e32 v11, v42, v32
	v_sub_nc_u32_e32 v15, v46, v45
	v_min_i32_e32 v86, v8, v7
	v_sub_nc_u32_e32 v7, v23, v13
	v_cndmask_b32_e64 v94, 0, v94, s0
	v_cmp_ge_i32_e64 s0, v23, v13
	v_and_b32_e32 v16, 31, v0
	v_mul_u32_u24_e32 v97, 3, v14
	v_mul_u32_u24_e32 v21, 3, v21
	v_min_u32_e32 v37, 0x600, v19
	v_min_u32_e32 v77, 0x540, v19
	;; [unrolled: 1-line block ×3, first 2 shown]
	v_lshlrev_b32_e32 v65, 3, v24
	v_add_nc_u32_e32 v51, 48, v75
	v_add_nc_u32_e32 v55, 0xc0, v17
	v_lshl_add_u32 v64, v72, 3, v64
	v_mad_u32_u24 v72, v10, 3, v72
	v_mad_u32_u24 v79, v10, 3, v42
	v_sub_nc_u32_e32 v10, v45, v33
	v_sub_nc_u32_e32 v17, v49, v48
	v_min_i32_e32 v87, v23, v11
	v_sub_nc_u32_e32 v11, v24, v15
	s_wait_alu 0xf1ff
	v_cndmask_b32_e64 v95, 0, v7, s0
	v_cmp_ge_i32_e64 s0, v24, v15
	v_and_b32_e32 v18, 63, v0
	v_mul_u32_u24_e32 v98, 3, v16
	v_min_u32_e32 v38, 0x600, v21
	v_min_u32_e32 v102, 0x480, v21
	;; [unrolled: 1-line block ×3, first 2 shown]
	v_lshlrev_b32_e32 v66, 3, v97
	v_add_nc_u32_e32 v54, 0x60, v76
	v_add_nc_u32_e32 v58, 0x180, v19
	v_lshl_add_u32 v65, v73, 3, v65
	v_mad_u32_u24 v73, v12, 3, v73
	v_mad_u32_u24 v80, v12, 3, v45
	v_sub_nc_u32_e32 v12, v48, v34
	v_sub_nc_u32_e32 v19, v52, v51
	v_min_i32_e32 v88, v24, v10
	v_sub_nc_u32_e32 v10, v97, v17
	s_wait_alu 0xf1ff
	v_cndmask_b32_e64 v96, 0, v11, s0
	v_cmp_ge_i32_e64 s0, v97, v17
	v_and_b32_e32 v20, 0x7f, v0
	v_mul_u32_u24_e32 v99, 3, v18
	v_lshlrev_b32_e32 v67, 3, v98
	v_add_nc_u32_e32 v57, 0xc0, v77
	v_add_nc_u32_e32 v61, 0x300, v21
	v_lshl_add_u32 v66, v74, 3, v66
	v_mad_u32_u24 v74, v14, 3, v74
	v_mad_u32_u24 v81, v14, 3, v48
	v_sub_nc_u32_e32 v14, v51, v35
	v_sub_nc_u32_e32 v21, v55, v54
	v_min_i32_e32 v89, v97, v12
	v_sub_nc_u32_e32 v12, v98, v19
	s_wait_alu 0xf1ff
	v_cndmask_b32_e64 v97, 0, v10, s0
	v_cmp_ge_i32_e64 s0, v98, v19
	v_and_b32_e32 v22, 0xff, v0
	v_mul_u32_u24_e32 v100, 3, v20
	v_lshlrev_b32_e32 v68, 3, v99
	v_add_nc_u32_e32 v60, 0x180, v102
	v_lshl_add_u32 v67, v75, 3, v67
	v_mad_u32_u24 v75, v16, 3, v75
	v_mad_u32_u24 v82, v16, 3, v51
	v_sub_nc_u32_e32 v16, v54, v36
	v_sub_nc_u32_e32 v103, v58, v57
	v_min_i32_e32 v90, v98, v14
	v_sub_nc_u32_e32 v14, v99, v21
	s_wait_alu 0xf1ff
	v_cndmask_b32_e64 v98, 0, v12, s0
	v_cmp_ge_i32_e64 s0, v99, v21
	v_mul_u32_u24_e32 v101, 3, v22
	v_lshlrev_b32_e32 v69, 3, v100
	v_lshl_add_u32 v68, v76, 3, v68
	v_mad_u32_u24 v76, v18, 3, v76
	v_mad_u32_u24 v83, v18, 3, v54
	v_sub_nc_u32_e32 v18, v57, v37
	v_sub_nc_u32_e32 v104, v61, v60
	v_min_i32_e32 v91, v99, v16
	v_sub_nc_u32_e32 v16, v100, v103
	s_wait_alu 0xf1ff
	v_cndmask_b32_e64 v99, 0, v14, s0
	v_cmp_ge_i32_e64 s0, v100, v103
	v_lshl_add_u32 v69, v77, 3, v69
	v_mad_u32_u24 v77, v20, 3, v77
	v_mad_u32_u24 v84, v20, 3, v57
	v_sub_nc_u32_e32 v20, v60, v38
	v_min_i32_e32 v92, v100, v18
	v_sub_nc_u32_e32 v18, v101, v104
	s_wait_alu 0xf1ff
	v_cndmask_b32_e64 v100, 0, v16, s0
	v_cmp_ge_i32_e64 s0, v101, v104
	v_mul_u32_u24_e32 v26, 3, v0
	v_lshlrev_b32_e32 v63, 3, v8
	v_lshlrev_b32_e32 v70, 3, v101
	v_min_i32_e32 v93, v101, v20
	s_wait_alu 0xf1ff
	v_cndmask_b32_e64 v101, 0, v18, s0
	v_mul_u32_u24_e32 v25, 24, v0
	v_mad_u32_u24 v27, v0, 3, 0x300
	v_subrev_nc_u32_e64 v28, 0x300, v26 clamp
	v_min_i32_e32 v29, 0x300, v26
	v_lshlrev_b32_e32 v30, 3, v26
	v_lshlrev_b32_e32 v41, 3, v31
	;; [unrolled: 1-line block ×9, first 2 shown]
	v_lshl_add_u32 v63, v71, 3, v63
	v_lshl_add_u32 v70, v102, 3, v70
	v_add_nc_u32_e32 v71, v71, v8
	v_add_nc_u32_e32 v78, v39, v8
	v_mad_u32_u24 v85, v22, 3, v60
	v_cmp_lt_i32_e64 s0, v94, v86
	v_cmp_lt_i32_e64 s1, v95, v87
	;; [unrolled: 1-line block ×8, first 2 shown]
	v_mad_u32_u24 v102, v22, 3, v102
	v_cmp_lt_i32_e32 vcc_lo, v28, v29
	s_wait_loadcnt 0x2
	v_add_co_u32 v11, s8, v5, 1
	s_delay_alu instid0(VALU_DEP_1)
	v_add_co_ci_u32_e64 v12, null, 0, v6, s8
	s_wait_loadcnt 0x1
	v_add_co_u32 v9, s8, v3, 1
	s_wait_alu 0xf1ff
	v_add_co_ci_u32_e64 v10, null, 0, v4, s8
	s_wait_loadcnt 0x0
	v_add_co_u32 v7, s8, v1, 1
	s_wait_alu 0xf1ff
	v_add_co_ci_u32_e64 v8, null, 0, v2, s8
	s_branch .LBB155_2
.LBB155_1:                              ;   in Loop: Header=BB155_2 Depth=1
	s_or_b32 exec_lo, exec_lo, s10
	s_wait_dscnt 0x0
	s_delay_alu instid0(VALU_DEP_1)
	v_cmp_lt_i64_e64 s10, v[21:22], v[1:2]
	v_cmp_le_i32_e64 s11, 0x300, v23
	v_cmp_gt_i32_e64 s12, 0x600, v11
	v_cndmask_b32_e64 v9, v9, v10, s8
	s_wait_loadcnt 0x0
	s_barrier_signal -1
	s_or_b32 s10, s11, s10
	s_barrier_wait -1
	s_wait_alu 0xfffe
	s_and_b32 s10, s12, s10
	global_inv scope:SCOPE_SE
	s_wait_alu 0xfffe
	v_cndmask_b32_e64 v10, v23, v11, s10
	ds_store_2addr_b64 v25, v[3:4], v[7:8] offset1:1
	ds_store_b64 v25, v[5:6] offset:16
	v_lshlrev_b32_e32 v3, 3, v9
	v_lshlrev_b32_e32 v4, 3, v12
	s_wait_loadcnt_dscnt 0x0
	v_lshlrev_b32_e32 v5, 3, v10
	s_barrier_signal -1
	s_barrier_wait -1
	global_inv scope:SCOPE_SE
	ds_load_b64 v[11:12], v3
	ds_load_b64 v[9:10], v4
	;; [unrolled: 1-line block ×3, first 2 shown]
	v_cndmask_b32_e64 v2, v2, v22, s10
	v_cndmask_b32_e64 v6, v14, v16, s8
	;; [unrolled: 1-line block ×6, first 2 shown]
	s_add_co_i32 s15, s15, 1
	s_delay_alu instid0(SALU_CYCLE_1)
	s_cmp_eq_u32 s15, 10
	s_cbranch_scc1 .LBB155_110
.LBB155_2:                              ; =>This Loop Header: Depth=1
                                        ;     Child Loop BB155_4 Depth 2
                                        ;     Child Loop BB155_16 Depth 2
	;; [unrolled: 1-line block ×9, first 2 shown]
	v_cmp_gt_i64_e64 s8, v[3:4], v[5:6]
	v_cmp_lt_i64_e64 s9, v[3:4], v[5:6]
	s_barrier_signal -1
	s_barrier_wait -1
	global_inv scope:SCOPE_SE
	s_wait_alu 0xf1ff
	v_cndmask_b32_e64 v14, v6, v4, s8
	v_cndmask_b32_e64 v13, v5, v3, s8
	;; [unrolled: 1-line block ×6, first 2 shown]
	v_cmp_lt_i64_e64 s8, v[1:2], v[13:14]
	s_wait_alu 0xf1ff
	s_delay_alu instid0(VALU_DEP_1)
	v_cndmask_b32_e64 v18, v14, v2, s8
	v_cndmask_b32_e64 v17, v13, v1, s8
	;; [unrolled: 1-line block ×6, first 2 shown]
	v_cmp_lt_i64_e64 s10, v[17:18], v[15:16]
	v_mov_b32_e32 v2, v94
	s_wait_alu 0xf1ff
	s_delay_alu instid0(VALU_DEP_2)
	v_cndmask_b32_e64 v6, v5, v16, s10
	v_cndmask_b32_e64 v5, v19, v15, s10
	;; [unrolled: 1-line block ×4, first 2 shown]
	ds_store_b64 v25, v[3:4] offset:16
	ds_store_2addr_b64 v25, v[13:14], v[5:6] offset1:1
	s_wait_loadcnt_dscnt 0x0
	s_barrier_signal -1
	s_barrier_wait -1
	global_inv scope:SCOPE_SE
	s_and_saveexec_b32 s12, s0
	s_cbranch_execz .LBB155_6
; %bb.3:                                ;   in Loop: Header=BB155_2 Depth=1
	v_dual_mov_b32 v2, v94 :: v_dual_mov_b32 v1, v86
	s_mov_b32 s13, 0
.LBB155_4:                              ;   Parent Loop BB155_2 Depth=1
                                        ; =>  This Inner Loop Header: Depth=2
	s_delay_alu instid0(VALU_DEP_1) | instskip(NEXT) | instid1(VALU_DEP_1)
	v_sub_nc_u32_e32 v3, v1, v2
	v_lshrrev_b32_e32 v3, 1, v3
	s_delay_alu instid0(VALU_DEP_1) | instskip(NEXT) | instid1(VALU_DEP_1)
	v_add_nc_u32_e32 v13, v3, v2
	v_not_b32_e32 v3, v13
	v_lshl_add_u32 v4, v13, 3, v41
	s_delay_alu instid0(VALU_DEP_2)
	v_lshl_add_u32 v5, v3, 3, v63
	ds_load_b64 v[3:4], v4
	ds_load_b64 v[5:6], v5 offset:24
	s_wait_dscnt 0x0
	v_cmp_lt_i64_e64 s11, v[5:6], v[3:4]
	v_add_nc_u32_e32 v3, 1, v13
	s_wait_alu 0xf1ff
	s_delay_alu instid0(VALU_DEP_2) | instskip(NEXT) | instid1(VALU_DEP_2)
	v_cndmask_b32_e64 v1, v1, v13, s11
	v_cndmask_b32_e64 v2, v3, v2, s11
	s_delay_alu instid0(VALU_DEP_1)
	v_cmp_ge_i32_e64 s11, v2, v1
	s_wait_alu 0xfffe
	s_or_b32 s13, s11, s13
	s_wait_alu 0xfffe
	s_and_not1_b32 exec_lo, exec_lo, s13
	s_cbranch_execnz .LBB155_4
; %bb.5:                                ;   in Loop: Header=BB155_2 Depth=1
	s_or_b32 exec_lo, exec_lo, s13
.LBB155_6:                              ;   in Loop: Header=BB155_2 Depth=1
	s_wait_alu 0xfffe
	s_or_b32 exec_lo, exec_lo, s12
	v_sub_nc_u32_e32 v1, v71, v2
	v_lshl_add_u32 v4, v2, 3, v41
                                        ; implicit-def: $vgpr17_vgpr18
	s_delay_alu instid0(VALU_DEP_2)
	v_lshlrev_b32_e32 v3, 3, v1
	v_add_nc_u32_e32 v1, v2, v31
	v_sub_nc_u32_e32 v2, v78, v2
	ds_load_b64 v[13:14], v4
	ds_load_b64 v[15:16], v3 offset:24
	v_cmp_le_i32_e64 s12, v39, v1
	v_cmp_gt_i32_e64 s13, v40, v2
	s_wait_dscnt 0x0
	v_cmp_lt_i64_e64 s11, v[15:16], v[13:14]
	s_or_b32 s11, s12, s11
	s_wait_alu 0xfffe
	s_and_b32 s11, s13, s11
	s_wait_alu 0xfffe
	s_xor_b32 s12, s11, -1
	s_wait_alu 0xfffe
	s_and_saveexec_b32 s13, s12
	s_wait_alu 0xfffe
	s_xor_b32 s12, exec_lo, s13
; %bb.7:                                ;   in Loop: Header=BB155_2 Depth=1
	ds_load_b64 v[17:18], v4 offset:8
                                        ; implicit-def: $vgpr3
; %bb.8:                                ;   in Loop: Header=BB155_2 Depth=1
	s_wait_alu 0xfffe
	s_or_saveexec_b32 s12, s12
	v_dual_mov_b32 v20, v16 :: v_dual_mov_b32 v19, v15
	s_wait_alu 0xfffe
	s_xor_b32 exec_lo, exec_lo, s12
	s_cbranch_execz .LBB155_10
; %bb.9:                                ;   in Loop: Header=BB155_2 Depth=1
	ds_load_b64 v[19:20], v3 offset:32
	s_wait_dscnt 0x1
	v_dual_mov_b32 v18, v14 :: v_dual_mov_b32 v17, v13
.LBB155_10:                             ;   in Loop: Header=BB155_2 Depth=1
	s_or_b32 exec_lo, exec_lo, s12
	v_add_nc_u32_e32 v3, 1, v1
	v_add_nc_u32_e32 v4, 1, v2
	s_wait_dscnt 0x0
	v_cmp_lt_i64_e64 s12, v[19:20], v[17:18]
                                        ; implicit-def: $vgpr21_vgpr22
	s_delay_alu instid0(VALU_DEP_3) | instskip(NEXT) | instid1(VALU_DEP_3)
	v_cndmask_b32_e64 v3, v3, v1, s11
	v_cndmask_b32_e64 v4, v2, v4, s11
	s_delay_alu instid0(VALU_DEP_2) | instskip(NEXT) | instid1(VALU_DEP_2)
	v_cmp_ge_i32_e64 s13, v3, v39
	v_cmp_lt_i32_e64 s14, v4, v40
	s_or_b32 s12, s13, s12
	s_wait_alu 0xfffe
	s_and_b32 s12, s14, s12
	s_wait_alu 0xfffe
	s_xor_b32 s13, s12, -1
	s_wait_alu 0xfffe
	s_and_saveexec_b32 s14, s13
	s_delay_alu instid0(SALU_CYCLE_1)
	s_xor_b32 s13, exec_lo, s14
; %bb.11:                               ;   in Loop: Header=BB155_2 Depth=1
	v_lshlrev_b32_e32 v5, 3, v3
	ds_load_b64 v[21:22], v5 offset:8
; %bb.12:                               ;   in Loop: Header=BB155_2 Depth=1
	s_wait_alu 0xfffe
	s_or_saveexec_b32 s13, s13
	v_dual_mov_b32 v24, v20 :: v_dual_mov_b32 v23, v19
	s_wait_alu 0xfffe
	s_xor_b32 exec_lo, exec_lo, s13
	s_cbranch_execz .LBB155_14
; %bb.13:                               ;   in Loop: Header=BB155_2 Depth=1
	s_wait_dscnt 0x0
	v_dual_mov_b32 v22, v18 :: v_dual_lshlrev_b32 v5, 3, v4
	v_mov_b32_e32 v21, v17
	ds_load_b64 v[23:24], v5 offset:8
.LBB155_14:                             ;   in Loop: Header=BB155_2 Depth=1
	s_or_b32 exec_lo, exec_lo, s13
	v_add_nc_u32_e32 v6, 1, v3
	v_add_nc_u32_e32 v5, 1, v4
	v_cndmask_b32_e64 v103, v3, v4, s12
	v_cndmask_b32_e64 v104, v10, v12, s9
	;; [unrolled: 1-line block ×11, first 2 shown]
	s_wait_dscnt 0x0
	v_cmp_lt_i64_e64 s8, v[23:24], v[21:22]
	v_cndmask_b32_e64 v6, v12, v10, s9
	v_cmp_ge_i32_e64 s9, v106, v39
	v_cmp_lt_i32_e64 s13, v105, v40
	v_cndmask_b32_e64 v3, v7, v5, s10
	v_cndmask_b32_e64 v5, v5, v7, s10
	;; [unrolled: 1-line block ×3, first 2 shown]
	s_or_b32 s8, s9, s8
	v_cndmask_b32_e64 v6, v6, v8, s10
	s_wait_alu 0xfffe
	s_and_b32 s8, s13, s8
	s_wait_loadcnt 0x0
	s_wait_alu 0xfffe
	v_cndmask_b32_e64 v7, v106, v105, s8
	s_barrier_signal -1
	s_barrier_wait -1
	global_inv scope:SCOPE_SE
	ds_store_2addr_b64 v25, v[5:6], v[3:4] offset1:1
	ds_store_b64 v25, v[1:2] offset:16
	v_lshlrev_b32_e32 v1, 3, v107
	v_lshlrev_b32_e32 v3, 3, v103
	;; [unrolled: 1-line block ×3, first 2 shown]
	s_wait_loadcnt_dscnt 0x0
	s_barrier_signal -1
	s_barrier_wait -1
	global_inv scope:SCOPE_SE
	ds_load_b64 v[1:2], v1
	ds_load_b64 v[5:6], v3
	ds_load_b64 v[3:4], v4
	v_cndmask_b32_e64 v10, v18, v20, s12
	v_cndmask_b32_e64 v9, v17, v19, s12
	v_cndmask_b32_e64 v12, v14, v16, s11
	v_cndmask_b32_e64 v11, v13, v15, s11
	v_cndmask_b32_e64 v8, v22, v24, s8
	v_cndmask_b32_e64 v7, v21, v23, s8
	s_wait_loadcnt_dscnt 0x0
	s_barrier_signal -1
	s_barrier_wait -1
	global_inv scope:SCOPE_SE
	ds_store_2addr_b64 v25, v[11:12], v[9:10] offset1:1
	ds_store_b64 v25, v[7:8] offset:16
	v_mov_b32_e32 v11, v95
	s_wait_loadcnt_dscnt 0x0
	s_barrier_signal -1
	s_barrier_wait -1
	global_inv scope:SCOPE_SE
	s_and_saveexec_b32 s9, s1
	s_cbranch_execz .LBB155_18
; %bb.15:                               ;   in Loop: Header=BB155_2 Depth=1
	v_mov_b32_e32 v11, v95
	v_mov_b32_e32 v7, v87
	s_mov_b32 s10, 0
.LBB155_16:                             ;   Parent Loop BB155_2 Depth=1
                                        ; =>  This Inner Loop Header: Depth=2
	s_delay_alu instid0(VALU_DEP_1) | instskip(NEXT) | instid1(VALU_DEP_1)
	v_sub_nc_u32_e32 v8, v7, v11
	v_lshrrev_b32_e32 v8, 1, v8
	s_delay_alu instid0(VALU_DEP_1) | instskip(NEXT) | instid1(VALU_DEP_1)
	v_add_nc_u32_e32 v10, v8, v11
	v_not_b32_e32 v8, v10
	v_lshl_add_u32 v9, v10, 3, v44
	s_delay_alu instid0(VALU_DEP_2)
	v_lshl_add_u32 v12, v8, 3, v64
	ds_load_b64 v[8:9], v9
	ds_load_b64 v[12:13], v12 offset:48
	s_wait_dscnt 0x0
	v_cmp_lt_i64_e64 s8, v[12:13], v[8:9]
	v_add_nc_u32_e32 v8, 1, v10
	s_wait_alu 0xf1ff
	s_delay_alu instid0(VALU_DEP_2) | instskip(NEXT) | instid1(VALU_DEP_2)
	v_cndmask_b32_e64 v7, v7, v10, s8
	v_cndmask_b32_e64 v11, v8, v11, s8
	s_delay_alu instid0(VALU_DEP_1)
	v_cmp_ge_i32_e64 s8, v11, v7
	s_wait_alu 0xfffe
	s_or_b32 s10, s8, s10
	s_wait_alu 0xfffe
	s_and_not1_b32 exec_lo, exec_lo, s10
	s_cbranch_execnz .LBB155_16
; %bb.17:                               ;   in Loop: Header=BB155_2 Depth=1
	s_or_b32 exec_lo, exec_lo, s10
.LBB155_18:                             ;   in Loop: Header=BB155_2 Depth=1
	s_wait_alu 0xfffe
	s_or_b32 exec_lo, exec_lo, s9
	v_sub_nc_u32_e32 v7, v72, v11
	v_lshl_add_u32 v13, v11, 3, v44
	v_add_nc_u32_e32 v19, v11, v32
	v_sub_nc_u32_e32 v20, v79, v11
                                        ; implicit-def: $vgpr11_vgpr12
	s_delay_alu instid0(VALU_DEP_4)
	v_lshlrev_b32_e32 v15, 3, v7
	ds_load_b64 v[7:8], v13
	ds_load_b64 v[9:10], v15 offset:48
	v_cmp_le_i32_e64 s9, v42, v19
	v_cmp_gt_i32_e64 s10, v43, v20
	s_wait_dscnt 0x0
	v_cmp_lt_i64_e64 s8, v[9:10], v[7:8]
	s_or_b32 s8, s9, s8
	s_wait_alu 0xfffe
	s_and_b32 s8, s10, s8
	s_wait_alu 0xfffe
	s_xor_b32 s9, s8, -1
	s_wait_alu 0xfffe
	s_and_saveexec_b32 s10, s9
	s_wait_alu 0xfffe
	s_xor_b32 s9, exec_lo, s10
; %bb.19:                               ;   in Loop: Header=BB155_2 Depth=1
	ds_load_b64 v[11:12], v13 offset:8
                                        ; implicit-def: $vgpr15
; %bb.20:                               ;   in Loop: Header=BB155_2 Depth=1
	s_wait_alu 0xfffe
	s_or_saveexec_b32 s9, s9
	v_dual_mov_b32 v14, v10 :: v_dual_mov_b32 v13, v9
	s_wait_alu 0xfffe
	s_xor_b32 exec_lo, exec_lo, s9
	s_cbranch_execz .LBB155_22
; %bb.21:                               ;   in Loop: Header=BB155_2 Depth=1
	ds_load_b64 v[13:14], v15 offset:56
	s_wait_dscnt 0x1
	v_dual_mov_b32 v12, v8 :: v_dual_mov_b32 v11, v7
.LBB155_22:                             ;   in Loop: Header=BB155_2 Depth=1
	s_or_b32 exec_lo, exec_lo, s9
	v_add_nc_u32_e32 v15, 1, v19
	v_add_nc_u32_e32 v16, 1, v20
	s_wait_dscnt 0x0
	v_cmp_lt_i64_e64 s9, v[13:14], v[11:12]
	s_delay_alu instid0(VALU_DEP_3) | instskip(NEXT) | instid1(VALU_DEP_3)
	v_cndmask_b32_e64 v22, v15, v19, s8
	v_cndmask_b32_e64 v21, v20, v16, s8
                                        ; implicit-def: $vgpr15_vgpr16
	s_delay_alu instid0(VALU_DEP_2) | instskip(NEXT) | instid1(VALU_DEP_2)
	v_cmp_ge_i32_e64 s10, v22, v42
	v_cmp_lt_i32_e64 s11, v21, v43
	s_or_b32 s9, s10, s9
	s_wait_alu 0xfffe
	s_and_b32 s9, s11, s9
	s_wait_alu 0xfffe
	s_xor_b32 s10, s9, -1
	s_wait_alu 0xfffe
	s_and_saveexec_b32 s11, s10
	s_wait_alu 0xfffe
	s_xor_b32 s10, exec_lo, s11
; %bb.23:                               ;   in Loop: Header=BB155_2 Depth=1
	v_lshlrev_b32_e32 v15, 3, v22
	ds_load_b64 v[15:16], v15 offset:8
; %bb.24:                               ;   in Loop: Header=BB155_2 Depth=1
	s_wait_alu 0xfffe
	s_or_saveexec_b32 s10, s10
	v_dual_mov_b32 v18, v14 :: v_dual_mov_b32 v17, v13
	s_wait_alu 0xfffe
	s_xor_b32 exec_lo, exec_lo, s10
	s_cbranch_execz .LBB155_26
; %bb.25:                               ;   in Loop: Header=BB155_2 Depth=1
	s_wait_dscnt 0x0
	v_lshlrev_b32_e32 v15, 3, v21
	ds_load_b64 v[17:18], v15 offset:8
	v_dual_mov_b32 v16, v12 :: v_dual_mov_b32 v15, v11
.LBB155_26:                             ;   in Loop: Header=BB155_2 Depth=1
	s_or_b32 exec_lo, exec_lo, s10
	v_add_nc_u32_e32 v23, 1, v22
	v_add_nc_u32_e32 v24, 1, v21
	s_wait_dscnt 0x0
	v_cmp_lt_i64_e64 s10, v[17:18], v[15:16]
	v_cndmask_b32_e64 v19, v19, v20, s8
	s_wait_loadcnt 0x0
	v_cndmask_b32_e64 v23, v23, v22, s9
	v_cndmask_b32_e64 v22, v22, v21, s9
	;; [unrolled: 1-line block ×3, first 2 shown]
	s_barrier_signal -1
	s_barrier_wait -1
	v_cmp_ge_i32_e64 s11, v23, v42
	global_inv scope:SCOPE_SE
	v_cmp_lt_i32_e64 s12, v21, v43
	ds_store_2addr_b64 v25, v[1:2], v[5:6] offset1:1
	ds_store_b64 v25, v[3:4] offset:16
	v_lshlrev_b32_e32 v1, 3, v19
	s_or_b32 s10, s11, s10
	v_lshlrev_b32_e32 v3, 3, v22
	s_wait_alu 0xfffe
	s_and_b32 s10, s12, s10
	s_wait_loadcnt_dscnt 0x0
	s_wait_alu 0xfffe
	v_cndmask_b32_e64 v16, v16, v18, s10
	v_cndmask_b32_e64 v18, v23, v21, s10
	s_barrier_signal -1
	s_barrier_wait -1
	global_inv scope:SCOPE_SE
	v_cndmask_b32_e64 v12, v12, v14, s9
	v_lshlrev_b32_e32 v4, 3, v18
	v_cndmask_b32_e64 v11, v11, v13, s9
	ds_load_b64 v[1:2], v1
	ds_load_b64 v[5:6], v3
	;; [unrolled: 1-line block ×3, first 2 shown]
	v_cndmask_b32_e64 v8, v8, v10, s8
	v_cndmask_b32_e64 v7, v7, v9, s8
	;; [unrolled: 1-line block ×3, first 2 shown]
	s_wait_loadcnt_dscnt 0x0
	s_barrier_signal -1
	s_barrier_wait -1
	global_inv scope:SCOPE_SE
	ds_store_2addr_b64 v25, v[7:8], v[11:12] offset1:1
	ds_store_b64 v25, v[15:16] offset:16
	v_mov_b32_e32 v11, v96
	s_wait_loadcnt_dscnt 0x0
	s_barrier_signal -1
	s_barrier_wait -1
	global_inv scope:SCOPE_SE
	s_and_saveexec_b32 s9, s2
	s_cbranch_execz .LBB155_30
; %bb.27:                               ;   in Loop: Header=BB155_2 Depth=1
	v_mov_b32_e32 v11, v96
	v_mov_b32_e32 v7, v88
	s_mov_b32 s10, 0
.LBB155_28:                             ;   Parent Loop BB155_2 Depth=1
                                        ; =>  This Inner Loop Header: Depth=2
	s_delay_alu instid0(VALU_DEP_1) | instskip(NEXT) | instid1(VALU_DEP_1)
	v_sub_nc_u32_e32 v8, v7, v11
	v_lshrrev_b32_e32 v8, 1, v8
	s_delay_alu instid0(VALU_DEP_1) | instskip(NEXT) | instid1(VALU_DEP_1)
	v_add_nc_u32_e32 v10, v8, v11
	v_not_b32_e32 v8, v10
	v_lshl_add_u32 v9, v10, 3, v47
	s_delay_alu instid0(VALU_DEP_2)
	v_lshl_add_u32 v12, v8, 3, v65
	ds_load_b64 v[8:9], v9
	ds_load_b64 v[12:13], v12 offset:96
	s_wait_dscnt 0x0
	v_cmp_lt_i64_e64 s8, v[12:13], v[8:9]
	v_add_nc_u32_e32 v8, 1, v10
	s_wait_alu 0xf1ff
	s_delay_alu instid0(VALU_DEP_2) | instskip(NEXT) | instid1(VALU_DEP_2)
	v_cndmask_b32_e64 v7, v7, v10, s8
	v_cndmask_b32_e64 v11, v8, v11, s8
	s_delay_alu instid0(VALU_DEP_1)
	v_cmp_ge_i32_e64 s8, v11, v7
	s_wait_alu 0xfffe
	s_or_b32 s10, s8, s10
	s_wait_alu 0xfffe
	s_and_not1_b32 exec_lo, exec_lo, s10
	s_cbranch_execnz .LBB155_28
; %bb.29:                               ;   in Loop: Header=BB155_2 Depth=1
	s_or_b32 exec_lo, exec_lo, s10
.LBB155_30:                             ;   in Loop: Header=BB155_2 Depth=1
	s_wait_alu 0xfffe
	s_or_b32 exec_lo, exec_lo, s9
	v_sub_nc_u32_e32 v7, v73, v11
	v_lshl_add_u32 v13, v11, 3, v47
	v_add_nc_u32_e32 v19, v11, v33
	v_sub_nc_u32_e32 v20, v80, v11
                                        ; implicit-def: $vgpr11_vgpr12
	s_delay_alu instid0(VALU_DEP_4)
	v_lshlrev_b32_e32 v15, 3, v7
	ds_load_b64 v[7:8], v13
	ds_load_b64 v[9:10], v15 offset:96
	v_cmp_le_i32_e64 s9, v45, v19
	v_cmp_gt_i32_e64 s10, v46, v20
	s_wait_dscnt 0x0
	v_cmp_lt_i64_e64 s8, v[9:10], v[7:8]
	s_or_b32 s8, s9, s8
	s_wait_alu 0xfffe
	s_and_b32 s8, s10, s8
	s_wait_alu 0xfffe
	s_xor_b32 s9, s8, -1
	s_wait_alu 0xfffe
	s_and_saveexec_b32 s10, s9
	s_wait_alu 0xfffe
	s_xor_b32 s9, exec_lo, s10
; %bb.31:                               ;   in Loop: Header=BB155_2 Depth=1
	ds_load_b64 v[11:12], v13 offset:8
                                        ; implicit-def: $vgpr15
; %bb.32:                               ;   in Loop: Header=BB155_2 Depth=1
	s_wait_alu 0xfffe
	s_or_saveexec_b32 s9, s9
	v_dual_mov_b32 v14, v10 :: v_dual_mov_b32 v13, v9
	s_wait_alu 0xfffe
	s_xor_b32 exec_lo, exec_lo, s9
	s_cbranch_execz .LBB155_34
; %bb.33:                               ;   in Loop: Header=BB155_2 Depth=1
	ds_load_b64 v[13:14], v15 offset:104
	s_wait_dscnt 0x1
	v_dual_mov_b32 v12, v8 :: v_dual_mov_b32 v11, v7
.LBB155_34:                             ;   in Loop: Header=BB155_2 Depth=1
	s_or_b32 exec_lo, exec_lo, s9
	v_add_nc_u32_e32 v15, 1, v19
	v_add_nc_u32_e32 v16, 1, v20
	s_wait_dscnt 0x0
	v_cmp_lt_i64_e64 s9, v[13:14], v[11:12]
	s_delay_alu instid0(VALU_DEP_3) | instskip(NEXT) | instid1(VALU_DEP_3)
	v_cndmask_b32_e64 v22, v15, v19, s8
	v_cndmask_b32_e64 v21, v20, v16, s8
                                        ; implicit-def: $vgpr15_vgpr16
	s_delay_alu instid0(VALU_DEP_2) | instskip(NEXT) | instid1(VALU_DEP_2)
	v_cmp_ge_i32_e64 s10, v22, v45
	v_cmp_lt_i32_e64 s11, v21, v46
	s_or_b32 s9, s10, s9
	s_wait_alu 0xfffe
	s_and_b32 s9, s11, s9
	s_wait_alu 0xfffe
	s_xor_b32 s10, s9, -1
	s_wait_alu 0xfffe
	s_and_saveexec_b32 s11, s10
	s_wait_alu 0xfffe
	s_xor_b32 s10, exec_lo, s11
; %bb.35:                               ;   in Loop: Header=BB155_2 Depth=1
	v_lshlrev_b32_e32 v15, 3, v22
	ds_load_b64 v[15:16], v15 offset:8
; %bb.36:                               ;   in Loop: Header=BB155_2 Depth=1
	s_wait_alu 0xfffe
	s_or_saveexec_b32 s10, s10
	v_dual_mov_b32 v18, v14 :: v_dual_mov_b32 v17, v13
	s_wait_alu 0xfffe
	s_xor_b32 exec_lo, exec_lo, s10
	s_cbranch_execz .LBB155_38
; %bb.37:                               ;   in Loop: Header=BB155_2 Depth=1
	s_wait_dscnt 0x0
	v_lshlrev_b32_e32 v15, 3, v21
	ds_load_b64 v[17:18], v15 offset:8
	v_dual_mov_b32 v16, v12 :: v_dual_mov_b32 v15, v11
.LBB155_38:                             ;   in Loop: Header=BB155_2 Depth=1
	s_or_b32 exec_lo, exec_lo, s10
	v_add_nc_u32_e32 v23, 1, v22
	v_add_nc_u32_e32 v24, 1, v21
	s_wait_dscnt 0x0
	v_cmp_lt_i64_e64 s10, v[17:18], v[15:16]
	v_cndmask_b32_e64 v19, v19, v20, s8
	s_wait_loadcnt 0x0
	v_cndmask_b32_e64 v23, v23, v22, s9
	v_cndmask_b32_e64 v22, v22, v21, s9
	;; [unrolled: 1-line block ×3, first 2 shown]
	s_barrier_signal -1
	s_barrier_wait -1
	v_cmp_ge_i32_e64 s11, v23, v45
	global_inv scope:SCOPE_SE
	v_cmp_lt_i32_e64 s12, v21, v46
	ds_store_2addr_b64 v25, v[1:2], v[5:6] offset1:1
	ds_store_b64 v25, v[3:4] offset:16
	v_lshlrev_b32_e32 v1, 3, v19
	s_or_b32 s10, s11, s10
	v_lshlrev_b32_e32 v3, 3, v22
	s_wait_alu 0xfffe
	s_and_b32 s10, s12, s10
	s_wait_loadcnt_dscnt 0x0
	s_wait_alu 0xfffe
	v_cndmask_b32_e64 v16, v16, v18, s10
	v_cndmask_b32_e64 v18, v23, v21, s10
	s_barrier_signal -1
	s_barrier_wait -1
	global_inv scope:SCOPE_SE
	v_cndmask_b32_e64 v12, v12, v14, s9
	v_lshlrev_b32_e32 v4, 3, v18
	v_cndmask_b32_e64 v11, v11, v13, s9
	ds_load_b64 v[1:2], v1
	ds_load_b64 v[5:6], v3
	;; [unrolled: 1-line block ×3, first 2 shown]
	v_cndmask_b32_e64 v8, v8, v10, s8
	v_cndmask_b32_e64 v7, v7, v9, s8
	;; [unrolled: 1-line block ×3, first 2 shown]
	s_wait_loadcnt_dscnt 0x0
	s_barrier_signal -1
	s_barrier_wait -1
	global_inv scope:SCOPE_SE
	ds_store_2addr_b64 v25, v[7:8], v[11:12] offset1:1
	ds_store_b64 v25, v[15:16] offset:16
	v_mov_b32_e32 v11, v97
	s_wait_loadcnt_dscnt 0x0
	s_barrier_signal -1
	s_barrier_wait -1
	global_inv scope:SCOPE_SE
	s_and_saveexec_b32 s9, s3
	s_cbranch_execz .LBB155_42
; %bb.39:                               ;   in Loop: Header=BB155_2 Depth=1
	v_mov_b32_e32 v11, v97
	v_mov_b32_e32 v7, v89
	s_mov_b32 s10, 0
.LBB155_40:                             ;   Parent Loop BB155_2 Depth=1
                                        ; =>  This Inner Loop Header: Depth=2
	s_delay_alu instid0(VALU_DEP_1) | instskip(NEXT) | instid1(VALU_DEP_1)
	v_sub_nc_u32_e32 v8, v7, v11
	v_lshrrev_b32_e32 v8, 1, v8
	s_delay_alu instid0(VALU_DEP_1) | instskip(NEXT) | instid1(VALU_DEP_1)
	v_add_nc_u32_e32 v10, v8, v11
	v_not_b32_e32 v8, v10
	v_lshl_add_u32 v9, v10, 3, v50
	s_delay_alu instid0(VALU_DEP_2)
	v_lshl_add_u32 v12, v8, 3, v66
	ds_load_b64 v[8:9], v9
	ds_load_b64 v[12:13], v12 offset:192
	s_wait_dscnt 0x0
	v_cmp_lt_i64_e64 s8, v[12:13], v[8:9]
	v_add_nc_u32_e32 v8, 1, v10
	s_wait_alu 0xf1ff
	s_delay_alu instid0(VALU_DEP_2) | instskip(NEXT) | instid1(VALU_DEP_2)
	v_cndmask_b32_e64 v7, v7, v10, s8
	v_cndmask_b32_e64 v11, v8, v11, s8
	s_delay_alu instid0(VALU_DEP_1)
	v_cmp_ge_i32_e64 s8, v11, v7
	s_wait_alu 0xfffe
	s_or_b32 s10, s8, s10
	s_wait_alu 0xfffe
	s_and_not1_b32 exec_lo, exec_lo, s10
	s_cbranch_execnz .LBB155_40
; %bb.41:                               ;   in Loop: Header=BB155_2 Depth=1
	s_or_b32 exec_lo, exec_lo, s10
.LBB155_42:                             ;   in Loop: Header=BB155_2 Depth=1
	s_wait_alu 0xfffe
	s_or_b32 exec_lo, exec_lo, s9
	v_sub_nc_u32_e32 v7, v74, v11
	v_lshl_add_u32 v13, v11, 3, v50
	v_add_nc_u32_e32 v19, v11, v34
	v_sub_nc_u32_e32 v20, v81, v11
                                        ; implicit-def: $vgpr11_vgpr12
	s_delay_alu instid0(VALU_DEP_4)
	v_lshlrev_b32_e32 v15, 3, v7
	ds_load_b64 v[7:8], v13
	ds_load_b64 v[9:10], v15 offset:192
	v_cmp_le_i32_e64 s9, v48, v19
	v_cmp_gt_i32_e64 s10, v49, v20
	s_wait_dscnt 0x0
	v_cmp_lt_i64_e64 s8, v[9:10], v[7:8]
	s_or_b32 s8, s9, s8
	s_wait_alu 0xfffe
	s_and_b32 s8, s10, s8
	s_wait_alu 0xfffe
	s_xor_b32 s9, s8, -1
	s_wait_alu 0xfffe
	s_and_saveexec_b32 s10, s9
	s_wait_alu 0xfffe
	s_xor_b32 s9, exec_lo, s10
; %bb.43:                               ;   in Loop: Header=BB155_2 Depth=1
	ds_load_b64 v[11:12], v13 offset:8
                                        ; implicit-def: $vgpr15
; %bb.44:                               ;   in Loop: Header=BB155_2 Depth=1
	s_wait_alu 0xfffe
	s_or_saveexec_b32 s9, s9
	v_dual_mov_b32 v14, v10 :: v_dual_mov_b32 v13, v9
	s_wait_alu 0xfffe
	s_xor_b32 exec_lo, exec_lo, s9
	s_cbranch_execz .LBB155_46
; %bb.45:                               ;   in Loop: Header=BB155_2 Depth=1
	ds_load_b64 v[13:14], v15 offset:200
	s_wait_dscnt 0x1
	v_dual_mov_b32 v12, v8 :: v_dual_mov_b32 v11, v7
.LBB155_46:                             ;   in Loop: Header=BB155_2 Depth=1
	s_or_b32 exec_lo, exec_lo, s9
	v_add_nc_u32_e32 v15, 1, v19
	v_add_nc_u32_e32 v16, 1, v20
	s_wait_dscnt 0x0
	v_cmp_lt_i64_e64 s9, v[13:14], v[11:12]
	s_delay_alu instid0(VALU_DEP_3) | instskip(NEXT) | instid1(VALU_DEP_3)
	v_cndmask_b32_e64 v22, v15, v19, s8
	v_cndmask_b32_e64 v21, v20, v16, s8
                                        ; implicit-def: $vgpr15_vgpr16
	s_delay_alu instid0(VALU_DEP_2) | instskip(NEXT) | instid1(VALU_DEP_2)
	v_cmp_ge_i32_e64 s10, v22, v48
	v_cmp_lt_i32_e64 s11, v21, v49
	s_or_b32 s9, s10, s9
	s_wait_alu 0xfffe
	s_and_b32 s9, s11, s9
	s_wait_alu 0xfffe
	s_xor_b32 s10, s9, -1
	s_wait_alu 0xfffe
	s_and_saveexec_b32 s11, s10
	s_wait_alu 0xfffe
	s_xor_b32 s10, exec_lo, s11
; %bb.47:                               ;   in Loop: Header=BB155_2 Depth=1
	v_lshlrev_b32_e32 v15, 3, v22
	ds_load_b64 v[15:16], v15 offset:8
; %bb.48:                               ;   in Loop: Header=BB155_2 Depth=1
	s_wait_alu 0xfffe
	s_or_saveexec_b32 s10, s10
	v_dual_mov_b32 v18, v14 :: v_dual_mov_b32 v17, v13
	s_wait_alu 0xfffe
	s_xor_b32 exec_lo, exec_lo, s10
	s_cbranch_execz .LBB155_50
; %bb.49:                               ;   in Loop: Header=BB155_2 Depth=1
	s_wait_dscnt 0x0
	v_lshlrev_b32_e32 v15, 3, v21
	ds_load_b64 v[17:18], v15 offset:8
	v_dual_mov_b32 v16, v12 :: v_dual_mov_b32 v15, v11
.LBB155_50:                             ;   in Loop: Header=BB155_2 Depth=1
	s_or_b32 exec_lo, exec_lo, s10
	v_add_nc_u32_e32 v23, 1, v22
	v_add_nc_u32_e32 v24, 1, v21
	s_wait_dscnt 0x0
	v_cmp_lt_i64_e64 s10, v[17:18], v[15:16]
	v_cndmask_b32_e64 v19, v19, v20, s8
	s_wait_loadcnt 0x0
	v_cndmask_b32_e64 v23, v23, v22, s9
	v_cndmask_b32_e64 v22, v22, v21, s9
	;; [unrolled: 1-line block ×3, first 2 shown]
	s_barrier_signal -1
	s_barrier_wait -1
	v_cmp_ge_i32_e64 s11, v23, v48
	global_inv scope:SCOPE_SE
	v_cmp_lt_i32_e64 s12, v21, v49
	ds_store_2addr_b64 v25, v[1:2], v[5:6] offset1:1
	ds_store_b64 v25, v[3:4] offset:16
	v_lshlrev_b32_e32 v1, 3, v19
	s_or_b32 s10, s11, s10
	v_lshlrev_b32_e32 v3, 3, v22
	s_wait_alu 0xfffe
	s_and_b32 s10, s12, s10
	s_wait_loadcnt_dscnt 0x0
	s_wait_alu 0xfffe
	v_cndmask_b32_e64 v16, v16, v18, s10
	v_cndmask_b32_e64 v18, v23, v21, s10
	s_barrier_signal -1
	s_barrier_wait -1
	global_inv scope:SCOPE_SE
	v_cndmask_b32_e64 v12, v12, v14, s9
	v_lshlrev_b32_e32 v4, 3, v18
	v_cndmask_b32_e64 v11, v11, v13, s9
	ds_load_b64 v[1:2], v1
	ds_load_b64 v[5:6], v3
	;; [unrolled: 1-line block ×3, first 2 shown]
	v_cndmask_b32_e64 v8, v8, v10, s8
	v_cndmask_b32_e64 v7, v7, v9, s8
	;; [unrolled: 1-line block ×3, first 2 shown]
	s_wait_loadcnt_dscnt 0x0
	s_barrier_signal -1
	s_barrier_wait -1
	global_inv scope:SCOPE_SE
	ds_store_2addr_b64 v25, v[7:8], v[11:12] offset1:1
	ds_store_b64 v25, v[15:16] offset:16
	v_mov_b32_e32 v11, v98
	s_wait_loadcnt_dscnt 0x0
	s_barrier_signal -1
	s_barrier_wait -1
	global_inv scope:SCOPE_SE
	s_and_saveexec_b32 s9, s4
	s_cbranch_execz .LBB155_54
; %bb.51:                               ;   in Loop: Header=BB155_2 Depth=1
	v_mov_b32_e32 v11, v98
	v_mov_b32_e32 v7, v90
	s_mov_b32 s10, 0
.LBB155_52:                             ;   Parent Loop BB155_2 Depth=1
                                        ; =>  This Inner Loop Header: Depth=2
	s_delay_alu instid0(VALU_DEP_1) | instskip(NEXT) | instid1(VALU_DEP_1)
	v_sub_nc_u32_e32 v8, v7, v11
	v_lshrrev_b32_e32 v8, 1, v8
	s_delay_alu instid0(VALU_DEP_1) | instskip(NEXT) | instid1(VALU_DEP_1)
	v_add_nc_u32_e32 v10, v8, v11
	v_not_b32_e32 v8, v10
	v_lshl_add_u32 v9, v10, 3, v53
	s_delay_alu instid0(VALU_DEP_2)
	v_lshl_add_u32 v12, v8, 3, v67
	ds_load_b64 v[8:9], v9
	ds_load_b64 v[12:13], v12 offset:384
	s_wait_dscnt 0x0
	v_cmp_lt_i64_e64 s8, v[12:13], v[8:9]
	v_add_nc_u32_e32 v8, 1, v10
	s_wait_alu 0xf1ff
	s_delay_alu instid0(VALU_DEP_2) | instskip(NEXT) | instid1(VALU_DEP_2)
	v_cndmask_b32_e64 v7, v7, v10, s8
	v_cndmask_b32_e64 v11, v8, v11, s8
	s_delay_alu instid0(VALU_DEP_1)
	v_cmp_ge_i32_e64 s8, v11, v7
	s_wait_alu 0xfffe
	s_or_b32 s10, s8, s10
	s_wait_alu 0xfffe
	s_and_not1_b32 exec_lo, exec_lo, s10
	s_cbranch_execnz .LBB155_52
; %bb.53:                               ;   in Loop: Header=BB155_2 Depth=1
	s_or_b32 exec_lo, exec_lo, s10
.LBB155_54:                             ;   in Loop: Header=BB155_2 Depth=1
	s_wait_alu 0xfffe
	s_or_b32 exec_lo, exec_lo, s9
	v_sub_nc_u32_e32 v7, v75, v11
	v_lshl_add_u32 v13, v11, 3, v53
	v_add_nc_u32_e32 v19, v11, v35
	v_sub_nc_u32_e32 v20, v82, v11
                                        ; implicit-def: $vgpr11_vgpr12
	s_delay_alu instid0(VALU_DEP_4)
	v_lshlrev_b32_e32 v15, 3, v7
	ds_load_b64 v[7:8], v13
	ds_load_b64 v[9:10], v15 offset:384
	v_cmp_le_i32_e64 s9, v51, v19
	v_cmp_gt_i32_e64 s10, v52, v20
	s_wait_dscnt 0x0
	v_cmp_lt_i64_e64 s8, v[9:10], v[7:8]
	s_or_b32 s8, s9, s8
	s_wait_alu 0xfffe
	s_and_b32 s8, s10, s8
	s_wait_alu 0xfffe
	s_xor_b32 s9, s8, -1
	s_wait_alu 0xfffe
	s_and_saveexec_b32 s10, s9
	s_wait_alu 0xfffe
	s_xor_b32 s9, exec_lo, s10
; %bb.55:                               ;   in Loop: Header=BB155_2 Depth=1
	ds_load_b64 v[11:12], v13 offset:8
                                        ; implicit-def: $vgpr15
; %bb.56:                               ;   in Loop: Header=BB155_2 Depth=1
	s_wait_alu 0xfffe
	s_or_saveexec_b32 s9, s9
	v_dual_mov_b32 v14, v10 :: v_dual_mov_b32 v13, v9
	s_wait_alu 0xfffe
	s_xor_b32 exec_lo, exec_lo, s9
	s_cbranch_execz .LBB155_58
; %bb.57:                               ;   in Loop: Header=BB155_2 Depth=1
	ds_load_b64 v[13:14], v15 offset:392
	s_wait_dscnt 0x1
	v_dual_mov_b32 v12, v8 :: v_dual_mov_b32 v11, v7
.LBB155_58:                             ;   in Loop: Header=BB155_2 Depth=1
	s_or_b32 exec_lo, exec_lo, s9
	v_add_nc_u32_e32 v15, 1, v19
	v_add_nc_u32_e32 v16, 1, v20
	s_wait_dscnt 0x0
	v_cmp_lt_i64_e64 s9, v[13:14], v[11:12]
	s_delay_alu instid0(VALU_DEP_3) | instskip(NEXT) | instid1(VALU_DEP_3)
	v_cndmask_b32_e64 v22, v15, v19, s8
	v_cndmask_b32_e64 v21, v20, v16, s8
                                        ; implicit-def: $vgpr15_vgpr16
	s_delay_alu instid0(VALU_DEP_2) | instskip(NEXT) | instid1(VALU_DEP_2)
	v_cmp_ge_i32_e64 s10, v22, v51
	v_cmp_lt_i32_e64 s11, v21, v52
	s_or_b32 s9, s10, s9
	s_wait_alu 0xfffe
	s_and_b32 s9, s11, s9
	s_wait_alu 0xfffe
	s_xor_b32 s10, s9, -1
	s_wait_alu 0xfffe
	s_and_saveexec_b32 s11, s10
	s_wait_alu 0xfffe
	s_xor_b32 s10, exec_lo, s11
; %bb.59:                               ;   in Loop: Header=BB155_2 Depth=1
	v_lshlrev_b32_e32 v15, 3, v22
	ds_load_b64 v[15:16], v15 offset:8
; %bb.60:                               ;   in Loop: Header=BB155_2 Depth=1
	s_wait_alu 0xfffe
	s_or_saveexec_b32 s10, s10
	v_dual_mov_b32 v18, v14 :: v_dual_mov_b32 v17, v13
	s_wait_alu 0xfffe
	s_xor_b32 exec_lo, exec_lo, s10
	s_cbranch_execz .LBB155_62
; %bb.61:                               ;   in Loop: Header=BB155_2 Depth=1
	s_wait_dscnt 0x0
	v_lshlrev_b32_e32 v15, 3, v21
	ds_load_b64 v[17:18], v15 offset:8
	v_dual_mov_b32 v16, v12 :: v_dual_mov_b32 v15, v11
.LBB155_62:                             ;   in Loop: Header=BB155_2 Depth=1
	s_or_b32 exec_lo, exec_lo, s10
	v_add_nc_u32_e32 v23, 1, v22
	v_add_nc_u32_e32 v24, 1, v21
	s_wait_dscnt 0x0
	v_cmp_lt_i64_e64 s10, v[17:18], v[15:16]
	v_cndmask_b32_e64 v19, v19, v20, s8
	s_wait_loadcnt 0x0
	v_cndmask_b32_e64 v23, v23, v22, s9
	v_cndmask_b32_e64 v22, v22, v21, s9
	;; [unrolled: 1-line block ×3, first 2 shown]
	s_barrier_signal -1
	s_barrier_wait -1
	v_cmp_ge_i32_e64 s11, v23, v51
	global_inv scope:SCOPE_SE
	v_cmp_lt_i32_e64 s12, v21, v52
	ds_store_2addr_b64 v25, v[1:2], v[5:6] offset1:1
	ds_store_b64 v25, v[3:4] offset:16
	v_lshlrev_b32_e32 v1, 3, v19
	s_or_b32 s10, s11, s10
	v_lshlrev_b32_e32 v3, 3, v22
	s_wait_alu 0xfffe
	s_and_b32 s10, s12, s10
	s_wait_loadcnt_dscnt 0x0
	s_wait_alu 0xfffe
	v_cndmask_b32_e64 v16, v16, v18, s10
	v_cndmask_b32_e64 v18, v23, v21, s10
	s_barrier_signal -1
	s_barrier_wait -1
	global_inv scope:SCOPE_SE
	v_cndmask_b32_e64 v12, v12, v14, s9
	v_lshlrev_b32_e32 v4, 3, v18
	v_cndmask_b32_e64 v11, v11, v13, s9
	ds_load_b64 v[1:2], v1
	ds_load_b64 v[5:6], v3
	;; [unrolled: 1-line block ×3, first 2 shown]
	v_cndmask_b32_e64 v8, v8, v10, s8
	v_cndmask_b32_e64 v7, v7, v9, s8
	;; [unrolled: 1-line block ×3, first 2 shown]
	s_wait_loadcnt_dscnt 0x0
	s_barrier_signal -1
	s_barrier_wait -1
	global_inv scope:SCOPE_SE
	ds_store_2addr_b64 v25, v[7:8], v[11:12] offset1:1
	ds_store_b64 v25, v[15:16] offset:16
	v_mov_b32_e32 v11, v99
	s_wait_loadcnt_dscnt 0x0
	s_barrier_signal -1
	s_barrier_wait -1
	global_inv scope:SCOPE_SE
	s_and_saveexec_b32 s9, s5
	s_cbranch_execz .LBB155_66
; %bb.63:                               ;   in Loop: Header=BB155_2 Depth=1
	v_mov_b32_e32 v11, v99
	v_mov_b32_e32 v7, v91
	s_mov_b32 s10, 0
.LBB155_64:                             ;   Parent Loop BB155_2 Depth=1
                                        ; =>  This Inner Loop Header: Depth=2
	s_delay_alu instid0(VALU_DEP_1) | instskip(NEXT) | instid1(VALU_DEP_1)
	v_sub_nc_u32_e32 v8, v7, v11
	v_lshrrev_b32_e32 v8, 1, v8
	s_delay_alu instid0(VALU_DEP_1) | instskip(NEXT) | instid1(VALU_DEP_1)
	v_add_nc_u32_e32 v10, v8, v11
	v_not_b32_e32 v8, v10
	v_lshl_add_u32 v9, v10, 3, v56
	s_delay_alu instid0(VALU_DEP_2)
	v_lshl_add_u32 v12, v8, 3, v68
	ds_load_b64 v[8:9], v9
	ds_load_b64 v[12:13], v12 offset:768
	s_wait_dscnt 0x0
	v_cmp_lt_i64_e64 s8, v[12:13], v[8:9]
	v_add_nc_u32_e32 v8, 1, v10
	s_wait_alu 0xf1ff
	s_delay_alu instid0(VALU_DEP_2) | instskip(NEXT) | instid1(VALU_DEP_2)
	v_cndmask_b32_e64 v7, v7, v10, s8
	v_cndmask_b32_e64 v11, v8, v11, s8
	s_delay_alu instid0(VALU_DEP_1)
	v_cmp_ge_i32_e64 s8, v11, v7
	s_wait_alu 0xfffe
	s_or_b32 s10, s8, s10
	s_wait_alu 0xfffe
	s_and_not1_b32 exec_lo, exec_lo, s10
	s_cbranch_execnz .LBB155_64
; %bb.65:                               ;   in Loop: Header=BB155_2 Depth=1
	s_or_b32 exec_lo, exec_lo, s10
.LBB155_66:                             ;   in Loop: Header=BB155_2 Depth=1
	s_wait_alu 0xfffe
	s_or_b32 exec_lo, exec_lo, s9
	v_sub_nc_u32_e32 v7, v76, v11
	v_lshl_add_u32 v13, v11, 3, v56
	v_add_nc_u32_e32 v19, v11, v36
	v_sub_nc_u32_e32 v20, v83, v11
                                        ; implicit-def: $vgpr11_vgpr12
	s_delay_alu instid0(VALU_DEP_4)
	v_lshlrev_b32_e32 v15, 3, v7
	ds_load_b64 v[7:8], v13
	ds_load_b64 v[9:10], v15 offset:768
	v_cmp_le_i32_e64 s9, v54, v19
	v_cmp_gt_i32_e64 s10, v55, v20
	s_wait_dscnt 0x0
	v_cmp_lt_i64_e64 s8, v[9:10], v[7:8]
	s_or_b32 s8, s9, s8
	s_wait_alu 0xfffe
	s_and_b32 s8, s10, s8
	s_wait_alu 0xfffe
	s_xor_b32 s9, s8, -1
	s_wait_alu 0xfffe
	s_and_saveexec_b32 s10, s9
	s_wait_alu 0xfffe
	s_xor_b32 s9, exec_lo, s10
; %bb.67:                               ;   in Loop: Header=BB155_2 Depth=1
	ds_load_b64 v[11:12], v13 offset:8
                                        ; implicit-def: $vgpr15
; %bb.68:                               ;   in Loop: Header=BB155_2 Depth=1
	s_wait_alu 0xfffe
	s_or_saveexec_b32 s9, s9
	v_dual_mov_b32 v14, v10 :: v_dual_mov_b32 v13, v9
	s_wait_alu 0xfffe
	s_xor_b32 exec_lo, exec_lo, s9
	s_cbranch_execz .LBB155_70
; %bb.69:                               ;   in Loop: Header=BB155_2 Depth=1
	ds_load_b64 v[13:14], v15 offset:776
	s_wait_dscnt 0x1
	v_dual_mov_b32 v12, v8 :: v_dual_mov_b32 v11, v7
.LBB155_70:                             ;   in Loop: Header=BB155_2 Depth=1
	s_or_b32 exec_lo, exec_lo, s9
	v_add_nc_u32_e32 v15, 1, v19
	v_add_nc_u32_e32 v16, 1, v20
	s_wait_dscnt 0x0
	v_cmp_lt_i64_e64 s9, v[13:14], v[11:12]
	s_delay_alu instid0(VALU_DEP_3) | instskip(NEXT) | instid1(VALU_DEP_3)
	v_cndmask_b32_e64 v22, v15, v19, s8
	v_cndmask_b32_e64 v21, v20, v16, s8
                                        ; implicit-def: $vgpr15_vgpr16
	s_delay_alu instid0(VALU_DEP_2) | instskip(NEXT) | instid1(VALU_DEP_2)
	v_cmp_ge_i32_e64 s10, v22, v54
	v_cmp_lt_i32_e64 s11, v21, v55
	s_or_b32 s9, s10, s9
	s_wait_alu 0xfffe
	s_and_b32 s9, s11, s9
	s_wait_alu 0xfffe
	s_xor_b32 s10, s9, -1
	s_wait_alu 0xfffe
	s_and_saveexec_b32 s11, s10
	s_wait_alu 0xfffe
	s_xor_b32 s10, exec_lo, s11
; %bb.71:                               ;   in Loop: Header=BB155_2 Depth=1
	v_lshlrev_b32_e32 v15, 3, v22
	ds_load_b64 v[15:16], v15 offset:8
; %bb.72:                               ;   in Loop: Header=BB155_2 Depth=1
	s_wait_alu 0xfffe
	s_or_saveexec_b32 s10, s10
	v_dual_mov_b32 v18, v14 :: v_dual_mov_b32 v17, v13
	s_wait_alu 0xfffe
	s_xor_b32 exec_lo, exec_lo, s10
	s_cbranch_execz .LBB155_74
; %bb.73:                               ;   in Loop: Header=BB155_2 Depth=1
	s_wait_dscnt 0x0
	v_lshlrev_b32_e32 v15, 3, v21
	ds_load_b64 v[17:18], v15 offset:8
	v_dual_mov_b32 v16, v12 :: v_dual_mov_b32 v15, v11
.LBB155_74:                             ;   in Loop: Header=BB155_2 Depth=1
	s_or_b32 exec_lo, exec_lo, s10
	v_add_nc_u32_e32 v23, 1, v22
	v_add_nc_u32_e32 v24, 1, v21
	s_wait_dscnt 0x0
	v_cmp_lt_i64_e64 s10, v[17:18], v[15:16]
	v_cndmask_b32_e64 v19, v19, v20, s8
	s_wait_loadcnt 0x0
	v_cndmask_b32_e64 v23, v23, v22, s9
	v_cndmask_b32_e64 v22, v22, v21, s9
	;; [unrolled: 1-line block ×3, first 2 shown]
	s_barrier_signal -1
	s_barrier_wait -1
	v_cmp_ge_i32_e64 s11, v23, v54
	global_inv scope:SCOPE_SE
	v_cmp_lt_i32_e64 s12, v21, v55
	ds_store_2addr_b64 v25, v[1:2], v[5:6] offset1:1
	ds_store_b64 v25, v[3:4] offset:16
	v_lshlrev_b32_e32 v1, 3, v19
	s_or_b32 s10, s11, s10
	v_lshlrev_b32_e32 v3, 3, v22
	s_wait_alu 0xfffe
	s_and_b32 s10, s12, s10
	s_wait_loadcnt_dscnt 0x0
	s_wait_alu 0xfffe
	v_cndmask_b32_e64 v16, v16, v18, s10
	v_cndmask_b32_e64 v18, v23, v21, s10
	s_barrier_signal -1
	s_barrier_wait -1
	global_inv scope:SCOPE_SE
	v_cndmask_b32_e64 v12, v12, v14, s9
	v_lshlrev_b32_e32 v4, 3, v18
	v_cndmask_b32_e64 v11, v11, v13, s9
	ds_load_b64 v[1:2], v1
	ds_load_b64 v[5:6], v3
	ds_load_b64 v[3:4], v4
	v_cndmask_b32_e64 v8, v8, v10, s8
	v_cndmask_b32_e64 v7, v7, v9, s8
	;; [unrolled: 1-line block ×3, first 2 shown]
	s_wait_loadcnt_dscnt 0x0
	s_barrier_signal -1
	s_barrier_wait -1
	global_inv scope:SCOPE_SE
	ds_store_2addr_b64 v25, v[7:8], v[11:12] offset1:1
	ds_store_b64 v25, v[15:16] offset:16
	v_mov_b32_e32 v11, v100
	s_wait_loadcnt_dscnt 0x0
	s_barrier_signal -1
	s_barrier_wait -1
	global_inv scope:SCOPE_SE
	s_and_saveexec_b32 s9, s6
	s_cbranch_execz .LBB155_78
; %bb.75:                               ;   in Loop: Header=BB155_2 Depth=1
	v_mov_b32_e32 v11, v100
	v_mov_b32_e32 v7, v92
	s_mov_b32 s10, 0
.LBB155_76:                             ;   Parent Loop BB155_2 Depth=1
                                        ; =>  This Inner Loop Header: Depth=2
	s_delay_alu instid0(VALU_DEP_1) | instskip(NEXT) | instid1(VALU_DEP_1)
	v_sub_nc_u32_e32 v8, v7, v11
	v_lshrrev_b32_e32 v8, 1, v8
	s_delay_alu instid0(VALU_DEP_1) | instskip(NEXT) | instid1(VALU_DEP_1)
	v_add_nc_u32_e32 v10, v8, v11
	v_not_b32_e32 v8, v10
	v_lshl_add_u32 v9, v10, 3, v59
	s_delay_alu instid0(VALU_DEP_2)
	v_lshl_add_u32 v12, v8, 3, v69
	ds_load_b64 v[8:9], v9
	ds_load_b64 v[12:13], v12 offset:1536
	s_wait_dscnt 0x0
	v_cmp_lt_i64_e64 s8, v[12:13], v[8:9]
	v_add_nc_u32_e32 v8, 1, v10
	s_wait_alu 0xf1ff
	s_delay_alu instid0(VALU_DEP_2) | instskip(NEXT) | instid1(VALU_DEP_2)
	v_cndmask_b32_e64 v7, v7, v10, s8
	v_cndmask_b32_e64 v11, v8, v11, s8
	s_delay_alu instid0(VALU_DEP_1)
	v_cmp_ge_i32_e64 s8, v11, v7
	s_wait_alu 0xfffe
	s_or_b32 s10, s8, s10
	s_wait_alu 0xfffe
	s_and_not1_b32 exec_lo, exec_lo, s10
	s_cbranch_execnz .LBB155_76
; %bb.77:                               ;   in Loop: Header=BB155_2 Depth=1
	s_or_b32 exec_lo, exec_lo, s10
.LBB155_78:                             ;   in Loop: Header=BB155_2 Depth=1
	s_wait_alu 0xfffe
	s_or_b32 exec_lo, exec_lo, s9
	v_sub_nc_u32_e32 v7, v77, v11
	v_lshl_add_u32 v13, v11, 3, v59
	v_add_nc_u32_e32 v19, v11, v37
	v_sub_nc_u32_e32 v20, v84, v11
                                        ; implicit-def: $vgpr11_vgpr12
	s_delay_alu instid0(VALU_DEP_4)
	v_lshlrev_b32_e32 v15, 3, v7
	ds_load_b64 v[7:8], v13
	ds_load_b64 v[9:10], v15 offset:1536
	v_cmp_le_i32_e64 s9, v57, v19
	v_cmp_gt_i32_e64 s10, v58, v20
	s_wait_dscnt 0x0
	v_cmp_lt_i64_e64 s8, v[9:10], v[7:8]
	s_or_b32 s8, s9, s8
	s_wait_alu 0xfffe
	s_and_b32 s8, s10, s8
	s_wait_alu 0xfffe
	s_xor_b32 s9, s8, -1
	s_wait_alu 0xfffe
	s_and_saveexec_b32 s10, s9
	s_wait_alu 0xfffe
	s_xor_b32 s9, exec_lo, s10
; %bb.79:                               ;   in Loop: Header=BB155_2 Depth=1
	ds_load_b64 v[11:12], v13 offset:8
                                        ; implicit-def: $vgpr15
; %bb.80:                               ;   in Loop: Header=BB155_2 Depth=1
	s_wait_alu 0xfffe
	s_or_saveexec_b32 s9, s9
	v_dual_mov_b32 v14, v10 :: v_dual_mov_b32 v13, v9
	s_wait_alu 0xfffe
	s_xor_b32 exec_lo, exec_lo, s9
	s_cbranch_execz .LBB155_82
; %bb.81:                               ;   in Loop: Header=BB155_2 Depth=1
	ds_load_b64 v[13:14], v15 offset:1544
	s_wait_dscnt 0x1
	v_dual_mov_b32 v12, v8 :: v_dual_mov_b32 v11, v7
.LBB155_82:                             ;   in Loop: Header=BB155_2 Depth=1
	s_or_b32 exec_lo, exec_lo, s9
	v_add_nc_u32_e32 v15, 1, v19
	v_add_nc_u32_e32 v16, 1, v20
	s_wait_dscnt 0x0
	v_cmp_lt_i64_e64 s9, v[13:14], v[11:12]
	s_delay_alu instid0(VALU_DEP_3) | instskip(NEXT) | instid1(VALU_DEP_3)
	v_cndmask_b32_e64 v22, v15, v19, s8
	v_cndmask_b32_e64 v21, v20, v16, s8
                                        ; implicit-def: $vgpr15_vgpr16
	s_delay_alu instid0(VALU_DEP_2) | instskip(NEXT) | instid1(VALU_DEP_2)
	v_cmp_ge_i32_e64 s10, v22, v57
	v_cmp_lt_i32_e64 s11, v21, v58
	s_or_b32 s9, s10, s9
	s_wait_alu 0xfffe
	s_and_b32 s9, s11, s9
	s_wait_alu 0xfffe
	s_xor_b32 s10, s9, -1
	s_wait_alu 0xfffe
	s_and_saveexec_b32 s11, s10
	s_wait_alu 0xfffe
	s_xor_b32 s10, exec_lo, s11
; %bb.83:                               ;   in Loop: Header=BB155_2 Depth=1
	v_lshlrev_b32_e32 v15, 3, v22
	ds_load_b64 v[15:16], v15 offset:8
; %bb.84:                               ;   in Loop: Header=BB155_2 Depth=1
	s_wait_alu 0xfffe
	s_or_saveexec_b32 s10, s10
	v_dual_mov_b32 v18, v14 :: v_dual_mov_b32 v17, v13
	s_wait_alu 0xfffe
	s_xor_b32 exec_lo, exec_lo, s10
	s_cbranch_execz .LBB155_86
; %bb.85:                               ;   in Loop: Header=BB155_2 Depth=1
	s_wait_dscnt 0x0
	v_lshlrev_b32_e32 v15, 3, v21
	ds_load_b64 v[17:18], v15 offset:8
	v_dual_mov_b32 v16, v12 :: v_dual_mov_b32 v15, v11
.LBB155_86:                             ;   in Loop: Header=BB155_2 Depth=1
	s_or_b32 exec_lo, exec_lo, s10
	v_add_nc_u32_e32 v23, 1, v22
	v_add_nc_u32_e32 v24, 1, v21
	s_wait_dscnt 0x0
	v_cmp_lt_i64_e64 s10, v[17:18], v[15:16]
	v_cndmask_b32_e64 v19, v19, v20, s8
	s_wait_loadcnt 0x0
	v_cndmask_b32_e64 v23, v23, v22, s9
	v_cndmask_b32_e64 v22, v22, v21, s9
	;; [unrolled: 1-line block ×3, first 2 shown]
	s_barrier_signal -1
	s_barrier_wait -1
	v_cmp_ge_i32_e64 s11, v23, v57
	global_inv scope:SCOPE_SE
	v_cmp_lt_i32_e64 s12, v21, v58
	ds_store_2addr_b64 v25, v[1:2], v[5:6] offset1:1
	ds_store_b64 v25, v[3:4] offset:16
	v_lshlrev_b32_e32 v1, 3, v19
	s_or_b32 s10, s11, s10
	v_lshlrev_b32_e32 v3, 3, v22
	s_wait_alu 0xfffe
	s_and_b32 s10, s12, s10
	s_wait_loadcnt_dscnt 0x0
	s_wait_alu 0xfffe
	v_cndmask_b32_e64 v16, v16, v18, s10
	v_cndmask_b32_e64 v18, v23, v21, s10
	s_barrier_signal -1
	s_barrier_wait -1
	global_inv scope:SCOPE_SE
	v_cndmask_b32_e64 v12, v12, v14, s9
	v_lshlrev_b32_e32 v4, 3, v18
	v_cndmask_b32_e64 v11, v11, v13, s9
	ds_load_b64 v[1:2], v1
	ds_load_b64 v[5:6], v3
	;; [unrolled: 1-line block ×3, first 2 shown]
	v_cndmask_b32_e64 v8, v8, v10, s8
	v_cndmask_b32_e64 v7, v7, v9, s8
	;; [unrolled: 1-line block ×3, first 2 shown]
	s_wait_loadcnt_dscnt 0x0
	s_barrier_signal -1
	s_barrier_wait -1
	global_inv scope:SCOPE_SE
	ds_store_2addr_b64 v25, v[7:8], v[11:12] offset1:1
	ds_store_b64 v25, v[15:16] offset:16
	v_mov_b32_e32 v8, v101
	s_wait_loadcnt_dscnt 0x0
	s_barrier_signal -1
	s_barrier_wait -1
	global_inv scope:SCOPE_SE
	s_and_saveexec_b32 s9, s7
	s_cbranch_execz .LBB155_90
; %bb.87:                               ;   in Loop: Header=BB155_2 Depth=1
	v_dual_mov_b32 v8, v101 :: v_dual_mov_b32 v7, v93
	s_mov_b32 s10, 0
.LBB155_88:                             ;   Parent Loop BB155_2 Depth=1
                                        ; =>  This Inner Loop Header: Depth=2
	s_delay_alu instid0(VALU_DEP_1) | instskip(NEXT) | instid1(VALU_DEP_1)
	v_sub_nc_u32_e32 v9, v7, v8
	v_lshrrev_b32_e32 v9, 1, v9
	s_delay_alu instid0(VALU_DEP_1) | instskip(NEXT) | instid1(VALU_DEP_1)
	v_add_nc_u32_e32 v13, v9, v8
	v_not_b32_e32 v9, v13
	v_lshl_add_u32 v10, v13, 3, v62
	s_delay_alu instid0(VALU_DEP_2)
	v_lshl_add_u32 v11, v9, 3, v70
	ds_load_b64 v[9:10], v10
	ds_load_b64 v[11:12], v11 offset:3072
	s_wait_dscnt 0x0
	v_cmp_lt_i64_e64 s8, v[11:12], v[9:10]
	v_add_nc_u32_e32 v9, 1, v13
	s_wait_alu 0xf1ff
	s_delay_alu instid0(VALU_DEP_2) | instskip(NEXT) | instid1(VALU_DEP_2)
	v_cndmask_b32_e64 v7, v7, v13, s8
	v_cndmask_b32_e64 v8, v9, v8, s8
	s_delay_alu instid0(VALU_DEP_1)
	v_cmp_ge_i32_e64 s8, v8, v7
	s_wait_alu 0xfffe
	s_or_b32 s10, s8, s10
	s_wait_alu 0xfffe
	s_and_not1_b32 exec_lo, exec_lo, s10
	s_cbranch_execnz .LBB155_88
; %bb.89:                               ;   in Loop: Header=BB155_2 Depth=1
	s_or_b32 exec_lo, exec_lo, s10
.LBB155_90:                             ;   in Loop: Header=BB155_2 Depth=1
	s_wait_alu 0xfffe
	s_or_b32 exec_lo, exec_lo, s9
	v_sub_nc_u32_e32 v7, v102, v8
	v_lshl_add_u32 v15, v8, 3, v62
                                        ; implicit-def: $vgpr13_vgpr14
	s_delay_alu instid0(VALU_DEP_2)
	v_lshlrev_b32_e32 v17, 3, v7
	v_add_nc_u32_e32 v7, v8, v38
	v_sub_nc_u32_e32 v8, v85, v8
	ds_load_b64 v[9:10], v15
	ds_load_b64 v[11:12], v17 offset:3072
	v_cmp_le_i32_e64 s9, v60, v7
	v_cmp_gt_i32_e64 s10, v61, v8
	s_wait_dscnt 0x0
	v_cmp_lt_i64_e64 s8, v[11:12], v[9:10]
	s_or_b32 s8, s9, s8
	s_wait_alu 0xfffe
	s_and_b32 s8, s10, s8
	s_wait_alu 0xfffe
	s_xor_b32 s9, s8, -1
	s_wait_alu 0xfffe
	s_and_saveexec_b32 s10, s9
	s_wait_alu 0xfffe
	s_xor_b32 s9, exec_lo, s10
; %bb.91:                               ;   in Loop: Header=BB155_2 Depth=1
	ds_load_b64 v[13:14], v15 offset:8
                                        ; implicit-def: $vgpr17
; %bb.92:                               ;   in Loop: Header=BB155_2 Depth=1
	s_wait_alu 0xfffe
	s_or_saveexec_b32 s9, s9
	v_dual_mov_b32 v16, v12 :: v_dual_mov_b32 v15, v11
	s_wait_alu 0xfffe
	s_xor_b32 exec_lo, exec_lo, s9
	s_cbranch_execz .LBB155_94
; %bb.93:                               ;   in Loop: Header=BB155_2 Depth=1
	ds_load_b64 v[15:16], v17 offset:3080
	s_wait_dscnt 0x1
	v_dual_mov_b32 v14, v10 :: v_dual_mov_b32 v13, v9
.LBB155_94:                             ;   in Loop: Header=BB155_2 Depth=1
	s_or_b32 exec_lo, exec_lo, s9
	v_add_nc_u32_e32 v17, 1, v7
	v_add_nc_u32_e32 v18, 1, v8
	s_wait_dscnt 0x0
	v_cmp_lt_i64_e64 s9, v[15:16], v[13:14]
	s_delay_alu instid0(VALU_DEP_3) | instskip(NEXT) | instid1(VALU_DEP_3)
	v_cndmask_b32_e64 v22, v17, v7, s8
	v_cndmask_b32_e64 v21, v8, v18, s8
                                        ; implicit-def: $vgpr17_vgpr18
	s_delay_alu instid0(VALU_DEP_2) | instskip(NEXT) | instid1(VALU_DEP_2)
	v_cmp_ge_i32_e64 s10, v22, v60
	v_cmp_lt_i32_e64 s11, v21, v61
	s_or_b32 s9, s10, s9
	s_wait_alu 0xfffe
	s_and_b32 s9, s11, s9
	s_wait_alu 0xfffe
	s_xor_b32 s10, s9, -1
	s_wait_alu 0xfffe
	s_and_saveexec_b32 s11, s10
	s_wait_alu 0xfffe
	s_xor_b32 s10, exec_lo, s11
; %bb.95:                               ;   in Loop: Header=BB155_2 Depth=1
	v_lshlrev_b32_e32 v17, 3, v22
	ds_load_b64 v[17:18], v17 offset:8
; %bb.96:                               ;   in Loop: Header=BB155_2 Depth=1
	s_wait_alu 0xfffe
	s_or_saveexec_b32 s10, s10
	v_dual_mov_b32 v20, v16 :: v_dual_mov_b32 v19, v15
	s_wait_alu 0xfffe
	s_xor_b32 exec_lo, exec_lo, s10
	s_cbranch_execz .LBB155_98
; %bb.97:                               ;   in Loop: Header=BB155_2 Depth=1
	s_wait_dscnt 0x0
	v_lshlrev_b32_e32 v17, 3, v21
	ds_load_b64 v[19:20], v17 offset:8
	v_dual_mov_b32 v18, v14 :: v_dual_mov_b32 v17, v13
.LBB155_98:                             ;   in Loop: Header=BB155_2 Depth=1
	s_or_b32 exec_lo, exec_lo, s10
	v_add_nc_u32_e32 v23, 1, v22
	v_add_nc_u32_e32 v24, 1, v21
	s_wait_dscnt 0x0
	v_cmp_lt_i64_e64 s10, v[19:20], v[17:18]
	v_cndmask_b32_e64 v7, v7, v8, s8
	s_wait_loadcnt 0x0
	v_cndmask_b32_e64 v23, v23, v22, s9
	v_cndmask_b32_e64 v22, v22, v21, s9
	;; [unrolled: 1-line block ×3, first 2 shown]
	s_barrier_signal -1
	s_barrier_wait -1
	v_cmp_ge_i32_e64 s11, v23, v60
	global_inv scope:SCOPE_SE
	v_cmp_lt_i32_e64 s12, v21, v61
	ds_store_2addr_b64 v25, v[1:2], v[5:6] offset1:1
	ds_store_b64 v25, v[3:4] offset:16
	v_lshlrev_b32_e32 v1, 3, v7
	s_or_b32 s10, s11, s10
	v_lshlrev_b32_e32 v2, 3, v22
	s_wait_alu 0xfffe
	s_and_b32 s10, s12, s10
	s_wait_loadcnt_dscnt 0x0
	s_wait_alu 0xfffe
	v_cndmask_b32_e64 v8, v23, v21, s10
	s_barrier_signal -1
	s_barrier_wait -1
	global_inv scope:SCOPE_SE
	v_cndmask_b32_e64 v10, v10, v12, s8
	v_lshlrev_b32_e32 v5, 3, v8
	v_cndmask_b32_e64 v9, v9, v11, s8
	v_cndmask_b32_e64 v18, v18, v20, s10
	ds_load_b64 v[3:4], v1
	ds_load_b64 v[7:8], v2
	;; [unrolled: 1-line block ×3, first 2 shown]
	v_cndmask_b32_e64 v2, v14, v16, s9
	v_cndmask_b32_e64 v1, v13, v15, s9
	;; [unrolled: 1-line block ×3, first 2 shown]
	s_wait_loadcnt_dscnt 0x0
	s_barrier_signal -1
	s_barrier_wait -1
	global_inv scope:SCOPE_SE
	ds_store_2addr_b64 v25, v[9:10], v[1:2] offset1:1
	ds_store_b64 v25, v[17:18] offset:16
	v_mov_b32_e32 v9, v28
	s_wait_loadcnt_dscnt 0x0
	s_barrier_signal -1
	s_barrier_wait -1
	global_inv scope:SCOPE_SE
	s_and_saveexec_b32 s9, vcc_lo
	s_cbranch_execz .LBB155_102
; %bb.99:                               ;   in Loop: Header=BB155_2 Depth=1
	v_mov_b32_e32 v9, v28
	v_mov_b32_e32 v1, v29
	s_mov_b32 s10, 0
.LBB155_100:                            ;   Parent Loop BB155_2 Depth=1
                                        ; =>  This Inner Loop Header: Depth=2
	s_delay_alu instid0(VALU_DEP_1) | instskip(NEXT) | instid1(VALU_DEP_1)
	v_sub_nc_u32_e32 v2, v1, v9
	v_lshrrev_b32_e32 v2, 1, v2
	s_delay_alu instid0(VALU_DEP_1) | instskip(NEXT) | instid1(VALU_DEP_1)
	v_add_nc_u32_e32 v2, v2, v9
	v_not_b32_e32 v10, v2
	v_lshlrev_b32_e32 v11, 3, v2
	s_delay_alu instid0(VALU_DEP_2)
	v_lshl_add_u32 v12, v10, 3, v30
	ds_load_b64 v[10:11], v11
	ds_load_b64 v[12:13], v12 offset:6144
	s_wait_dscnt 0x0
	v_cmp_lt_i64_e64 s8, v[12:13], v[10:11]
	v_add_nc_u32_e32 v10, 1, v2
	s_wait_alu 0xf1ff
	s_delay_alu instid0(VALU_DEP_2) | instskip(NEXT) | instid1(VALU_DEP_2)
	v_cndmask_b32_e64 v1, v1, v2, s8
	v_cndmask_b32_e64 v9, v10, v9, s8
	s_delay_alu instid0(VALU_DEP_1)
	v_cmp_ge_i32_e64 s8, v9, v1
	s_wait_alu 0xfffe
	s_or_b32 s10, s8, s10
	s_wait_alu 0xfffe
	s_and_not1_b32 exec_lo, exec_lo, s10
	s_cbranch_execnz .LBB155_100
; %bb.101:                              ;   in Loop: Header=BB155_2 Depth=1
	s_or_b32 exec_lo, exec_lo, s10
.LBB155_102:                            ;   in Loop: Header=BB155_2 Depth=1
	s_wait_alu 0xfffe
	s_or_b32 exec_lo, exec_lo, s9
	v_sub_nc_u32_e32 v1, v26, v9
	v_lshlrev_b32_e32 v2, 3, v9
	v_sub_nc_u32_e32 v10, v27, v9
	v_cmp_le_i32_e64 s9, 0x300, v9
                                        ; implicit-def: $vgpr17_vgpr18
	s_delay_alu instid0(VALU_DEP_4)
	v_lshlrev_b32_e32 v1, 3, v1
	ds_load_b64 v[13:14], v2
	ds_load_b64 v[15:16], v1 offset:6144
	v_cmp_gt_i32_e64 s10, 0x600, v10
	s_wait_dscnt 0x0
	v_cmp_lt_i64_e64 s8, v[15:16], v[13:14]
	s_or_b32 s8, s9, s8
	s_wait_alu 0xfffe
	s_and_b32 s8, s10, s8
	s_wait_alu 0xfffe
	s_xor_b32 s9, s8, -1
	s_wait_alu 0xfffe
	s_and_saveexec_b32 s10, s9
	s_wait_alu 0xfffe
	s_xor_b32 s9, exec_lo, s10
; %bb.103:                              ;   in Loop: Header=BB155_2 Depth=1
	ds_load_b64 v[17:18], v2 offset:8
                                        ; implicit-def: $vgpr1
; %bb.104:                              ;   in Loop: Header=BB155_2 Depth=1
	s_wait_alu 0xfffe
	s_or_saveexec_b32 s9, s9
	v_dual_mov_b32 v20, v16 :: v_dual_mov_b32 v19, v15
	s_wait_alu 0xfffe
	s_xor_b32 exec_lo, exec_lo, s9
	s_cbranch_execz .LBB155_106
; %bb.105:                              ;   in Loop: Header=BB155_2 Depth=1
	ds_load_b64 v[19:20], v1 offset:6152
	s_wait_dscnt 0x1
	v_dual_mov_b32 v18, v14 :: v_dual_mov_b32 v17, v13
.LBB155_106:                            ;   in Loop: Header=BB155_2 Depth=1
	s_or_b32 exec_lo, exec_lo, s9
	v_add_nc_u32_e32 v1, 1, v9
	v_add_nc_u32_e32 v2, 1, v10
	s_wait_dscnt 0x0
	v_cmp_lt_i64_e64 s9, v[19:20], v[17:18]
                                        ; implicit-def: $vgpr23
	s_delay_alu instid0(VALU_DEP_3) | instskip(NEXT) | instid1(VALU_DEP_3)
	v_cndmask_b32_e64 v24, v1, v9, s8
	v_cndmask_b32_e64 v11, v10, v2, s8
                                        ; implicit-def: $vgpr1_vgpr2
	s_delay_alu instid0(VALU_DEP_2) | instskip(NEXT) | instid1(VALU_DEP_2)
	v_cmp_le_i32_e64 s10, 0x300, v24
	v_cmp_gt_i32_e64 s11, 0x600, v11
	s_or_b32 s9, s10, s9
	s_wait_alu 0xfffe
	s_and_b32 s9, s11, s9
	s_wait_alu 0xfffe
	s_xor_b32 s10, s9, -1
	s_wait_alu 0xfffe
	s_and_saveexec_b32 s11, s10
	s_wait_alu 0xfffe
	s_xor_b32 s10, exec_lo, s11
; %bb.107:                              ;   in Loop: Header=BB155_2 Depth=1
	v_lshlrev_b32_e32 v1, 3, v24
	v_add_nc_u32_e32 v23, 1, v24
	ds_load_b64 v[1:2], v1 offset:8
; %bb.108:                              ;   in Loop: Header=BB155_2 Depth=1
	s_wait_alu 0xfffe
	s_or_saveexec_b32 s10, s10
	v_mov_b32_e32 v22, v20
	v_dual_mov_b32 v12, v24 :: v_dual_mov_b32 v21, v19
	s_wait_alu 0xfffe
	s_xor_b32 exec_lo, exec_lo, s10
	s_cbranch_execz .LBB155_1
; %bb.109:                              ;   in Loop: Header=BB155_2 Depth=1
	s_wait_dscnt 0x0
	v_dual_mov_b32 v12, v11 :: v_dual_lshlrev_b32 v1, 3, v11
	v_mov_b32_e32 v23, v24
	ds_load_b64 v[21:22], v1 offset:8
	v_add_nc_u32_e32 v1, 1, v11
	s_delay_alu instid0(VALU_DEP_1)
	v_mov_b32_e32 v11, v1
	v_dual_mov_b32 v1, v17 :: v_dual_mov_b32 v2, v18
	s_branch .LBB155_1
.LBB155_110:
	s_wait_dscnt 0x2
	v_add_co_u32 v5, vcc_lo, v5, v11
	s_wait_alu 0xfffd
	v_add_co_ci_u32_e64 v6, null, v6, v12, vcc_lo
	s_wait_dscnt 0x1
	v_add_co_u32 v3, vcc_lo, v3, v9
	s_wait_alu 0xfffd
	v_add_co_ci_u32_e64 v4, null, v4, v10, vcc_lo
	v_lshlrev_b32_e32 v9, 3, v0
	s_wait_dscnt 0x0
	v_add_co_u32 v0, vcc_lo, v1, v7
	s_wait_alu 0xfffd
	v_add_co_ci_u32_e64 v1, null, v2, v8, vcc_lo
	s_add_nc_u64 s[0:1], s[18:19], s[20:21]
	s_clause 0x2
	global_store_b64 v9, v[5:6], s[0:1]
	global_store_b64 v9, v[3:4], s[0:1] offset:4096
	global_store_b64 v9, v[0:1], s[0:1] offset:8192
	s_nop 0
	s_sendmsg sendmsg(MSG_DEALLOC_VGPRS)
	s_endpgm
	.section	.rodata,"a",@progbits
	.p2align	6, 0x0
	.amdhsa_kernel _Z17sort_pairs_kernelIxLj512ELj3EN10test_utils4lessELj10EEvPKT_PS2_T2_
		.amdhsa_group_segment_fixed_size 12296
		.amdhsa_private_segment_fixed_size 0
		.amdhsa_kernarg_size 20
		.amdhsa_user_sgpr_count 2
		.amdhsa_user_sgpr_dispatch_ptr 0
		.amdhsa_user_sgpr_queue_ptr 0
		.amdhsa_user_sgpr_kernarg_segment_ptr 1
		.amdhsa_user_sgpr_dispatch_id 0
		.amdhsa_user_sgpr_private_segment_size 0
		.amdhsa_wavefront_size32 1
		.amdhsa_uses_dynamic_stack 0
		.amdhsa_enable_private_segment 0
		.amdhsa_system_sgpr_workgroup_id_x 1
		.amdhsa_system_sgpr_workgroup_id_y 0
		.amdhsa_system_sgpr_workgroup_id_z 0
		.amdhsa_system_sgpr_workgroup_info 0
		.amdhsa_system_vgpr_workitem_id 0
		.amdhsa_next_free_vgpr 108
		.amdhsa_next_free_sgpr 22
		.amdhsa_reserve_vcc 1
		.amdhsa_float_round_mode_32 0
		.amdhsa_float_round_mode_16_64 0
		.amdhsa_float_denorm_mode_32 3
		.amdhsa_float_denorm_mode_16_64 3
		.amdhsa_fp16_overflow 0
		.amdhsa_workgroup_processor_mode 1
		.amdhsa_memory_ordered 1
		.amdhsa_forward_progress 1
		.amdhsa_inst_pref_size 70
		.amdhsa_round_robin_scheduling 0
		.amdhsa_exception_fp_ieee_invalid_op 0
		.amdhsa_exception_fp_denorm_src 0
		.amdhsa_exception_fp_ieee_div_zero 0
		.amdhsa_exception_fp_ieee_overflow 0
		.amdhsa_exception_fp_ieee_underflow 0
		.amdhsa_exception_fp_ieee_inexact 0
		.amdhsa_exception_int_div_zero 0
	.end_amdhsa_kernel
	.section	.text._Z17sort_pairs_kernelIxLj512ELj3EN10test_utils4lessELj10EEvPKT_PS2_T2_,"axG",@progbits,_Z17sort_pairs_kernelIxLj512ELj3EN10test_utils4lessELj10EEvPKT_PS2_T2_,comdat
.Lfunc_end155:
	.size	_Z17sort_pairs_kernelIxLj512ELj3EN10test_utils4lessELj10EEvPKT_PS2_T2_, .Lfunc_end155-_Z17sort_pairs_kernelIxLj512ELj3EN10test_utils4lessELj10EEvPKT_PS2_T2_
                                        ; -- End function
	.set _Z17sort_pairs_kernelIxLj512ELj3EN10test_utils4lessELj10EEvPKT_PS2_T2_.num_vgpr, 108
	.set _Z17sort_pairs_kernelIxLj512ELj3EN10test_utils4lessELj10EEvPKT_PS2_T2_.num_agpr, 0
	.set _Z17sort_pairs_kernelIxLj512ELj3EN10test_utils4lessELj10EEvPKT_PS2_T2_.numbered_sgpr, 22
	.set _Z17sort_pairs_kernelIxLj512ELj3EN10test_utils4lessELj10EEvPKT_PS2_T2_.num_named_barrier, 0
	.set _Z17sort_pairs_kernelIxLj512ELj3EN10test_utils4lessELj10EEvPKT_PS2_T2_.private_seg_size, 0
	.set _Z17sort_pairs_kernelIxLj512ELj3EN10test_utils4lessELj10EEvPKT_PS2_T2_.uses_vcc, 1
	.set _Z17sort_pairs_kernelIxLj512ELj3EN10test_utils4lessELj10EEvPKT_PS2_T2_.uses_flat_scratch, 0
	.set _Z17sort_pairs_kernelIxLj512ELj3EN10test_utils4lessELj10EEvPKT_PS2_T2_.has_dyn_sized_stack, 0
	.set _Z17sort_pairs_kernelIxLj512ELj3EN10test_utils4lessELj10EEvPKT_PS2_T2_.has_recursion, 0
	.set _Z17sort_pairs_kernelIxLj512ELj3EN10test_utils4lessELj10EEvPKT_PS2_T2_.has_indirect_call, 0
	.section	.AMDGPU.csdata,"",@progbits
; Kernel info:
; codeLenInByte = 8928
; TotalNumSgprs: 24
; NumVgprs: 108
; ScratchSize: 0
; MemoryBound: 0
; FloatMode: 240
; IeeeMode: 1
; LDSByteSize: 12296 bytes/workgroup (compile time only)
; SGPRBlocks: 0
; VGPRBlocks: 13
; NumSGPRsForWavesPerEU: 24
; NumVGPRsForWavesPerEU: 108
; Occupancy: 12
; WaveLimiterHint : 1
; COMPUTE_PGM_RSRC2:SCRATCH_EN: 0
; COMPUTE_PGM_RSRC2:USER_SGPR: 2
; COMPUTE_PGM_RSRC2:TRAP_HANDLER: 0
; COMPUTE_PGM_RSRC2:TGID_X_EN: 1
; COMPUTE_PGM_RSRC2:TGID_Y_EN: 0
; COMPUTE_PGM_RSRC2:TGID_Z_EN: 0
; COMPUTE_PGM_RSRC2:TIDIG_COMP_CNT: 0
	.section	.text._Z16sort_keys_kernelIxLj512ELj4EN10test_utils4lessELj10EEvPKT_PS2_T2_,"axG",@progbits,_Z16sort_keys_kernelIxLj512ELj4EN10test_utils4lessELj10EEvPKT_PS2_T2_,comdat
	.protected	_Z16sort_keys_kernelIxLj512ELj4EN10test_utils4lessELj10EEvPKT_PS2_T2_ ; -- Begin function _Z16sort_keys_kernelIxLj512ELj4EN10test_utils4lessELj10EEvPKT_PS2_T2_
	.globl	_Z16sort_keys_kernelIxLj512ELj4EN10test_utils4lessELj10EEvPKT_PS2_T2_
	.p2align	8
	.type	_Z16sort_keys_kernelIxLj512ELj4EN10test_utils4lessELj10EEvPKT_PS2_T2_,@function
_Z16sort_keys_kernelIxLj512ELj4EN10test_utils4lessELj10EEvPKT_PS2_T2_: ; @_Z16sort_keys_kernelIxLj512ELj4EN10test_utils4lessELj10EEvPKT_PS2_T2_
; %bb.0:
	s_load_b128 s[12:15], s[0:1], 0x0
	s_lshl_b32 s16, ttmp9, 11
	s_mov_b32 s17, 0
	v_lshlrev_b32_e32 v5, 3, v0
	s_lshl_b64 s[18:19], s[16:17], 3
	v_lshlrev_b32_e32 v9, 2, v0
	v_lshlrev_b32_e32 v25, 5, v0
	s_delay_alu instid0(VALU_DEP_2)
	v_and_b32_e32 v17, 0x7f8, v9
	v_and_b32_e32 v10, 4, v9
	v_and_b32_e32 v20, 0x7f0, v9
	v_and_b32_e32 v26, 0x7e0, v9
	v_and_b32_e32 v33, 0x7c0, v9
	v_or_b32_e32 v18, 4, v17
	v_add_nc_u32_e32 v19, 8, v17
	v_or_b32_e32 v21, 8, v20
	v_add_nc_u32_e32 v22, 16, v20
	v_or_b32_e32 v28, 16, v26
	s_wait_kmcnt 0x0
	s_add_nc_u64 s[0:1], s[12:13], s[18:19]
	v_sub_nc_u32_e32 v11, v19, v18
	s_clause 0x3
	global_load_b64 v[1:2], v5, s[0:1]
	global_load_b64 v[7:8], v5, s[0:1] offset:4096
	global_load_b64 v[3:4], v5, s[0:1] offset:8192
	;; [unrolled: 1-line block ×3, first 2 shown]
	v_sub_nc_u32_e32 v13, v18, v17
	v_add_nc_u32_e32 v29, 32, v26
	v_sub_nc_u32_e32 v14, v21, v20
	v_sub_nc_u32_e32 v12, v10, v11
	v_cmp_ge_i32_e32 vcc_lo, v10, v11
	v_and_b32_e32 v11, 12, v9
	v_or_b32_e32 v35, 32, v33
	v_add_nc_u32_e32 v36, 64, v33
	v_sub_nc_u32_e32 v15, v28, v26
	v_cndmask_b32_e32 v23, 0, v12, vcc_lo
	v_sub_nc_u32_e32 v12, v22, v21
	v_min_i32_e32 v24, v10, v13
	v_min_i32_e32 v31, v11, v14
	v_and_b32_e32 v40, 0x780, v9
	v_sub_nc_u32_e32 v16, v35, v33
	v_sub_nc_u32_e32 v13, v11, v12
	v_cmp_ge_i32_e64 s0, v11, v12
	v_and_b32_e32 v12, 28, v9
	v_or_b32_e32 v42, 64, v40
	v_add_nc_u32_e32 v43, 0x80, v40
	v_and_b32_e32 v47, 0x700, v9
	v_cndmask_b32_e64 v30, 0, v13, s0
	v_sub_nc_u32_e32 v13, v29, v28
	v_min_i32_e32 v38, v12, v15
	v_and_b32_e32 v56, 0x600, v9
	v_or_b32_e32 v49, 0x80, v47
	v_add_nc_u32_e32 v50, 0x100, v47
	v_sub_nc_u32_e32 v14, v12, v13
	v_cmp_ge_i32_e64 s1, v12, v13
	v_and_b32_e32 v13, 60, v9
	v_and_b32_e32 v58, 0x400, v9
	v_or_b32_e32 v60, 0x100, v56
	v_add_nc_u32_e32 v61, 0x200, v56
	s_wait_alu 0xf1ff
	v_cndmask_b32_e64 v37, 0, v14, s1
	v_sub_nc_u32_e32 v14, v36, v35
	v_min_i32_e32 v45, v13, v16
	v_or_b32_e32 v63, 0x200, v58
	v_add_nc_u32_e32 v64, 0x400, v58
	v_sub_nc_u32_e32 v66, v61, v60
	v_sub_nc_u32_e32 v15, v13, v14
	v_cmp_ge_i32_e64 s2, v13, v14
	v_and_b32_e32 v14, 0x7c, v9
	v_and_b32_e32 v80, 0x3fc, v9
	v_sub_nc_u32_e32 v68, v64, v63
	v_add_nc_u32_e32 v32, v18, v10
	v_cndmask_b32_e64 v44, 0, v15, s2
	v_sub_nc_u32_e32 v15, v43, v42
	v_add_nc_u32_e32 v39, v21, v11
	v_add_nc_u32_e32 v46, v28, v12
	v_sub_nc_u32_e32 v52, v42, v40
	v_sub_nc_u32_e32 v62, v49, v47
	;; [unrolled: 1-line block ×3, first 2 shown]
	v_cmp_ge_i32_e64 s3, v14, v15
	v_and_b32_e32 v15, 0xfc, v9
	v_sub_nc_u32_e32 v69, v60, v56
	v_sub_nc_u32_e32 v70, v63, v58
	;; [unrolled: 1-line block ×3, first 2 shown]
	s_wait_alu 0xf1ff
	v_cndmask_b32_e64 v51, 0, v16, s3
	v_sub_nc_u32_e32 v16, v50, v49
	v_lshlrev_b32_e32 v10, 3, v10
	v_lshlrev_b32_e32 v11, 3, v11
	;; [unrolled: 1-line block ×3, first 2 shown]
	v_min_i32_e32 v52, v14, v52
	v_sub_nc_u32_e32 v59, v15, v16
	v_cmp_ge_i32_e64 s4, v15, v16
	v_and_b32_e32 v16, 0x1fc, v9
	v_add_nc_u32_e32 v53, v35, v13
	v_min_i32_e32 v62, v15, v62
	v_subrev_nc_u32_e64 v73, 0x400, v9 clamp
	v_cndmask_b32_e64 v59, 0, v59, s4
	v_sub_nc_u32_e32 v67, v16, v66
	v_cmp_ge_i32_e64 s5, v16, v66
	v_min_i32_e32 v74, 0x400, v9
	v_add_nc_u32_e32 v76, 0x400, v9
	v_lshl_add_u32 v77, v18, 3, v10
	v_lshl_add_u32 v78, v21, 3, v11
	s_wait_alu 0xf1ff
	v_cndmask_b32_e64 v66, 0, v67, s5
	v_cmp_ge_i32_e64 s5, v80, v68
	v_min_i32_e32 v67, v16, v69
	v_min_i32_e32 v69, v80, v70
	v_lshl_add_u32 v79, v28, 3, v12
	v_lshlrev_b32_e32 v9, 3, v13
	s_wait_alu 0xf1ff
	v_cndmask_b32_e64 v68, 0, v71, s5
	v_lshlrev_b32_e32 v10, 3, v14
	v_lshlrev_b32_e32 v11, 3, v15
	;; [unrolled: 1-line block ×6, first 2 shown]
	v_cmp_lt_i32_e64 s0, v30, v31
	v_lshlrev_b32_e32 v41, 3, v26
	v_cmp_lt_i32_e64 s1, v37, v38
	v_lshlrev_b32_e32 v48, 3, v33
	;; [unrolled: 2-line block ×3, first 2 shown]
	v_cmp_lt_i32_e64 s3, v51, v52
	v_add_nc_u32_e32 v55, v42, v14
	v_lshlrev_b32_e32 v57, 3, v47
	v_cmp_lt_i32_e64 s4, v59, v62
	v_add_nc_u32_e32 v65, v49, v15
	v_lshlrev_b32_e32 v70, 3, v56
	;; [unrolled: 3-line block ×3, first 2 shown]
	v_cmp_lt_i32_e64 s6, v68, v69
	v_add_nc_u32_e32 v75, v63, v80
	v_cmp_lt_i32_e64 s7, v73, v74
	v_lshl_add_u32 v80, v35, 3, v9
	v_lshl_add_u32 v81, v42, 3, v10
	;; [unrolled: 1-line block ×5, first 2 shown]
	v_add_nc_u32_e32 v85, 0x2000, v25
	v_cmp_lt_i32_e32 vcc_lo, v23, v24
	s_branch .LBB156_2
.LBB156_1:                              ;   in Loop: Header=BB156_2 Depth=1
	s_or_b32 exec_lo, exec_lo, s11
	v_cndmask_b32_e64 v2, v2, v6, s8
	v_cndmask_b32_e64 v1, v1, v5, s8
	s_wait_dscnt 0x0
	v_cmp_lt_i64_e64 s8, v[15:16], v[13:14]
	v_cmp_le_i32_e64 s11, 0x400, v87
	v_cmp_gt_i32_e64 s12, 0x800, v86
	v_cndmask_b32_e64 v8, v4, v8, s9
	v_cndmask_b32_e64 v7, v3, v7, s9
	;; [unrolled: 1-line block ×3, first 2 shown]
	s_or_b32 s8, s11, s8
	v_cndmask_b32_e64 v3, v9, v11, s10
	s_wait_alu 0xfffe
	s_and_b32 s8, s12, s8
	s_add_co_i32 s17, s17, 1
	s_wait_alu 0xfffe
	v_cndmask_b32_e64 v6, v14, v16, s8
	v_cndmask_b32_e64 v5, v13, v15, s8
	s_cmp_eq_u32 s17, 10
	s_cbranch_scc1 .LBB156_146
.LBB156_2:                              ; =>This Loop Header: Depth=1
                                        ;     Child Loop BB156_4 Depth 2
                                        ;     Child Loop BB156_20 Depth 2
	;; [unrolled: 1-line block ×9, first 2 shown]
	s_wait_loadcnt 0x2
	v_cmp_lt_i64_e64 s8, v[7:8], v[1:2]
	v_cmp_gt_i64_e64 s9, v[7:8], v[1:2]
	s_wait_loadcnt 0x0
	v_cmp_lt_i64_e64 s10, v[5:6], v[3:4]
	s_barrier_signal -1
	s_barrier_wait -1
	s_wait_alu 0xf1ff
	v_cndmask_b32_e64 v10, v2, v8, s8
	v_cndmask_b32_e64 v12, v2, v8, s9
	;; [unrolled: 1-line block ×8, first 2 shown]
	v_cmp_gt_i64_e64 s8, v[5:6], v[3:4]
	v_cndmask_b32_e64 v16, v5, v3, s10
	v_cndmask_b32_e64 v8, v6, v4, s10
	v_cmp_gt_i64_e64 s10, v[13:14], v[11:12]
	v_cmp_lt_i64_e64 s9, v[13:14], v[11:12]
	global_inv scope:SCOPE_SE
	s_wait_alu 0xf1ff
	v_cndmask_b32_e64 v2, v4, v6, s8
	v_cndmask_b32_e64 v1, v3, v5, s8
	v_cmp_lt_i64_e64 s8, v[13:14], v[9:10]
	v_cndmask_b32_e64 v87, v11, v13, s10
	v_cndmask_b32_e64 v88, v12, v14, s10
	;; [unrolled: 1-line block ×3, first 2 shown]
	v_cmp_gt_i64_e64 s10, v[11:12], v[1:2]
	v_cndmask_b32_e64 v89, v11, v13, s9
	v_cndmask_b32_e64 v86, v14, v12, s9
	;; [unrolled: 1-line block ×3, first 2 shown]
	s_wait_alu 0xf1ff
	v_cndmask_b32_e64 v6, v3, v10, s8
	v_cndmask_b32_e64 v7, v7, v14, s9
	;; [unrolled: 1-line block ×9, first 2 shown]
	v_cmp_lt_i64_e64 s9, v[11:12], v[5:6]
	v_cndmask_b32_e64 v1, v90, v1, s10
	v_cndmask_b32_e64 v10, v7, v10, s8
	;; [unrolled: 1-line block ×5, first 2 shown]
	s_wait_alu 0xf1ff
	v_cndmask_b32_e64 v2, v2, v6, s9
	v_cndmask_b32_e64 v1, v1, v5, s9
	;; [unrolled: 1-line block ×4, first 2 shown]
	ds_store_2addr_b64 v25, v[3:4], v[5:6] offset1:1
	ds_store_2addr_b64 v25, v[1:2], v[7:8] offset0:2 offset1:3
	v_mov_b32_e32 v5, v23
	s_wait_loadcnt_dscnt 0x0
	s_barrier_signal -1
	s_barrier_wait -1
	global_inv scope:SCOPE_SE
	s_and_saveexec_b32 s9, vcc_lo
	s_cbranch_execz .LBB156_6
; %bb.3:                                ;   in Loop: Header=BB156_2 Depth=1
	v_mov_b32_e32 v5, v23
	v_mov_b32_e32 v1, v24
	s_mov_b32 s10, 0
.LBB156_4:                              ;   Parent Loop BB156_2 Depth=1
                                        ; =>  This Inner Loop Header: Depth=2
	s_delay_alu instid0(VALU_DEP_1) | instskip(NEXT) | instid1(VALU_DEP_1)
	v_sub_nc_u32_e32 v2, v1, v5
	v_lshrrev_b32_e32 v2, 1, v2
	s_delay_alu instid0(VALU_DEP_1) | instskip(NEXT) | instid1(VALU_DEP_1)
	v_add_nc_u32_e32 v4, v2, v5
	v_not_b32_e32 v2, v4
	v_lshl_add_u32 v3, v4, 3, v27
	s_delay_alu instid0(VALU_DEP_2)
	v_lshl_add_u32 v6, v2, 3, v77
	ds_load_b64 v[2:3], v3
	ds_load_b64 v[6:7], v6
	s_wait_dscnt 0x0
	v_cmp_lt_i64_e64 s8, v[6:7], v[2:3]
	v_add_nc_u32_e32 v2, 1, v4
	s_wait_alu 0xf1ff
	s_delay_alu instid0(VALU_DEP_2) | instskip(NEXT) | instid1(VALU_DEP_2)
	v_cndmask_b32_e64 v1, v1, v4, s8
	v_cndmask_b32_e64 v5, v2, v5, s8
	s_delay_alu instid0(VALU_DEP_1)
	v_cmp_ge_i32_e64 s8, v5, v1
	s_wait_alu 0xfffe
	s_or_b32 s10, s8, s10
	s_wait_alu 0xfffe
	s_and_not1_b32 exec_lo, exec_lo, s10
	s_cbranch_execnz .LBB156_4
; %bb.5:                                ;   in Loop: Header=BB156_2 Depth=1
	s_or_b32 exec_lo, exec_lo, s10
.LBB156_6:                              ;   in Loop: Header=BB156_2 Depth=1
	s_wait_alu 0xfffe
	s_or_b32 exec_lo, exec_lo, s9
	v_sub_nc_u32_e32 v9, v32, v5
	v_lshl_add_u32 v7, v5, 3, v27
	v_add_nc_u32_e32 v10, v5, v17
                                        ; implicit-def: $vgpr5_vgpr6
	s_delay_alu instid0(VALU_DEP_3) | instskip(SKIP_1) | instid1(VALU_DEP_3)
	v_lshlrev_b32_e32 v11, 3, v9
	v_cmp_gt_i32_e64 s10, v19, v9
	v_cmp_le_i32_e64 s9, v18, v10
	ds_load_b64 v[1:2], v7
	ds_load_b64 v[3:4], v11
	s_wait_dscnt 0x0
	v_cmp_lt_i64_e64 s8, v[3:4], v[1:2]
	s_or_b32 s8, s9, s8
	s_wait_alu 0xfffe
	s_and_b32 s8, s10, s8
	s_wait_alu 0xfffe
	s_xor_b32 s9, s8, -1
	s_wait_alu 0xfffe
	s_and_saveexec_b32 s10, s9
	s_wait_alu 0xfffe
	s_xor_b32 s9, exec_lo, s10
; %bb.7:                                ;   in Loop: Header=BB156_2 Depth=1
	ds_load_b64 v[5:6], v7 offset:8
                                        ; implicit-def: $vgpr11
; %bb.8:                                ;   in Loop: Header=BB156_2 Depth=1
	s_wait_alu 0xfffe
	s_or_saveexec_b32 s9, s9
	v_dual_mov_b32 v8, v4 :: v_dual_mov_b32 v7, v3
	s_wait_alu 0xfffe
	s_xor_b32 exec_lo, exec_lo, s9
	s_cbranch_execz .LBB156_10
; %bb.9:                                ;   in Loop: Header=BB156_2 Depth=1
	ds_load_b64 v[7:8], v11 offset:8
	s_wait_dscnt 0x1
	v_dual_mov_b32 v6, v2 :: v_dual_mov_b32 v5, v1
.LBB156_10:                             ;   in Loop: Header=BB156_2 Depth=1
	s_or_b32 exec_lo, exec_lo, s9
	v_add_nc_u32_e32 v11, 1, v10
	v_add_nc_u32_e32 v12, 1, v9
	s_wait_dscnt 0x0
	v_cmp_lt_i64_e64 s9, v[7:8], v[5:6]
	s_delay_alu instid0(VALU_DEP_3) | instskip(NEXT) | instid1(VALU_DEP_3)
	v_cndmask_b32_e64 v14, v11, v10, s8
	v_cndmask_b32_e64 v13, v9, v12, s8
                                        ; implicit-def: $vgpr9_vgpr10
	s_delay_alu instid0(VALU_DEP_2) | instskip(NEXT) | instid1(VALU_DEP_2)
	v_cmp_ge_i32_e64 s10, v14, v18
	v_cmp_lt_i32_e64 s11, v13, v19
	s_or_b32 s9, s10, s9
	s_wait_alu 0xfffe
	s_and_b32 s9, s11, s9
	s_wait_alu 0xfffe
	s_xor_b32 s10, s9, -1
	s_wait_alu 0xfffe
	s_and_saveexec_b32 s11, s10
	s_wait_alu 0xfffe
	s_xor_b32 s10, exec_lo, s11
; %bb.11:                               ;   in Loop: Header=BB156_2 Depth=1
	v_lshlrev_b32_e32 v9, 3, v14
	ds_load_b64 v[9:10], v9 offset:8
; %bb.12:                               ;   in Loop: Header=BB156_2 Depth=1
	s_wait_alu 0xfffe
	s_or_saveexec_b32 s10, s10
	v_dual_mov_b32 v12, v8 :: v_dual_mov_b32 v11, v7
	s_wait_alu 0xfffe
	s_xor_b32 exec_lo, exec_lo, s10
	s_cbranch_execz .LBB156_14
; %bb.13:                               ;   in Loop: Header=BB156_2 Depth=1
	s_wait_dscnt 0x0
	v_lshlrev_b32_e32 v9, 3, v13
	ds_load_b64 v[11:12], v9 offset:8
	v_dual_mov_b32 v10, v6 :: v_dual_mov_b32 v9, v5
.LBB156_14:                             ;   in Loop: Header=BB156_2 Depth=1
	s_or_b32 exec_lo, exec_lo, s10
	v_add_nc_u32_e32 v15, 1, v14
	v_add_nc_u32_e32 v16, 1, v13
	s_wait_dscnt 0x0
	v_cmp_lt_i64_e64 s10, v[11:12], v[9:10]
	s_delay_alu instid0(VALU_DEP_3) | instskip(NEXT) | instid1(VALU_DEP_3)
	v_cndmask_b32_e64 v87, v15, v14, s9
	v_cndmask_b32_e64 v86, v13, v16, s9
                                        ; implicit-def: $vgpr13_vgpr14
	s_delay_alu instid0(VALU_DEP_2) | instskip(NEXT) | instid1(VALU_DEP_2)
	v_cmp_ge_i32_e64 s11, v87, v18
	v_cmp_lt_i32_e64 s12, v86, v19
	s_or_b32 s10, s11, s10
	s_wait_alu 0xfffe
	s_and_b32 s10, s12, s10
	s_wait_alu 0xfffe
	s_xor_b32 s11, s10, -1
	s_wait_alu 0xfffe
	s_and_saveexec_b32 s12, s11
	s_delay_alu instid0(SALU_CYCLE_1)
	s_xor_b32 s11, exec_lo, s12
; %bb.15:                               ;   in Loop: Header=BB156_2 Depth=1
	v_lshlrev_b32_e32 v13, 3, v87
	ds_load_b64 v[13:14], v13 offset:8
; %bb.16:                               ;   in Loop: Header=BB156_2 Depth=1
	s_wait_alu 0xfffe
	s_or_saveexec_b32 s11, s11
	v_dual_mov_b32 v16, v12 :: v_dual_mov_b32 v15, v11
	s_wait_alu 0xfffe
	s_xor_b32 exec_lo, exec_lo, s11
	s_cbranch_execz .LBB156_18
; %bb.17:                               ;   in Loop: Header=BB156_2 Depth=1
	s_wait_dscnt 0x0
	v_lshlrev_b32_e32 v13, 3, v86
	ds_load_b64 v[15:16], v13 offset:8
	v_dual_mov_b32 v14, v10 :: v_dual_mov_b32 v13, v9
.LBB156_18:                             ;   in Loop: Header=BB156_2 Depth=1
	s_or_b32 exec_lo, exec_lo, s11
	v_add_nc_u32_e32 v88, 1, v87
	v_add_nc_u32_e32 v89, 1, v86
	v_cndmask_b32_e64 v9, v9, v11, s10
	v_cndmask_b32_e64 v7, v5, v7, s9
	v_mov_b32_e32 v5, v30
	v_cndmask_b32_e64 v11, v88, v87, s10
	v_cndmask_b32_e64 v8, v6, v8, s9
	;; [unrolled: 1-line block ×3, first 2 shown]
	s_wait_dscnt 0x0
	v_cmp_lt_i64_e64 s9, v[15:16], v[13:14]
	v_cndmask_b32_e64 v10, v10, v12, s10
	v_cmp_ge_i32_e64 s10, v11, v18
	v_cndmask_b32_e64 v2, v2, v4, s8
	v_cmp_lt_i32_e64 s11, v6, v19
	v_cndmask_b32_e64 v1, v1, v3, s8
	s_wait_loadcnt 0x0
	s_or_b32 s8, s10, s9
	s_barrier_signal -1
	s_wait_alu 0xfffe
	s_and_b32 s8, s11, s8
	s_barrier_wait -1
	s_wait_alu 0xfffe
	v_cndmask_b32_e64 v4, v14, v16, s8
	v_cndmask_b32_e64 v3, v13, v15, s8
	global_inv scope:SCOPE_SE
	ds_store_2addr_b64 v25, v[1:2], v[7:8] offset1:1
	ds_store_2addr_b64 v25, v[9:10], v[3:4] offset0:2 offset1:3
	s_wait_loadcnt_dscnt 0x0
	s_barrier_signal -1
	s_barrier_wait -1
	global_inv scope:SCOPE_SE
	s_and_saveexec_b32 s9, s0
	s_cbranch_execz .LBB156_22
; %bb.19:                               ;   in Loop: Header=BB156_2 Depth=1
	v_mov_b32_e32 v5, v30
	v_mov_b32_e32 v1, v31
	s_mov_b32 s10, 0
.LBB156_20:                             ;   Parent Loop BB156_2 Depth=1
                                        ; =>  This Inner Loop Header: Depth=2
	s_delay_alu instid0(VALU_DEP_1) | instskip(NEXT) | instid1(VALU_DEP_1)
	v_sub_nc_u32_e32 v2, v1, v5
	v_lshrrev_b32_e32 v2, 1, v2
	s_delay_alu instid0(VALU_DEP_1) | instskip(NEXT) | instid1(VALU_DEP_1)
	v_add_nc_u32_e32 v4, v2, v5
	v_not_b32_e32 v2, v4
	v_lshl_add_u32 v3, v4, 3, v34
	s_delay_alu instid0(VALU_DEP_2)
	v_lshl_add_u32 v6, v2, 3, v78
	ds_load_b64 v[2:3], v3
	ds_load_b64 v[6:7], v6
	s_wait_dscnt 0x0
	v_cmp_lt_i64_e64 s8, v[6:7], v[2:3]
	v_add_nc_u32_e32 v2, 1, v4
	s_wait_alu 0xf1ff
	s_delay_alu instid0(VALU_DEP_2) | instskip(NEXT) | instid1(VALU_DEP_2)
	v_cndmask_b32_e64 v1, v1, v4, s8
	v_cndmask_b32_e64 v5, v2, v5, s8
	s_delay_alu instid0(VALU_DEP_1)
	v_cmp_ge_i32_e64 s8, v5, v1
	s_wait_alu 0xfffe
	s_or_b32 s10, s8, s10
	s_wait_alu 0xfffe
	s_and_not1_b32 exec_lo, exec_lo, s10
	s_cbranch_execnz .LBB156_20
; %bb.21:                               ;   in Loop: Header=BB156_2 Depth=1
	s_or_b32 exec_lo, exec_lo, s10
.LBB156_22:                             ;   in Loop: Header=BB156_2 Depth=1
	s_wait_alu 0xfffe
	s_or_b32 exec_lo, exec_lo, s9
	v_sub_nc_u32_e32 v9, v39, v5
	v_lshl_add_u32 v7, v5, 3, v34
	v_add_nc_u32_e32 v10, v5, v20
                                        ; implicit-def: $vgpr5_vgpr6
	s_delay_alu instid0(VALU_DEP_3) | instskip(SKIP_1) | instid1(VALU_DEP_3)
	v_lshlrev_b32_e32 v11, 3, v9
	v_cmp_gt_i32_e64 s10, v22, v9
	v_cmp_le_i32_e64 s9, v21, v10
	ds_load_b64 v[1:2], v7
	ds_load_b64 v[3:4], v11
	s_wait_dscnt 0x0
	v_cmp_lt_i64_e64 s8, v[3:4], v[1:2]
	s_or_b32 s8, s9, s8
	s_wait_alu 0xfffe
	s_and_b32 s8, s10, s8
	s_wait_alu 0xfffe
	s_xor_b32 s9, s8, -1
	s_wait_alu 0xfffe
	s_and_saveexec_b32 s10, s9
	s_wait_alu 0xfffe
	s_xor_b32 s9, exec_lo, s10
; %bb.23:                               ;   in Loop: Header=BB156_2 Depth=1
	ds_load_b64 v[5:6], v7 offset:8
                                        ; implicit-def: $vgpr11
; %bb.24:                               ;   in Loop: Header=BB156_2 Depth=1
	s_wait_alu 0xfffe
	s_or_saveexec_b32 s9, s9
	v_dual_mov_b32 v8, v4 :: v_dual_mov_b32 v7, v3
	s_wait_alu 0xfffe
	s_xor_b32 exec_lo, exec_lo, s9
	s_cbranch_execz .LBB156_26
; %bb.25:                               ;   in Loop: Header=BB156_2 Depth=1
	ds_load_b64 v[7:8], v11 offset:8
	s_wait_dscnt 0x1
	v_dual_mov_b32 v6, v2 :: v_dual_mov_b32 v5, v1
.LBB156_26:                             ;   in Loop: Header=BB156_2 Depth=1
	s_or_b32 exec_lo, exec_lo, s9
	v_add_nc_u32_e32 v11, 1, v10
	v_add_nc_u32_e32 v12, 1, v9
	s_wait_dscnt 0x0
	v_cmp_lt_i64_e64 s9, v[7:8], v[5:6]
	s_delay_alu instid0(VALU_DEP_3) | instskip(NEXT) | instid1(VALU_DEP_3)
	v_cndmask_b32_e64 v14, v11, v10, s8
	v_cndmask_b32_e64 v13, v9, v12, s8
                                        ; implicit-def: $vgpr9_vgpr10
	s_delay_alu instid0(VALU_DEP_2) | instskip(NEXT) | instid1(VALU_DEP_2)
	v_cmp_ge_i32_e64 s10, v14, v21
	v_cmp_lt_i32_e64 s11, v13, v22
	s_or_b32 s9, s10, s9
	s_wait_alu 0xfffe
	s_and_b32 s9, s11, s9
	s_wait_alu 0xfffe
	s_xor_b32 s10, s9, -1
	s_wait_alu 0xfffe
	s_and_saveexec_b32 s11, s10
	s_wait_alu 0xfffe
	s_xor_b32 s10, exec_lo, s11
; %bb.27:                               ;   in Loop: Header=BB156_2 Depth=1
	v_lshlrev_b32_e32 v9, 3, v14
	ds_load_b64 v[9:10], v9 offset:8
; %bb.28:                               ;   in Loop: Header=BB156_2 Depth=1
	s_wait_alu 0xfffe
	s_or_saveexec_b32 s10, s10
	v_dual_mov_b32 v12, v8 :: v_dual_mov_b32 v11, v7
	s_wait_alu 0xfffe
	s_xor_b32 exec_lo, exec_lo, s10
	s_cbranch_execz .LBB156_30
; %bb.29:                               ;   in Loop: Header=BB156_2 Depth=1
	s_wait_dscnt 0x0
	v_lshlrev_b32_e32 v9, 3, v13
	ds_load_b64 v[11:12], v9 offset:8
	v_dual_mov_b32 v10, v6 :: v_dual_mov_b32 v9, v5
.LBB156_30:                             ;   in Loop: Header=BB156_2 Depth=1
	s_or_b32 exec_lo, exec_lo, s10
	v_add_nc_u32_e32 v15, 1, v14
	v_add_nc_u32_e32 v16, 1, v13
	s_wait_dscnt 0x0
	v_cmp_lt_i64_e64 s10, v[11:12], v[9:10]
	s_delay_alu instid0(VALU_DEP_3) | instskip(NEXT) | instid1(VALU_DEP_3)
	v_cndmask_b32_e64 v87, v15, v14, s9
	v_cndmask_b32_e64 v86, v13, v16, s9
                                        ; implicit-def: $vgpr13_vgpr14
	s_delay_alu instid0(VALU_DEP_2) | instskip(NEXT) | instid1(VALU_DEP_2)
	v_cmp_ge_i32_e64 s11, v87, v21
	v_cmp_lt_i32_e64 s12, v86, v22
	s_or_b32 s10, s11, s10
	s_wait_alu 0xfffe
	s_and_b32 s10, s12, s10
	s_wait_alu 0xfffe
	s_xor_b32 s11, s10, -1
	s_wait_alu 0xfffe
	s_and_saveexec_b32 s12, s11
	s_delay_alu instid0(SALU_CYCLE_1)
	s_xor_b32 s11, exec_lo, s12
; %bb.31:                               ;   in Loop: Header=BB156_2 Depth=1
	v_lshlrev_b32_e32 v13, 3, v87
	ds_load_b64 v[13:14], v13 offset:8
; %bb.32:                               ;   in Loop: Header=BB156_2 Depth=1
	s_wait_alu 0xfffe
	s_or_saveexec_b32 s11, s11
	v_dual_mov_b32 v16, v12 :: v_dual_mov_b32 v15, v11
	s_wait_alu 0xfffe
	s_xor_b32 exec_lo, exec_lo, s11
	s_cbranch_execz .LBB156_34
; %bb.33:                               ;   in Loop: Header=BB156_2 Depth=1
	s_wait_dscnt 0x0
	v_lshlrev_b32_e32 v13, 3, v86
	ds_load_b64 v[15:16], v13 offset:8
	v_dual_mov_b32 v14, v10 :: v_dual_mov_b32 v13, v9
.LBB156_34:                             ;   in Loop: Header=BB156_2 Depth=1
	s_or_b32 exec_lo, exec_lo, s11
	v_add_nc_u32_e32 v88, 1, v87
	v_add_nc_u32_e32 v89, 1, v86
	v_cndmask_b32_e64 v9, v9, v11, s10
	v_cndmask_b32_e64 v7, v5, v7, s9
	v_mov_b32_e32 v5, v37
	v_cndmask_b32_e64 v11, v88, v87, s10
	v_cndmask_b32_e64 v8, v6, v8, s9
	;; [unrolled: 1-line block ×3, first 2 shown]
	s_wait_dscnt 0x0
	v_cmp_lt_i64_e64 s9, v[15:16], v[13:14]
	v_cndmask_b32_e64 v10, v10, v12, s10
	v_cmp_ge_i32_e64 s10, v11, v21
	v_cndmask_b32_e64 v2, v2, v4, s8
	v_cmp_lt_i32_e64 s11, v6, v22
	v_cndmask_b32_e64 v1, v1, v3, s8
	s_wait_loadcnt 0x0
	s_or_b32 s8, s10, s9
	s_barrier_signal -1
	s_wait_alu 0xfffe
	s_and_b32 s8, s11, s8
	s_barrier_wait -1
	s_wait_alu 0xfffe
	v_cndmask_b32_e64 v4, v14, v16, s8
	v_cndmask_b32_e64 v3, v13, v15, s8
	global_inv scope:SCOPE_SE
	ds_store_2addr_b64 v25, v[1:2], v[7:8] offset1:1
	ds_store_2addr_b64 v25, v[9:10], v[3:4] offset0:2 offset1:3
	s_wait_loadcnt_dscnt 0x0
	s_barrier_signal -1
	s_barrier_wait -1
	global_inv scope:SCOPE_SE
	s_and_saveexec_b32 s9, s1
	s_cbranch_execz .LBB156_38
; %bb.35:                               ;   in Loop: Header=BB156_2 Depth=1
	v_mov_b32_e32 v5, v37
	v_mov_b32_e32 v1, v38
	s_mov_b32 s10, 0
.LBB156_36:                             ;   Parent Loop BB156_2 Depth=1
                                        ; =>  This Inner Loop Header: Depth=2
	s_delay_alu instid0(VALU_DEP_1) | instskip(NEXT) | instid1(VALU_DEP_1)
	v_sub_nc_u32_e32 v2, v1, v5
	v_lshrrev_b32_e32 v2, 1, v2
	s_delay_alu instid0(VALU_DEP_1) | instskip(NEXT) | instid1(VALU_DEP_1)
	v_add_nc_u32_e32 v4, v2, v5
	v_not_b32_e32 v2, v4
	v_lshl_add_u32 v3, v4, 3, v41
	s_delay_alu instid0(VALU_DEP_2)
	v_lshl_add_u32 v6, v2, 3, v79
	ds_load_b64 v[2:3], v3
	ds_load_b64 v[6:7], v6
	s_wait_dscnt 0x0
	v_cmp_lt_i64_e64 s8, v[6:7], v[2:3]
	v_add_nc_u32_e32 v2, 1, v4
	s_wait_alu 0xf1ff
	s_delay_alu instid0(VALU_DEP_2) | instskip(NEXT) | instid1(VALU_DEP_2)
	v_cndmask_b32_e64 v1, v1, v4, s8
	v_cndmask_b32_e64 v5, v2, v5, s8
	s_delay_alu instid0(VALU_DEP_1)
	v_cmp_ge_i32_e64 s8, v5, v1
	s_wait_alu 0xfffe
	s_or_b32 s10, s8, s10
	s_wait_alu 0xfffe
	s_and_not1_b32 exec_lo, exec_lo, s10
	s_cbranch_execnz .LBB156_36
; %bb.37:                               ;   in Loop: Header=BB156_2 Depth=1
	s_or_b32 exec_lo, exec_lo, s10
.LBB156_38:                             ;   in Loop: Header=BB156_2 Depth=1
	s_wait_alu 0xfffe
	s_or_b32 exec_lo, exec_lo, s9
	v_sub_nc_u32_e32 v9, v46, v5
	v_lshl_add_u32 v7, v5, 3, v41
	v_add_nc_u32_e32 v10, v5, v26
                                        ; implicit-def: $vgpr5_vgpr6
	s_delay_alu instid0(VALU_DEP_3) | instskip(SKIP_1) | instid1(VALU_DEP_3)
	v_lshlrev_b32_e32 v11, 3, v9
	v_cmp_gt_i32_e64 s10, v29, v9
	v_cmp_le_i32_e64 s9, v28, v10
	ds_load_b64 v[1:2], v7
	ds_load_b64 v[3:4], v11
	s_wait_dscnt 0x0
	v_cmp_lt_i64_e64 s8, v[3:4], v[1:2]
	s_or_b32 s8, s9, s8
	s_wait_alu 0xfffe
	s_and_b32 s8, s10, s8
	s_wait_alu 0xfffe
	s_xor_b32 s9, s8, -1
	s_wait_alu 0xfffe
	s_and_saveexec_b32 s10, s9
	s_wait_alu 0xfffe
	s_xor_b32 s9, exec_lo, s10
; %bb.39:                               ;   in Loop: Header=BB156_2 Depth=1
	ds_load_b64 v[5:6], v7 offset:8
                                        ; implicit-def: $vgpr11
; %bb.40:                               ;   in Loop: Header=BB156_2 Depth=1
	s_wait_alu 0xfffe
	s_or_saveexec_b32 s9, s9
	v_dual_mov_b32 v8, v4 :: v_dual_mov_b32 v7, v3
	s_wait_alu 0xfffe
	s_xor_b32 exec_lo, exec_lo, s9
	s_cbranch_execz .LBB156_42
; %bb.41:                               ;   in Loop: Header=BB156_2 Depth=1
	ds_load_b64 v[7:8], v11 offset:8
	s_wait_dscnt 0x1
	v_dual_mov_b32 v6, v2 :: v_dual_mov_b32 v5, v1
.LBB156_42:                             ;   in Loop: Header=BB156_2 Depth=1
	s_or_b32 exec_lo, exec_lo, s9
	v_add_nc_u32_e32 v11, 1, v10
	v_add_nc_u32_e32 v12, 1, v9
	s_wait_dscnt 0x0
	v_cmp_lt_i64_e64 s9, v[7:8], v[5:6]
	s_delay_alu instid0(VALU_DEP_3) | instskip(NEXT) | instid1(VALU_DEP_3)
	v_cndmask_b32_e64 v14, v11, v10, s8
	v_cndmask_b32_e64 v13, v9, v12, s8
                                        ; implicit-def: $vgpr9_vgpr10
	s_delay_alu instid0(VALU_DEP_2) | instskip(NEXT) | instid1(VALU_DEP_2)
	v_cmp_ge_i32_e64 s10, v14, v28
	v_cmp_lt_i32_e64 s11, v13, v29
	s_or_b32 s9, s10, s9
	s_wait_alu 0xfffe
	s_and_b32 s9, s11, s9
	s_wait_alu 0xfffe
	s_xor_b32 s10, s9, -1
	s_wait_alu 0xfffe
	s_and_saveexec_b32 s11, s10
	s_wait_alu 0xfffe
	s_xor_b32 s10, exec_lo, s11
; %bb.43:                               ;   in Loop: Header=BB156_2 Depth=1
	v_lshlrev_b32_e32 v9, 3, v14
	ds_load_b64 v[9:10], v9 offset:8
; %bb.44:                               ;   in Loop: Header=BB156_2 Depth=1
	s_wait_alu 0xfffe
	s_or_saveexec_b32 s10, s10
	v_dual_mov_b32 v12, v8 :: v_dual_mov_b32 v11, v7
	s_wait_alu 0xfffe
	s_xor_b32 exec_lo, exec_lo, s10
	s_cbranch_execz .LBB156_46
; %bb.45:                               ;   in Loop: Header=BB156_2 Depth=1
	s_wait_dscnt 0x0
	v_lshlrev_b32_e32 v9, 3, v13
	ds_load_b64 v[11:12], v9 offset:8
	v_dual_mov_b32 v10, v6 :: v_dual_mov_b32 v9, v5
.LBB156_46:                             ;   in Loop: Header=BB156_2 Depth=1
	s_or_b32 exec_lo, exec_lo, s10
	v_add_nc_u32_e32 v15, 1, v14
	v_add_nc_u32_e32 v16, 1, v13
	s_wait_dscnt 0x0
	v_cmp_lt_i64_e64 s10, v[11:12], v[9:10]
	s_delay_alu instid0(VALU_DEP_3) | instskip(NEXT) | instid1(VALU_DEP_3)
	v_cndmask_b32_e64 v87, v15, v14, s9
	v_cndmask_b32_e64 v86, v13, v16, s9
                                        ; implicit-def: $vgpr13_vgpr14
	s_delay_alu instid0(VALU_DEP_2) | instskip(NEXT) | instid1(VALU_DEP_2)
	v_cmp_ge_i32_e64 s11, v87, v28
	v_cmp_lt_i32_e64 s12, v86, v29
	s_or_b32 s10, s11, s10
	s_wait_alu 0xfffe
	s_and_b32 s10, s12, s10
	s_wait_alu 0xfffe
	s_xor_b32 s11, s10, -1
	s_wait_alu 0xfffe
	s_and_saveexec_b32 s12, s11
	s_delay_alu instid0(SALU_CYCLE_1)
	s_xor_b32 s11, exec_lo, s12
; %bb.47:                               ;   in Loop: Header=BB156_2 Depth=1
	v_lshlrev_b32_e32 v13, 3, v87
	ds_load_b64 v[13:14], v13 offset:8
; %bb.48:                               ;   in Loop: Header=BB156_2 Depth=1
	s_wait_alu 0xfffe
	s_or_saveexec_b32 s11, s11
	v_dual_mov_b32 v16, v12 :: v_dual_mov_b32 v15, v11
	s_wait_alu 0xfffe
	s_xor_b32 exec_lo, exec_lo, s11
	s_cbranch_execz .LBB156_50
; %bb.49:                               ;   in Loop: Header=BB156_2 Depth=1
	s_wait_dscnt 0x0
	v_lshlrev_b32_e32 v13, 3, v86
	ds_load_b64 v[15:16], v13 offset:8
	v_dual_mov_b32 v14, v10 :: v_dual_mov_b32 v13, v9
.LBB156_50:                             ;   in Loop: Header=BB156_2 Depth=1
	s_or_b32 exec_lo, exec_lo, s11
	v_add_nc_u32_e32 v88, 1, v87
	v_add_nc_u32_e32 v89, 1, v86
	v_cndmask_b32_e64 v9, v9, v11, s10
	v_cndmask_b32_e64 v7, v5, v7, s9
	v_mov_b32_e32 v5, v44
	v_cndmask_b32_e64 v11, v88, v87, s10
	v_cndmask_b32_e64 v8, v6, v8, s9
	;; [unrolled: 1-line block ×3, first 2 shown]
	s_wait_dscnt 0x0
	v_cmp_lt_i64_e64 s9, v[15:16], v[13:14]
	v_cndmask_b32_e64 v10, v10, v12, s10
	v_cmp_ge_i32_e64 s10, v11, v28
	v_cndmask_b32_e64 v2, v2, v4, s8
	v_cmp_lt_i32_e64 s11, v6, v29
	v_cndmask_b32_e64 v1, v1, v3, s8
	s_wait_loadcnt 0x0
	s_or_b32 s8, s10, s9
	s_barrier_signal -1
	s_wait_alu 0xfffe
	s_and_b32 s8, s11, s8
	s_barrier_wait -1
	s_wait_alu 0xfffe
	v_cndmask_b32_e64 v4, v14, v16, s8
	v_cndmask_b32_e64 v3, v13, v15, s8
	global_inv scope:SCOPE_SE
	ds_store_2addr_b64 v25, v[1:2], v[7:8] offset1:1
	ds_store_2addr_b64 v25, v[9:10], v[3:4] offset0:2 offset1:3
	s_wait_loadcnt_dscnt 0x0
	s_barrier_signal -1
	s_barrier_wait -1
	global_inv scope:SCOPE_SE
	s_and_saveexec_b32 s9, s2
	s_cbranch_execz .LBB156_54
; %bb.51:                               ;   in Loop: Header=BB156_2 Depth=1
	v_mov_b32_e32 v5, v44
	v_mov_b32_e32 v1, v45
	s_mov_b32 s10, 0
.LBB156_52:                             ;   Parent Loop BB156_2 Depth=1
                                        ; =>  This Inner Loop Header: Depth=2
	s_delay_alu instid0(VALU_DEP_1) | instskip(NEXT) | instid1(VALU_DEP_1)
	v_sub_nc_u32_e32 v2, v1, v5
	v_lshrrev_b32_e32 v2, 1, v2
	s_delay_alu instid0(VALU_DEP_1) | instskip(NEXT) | instid1(VALU_DEP_1)
	v_add_nc_u32_e32 v4, v2, v5
	v_not_b32_e32 v2, v4
	v_lshl_add_u32 v3, v4, 3, v48
	s_delay_alu instid0(VALU_DEP_2)
	v_lshl_add_u32 v6, v2, 3, v80
	ds_load_b64 v[2:3], v3
	ds_load_b64 v[6:7], v6
	s_wait_dscnt 0x0
	v_cmp_lt_i64_e64 s8, v[6:7], v[2:3]
	v_add_nc_u32_e32 v2, 1, v4
	s_wait_alu 0xf1ff
	s_delay_alu instid0(VALU_DEP_2) | instskip(NEXT) | instid1(VALU_DEP_2)
	v_cndmask_b32_e64 v1, v1, v4, s8
	v_cndmask_b32_e64 v5, v2, v5, s8
	s_delay_alu instid0(VALU_DEP_1)
	v_cmp_ge_i32_e64 s8, v5, v1
	s_wait_alu 0xfffe
	s_or_b32 s10, s8, s10
	s_wait_alu 0xfffe
	s_and_not1_b32 exec_lo, exec_lo, s10
	s_cbranch_execnz .LBB156_52
; %bb.53:                               ;   in Loop: Header=BB156_2 Depth=1
	s_or_b32 exec_lo, exec_lo, s10
.LBB156_54:                             ;   in Loop: Header=BB156_2 Depth=1
	s_wait_alu 0xfffe
	s_or_b32 exec_lo, exec_lo, s9
	v_sub_nc_u32_e32 v9, v53, v5
	v_lshl_add_u32 v7, v5, 3, v48
	v_add_nc_u32_e32 v10, v5, v33
                                        ; implicit-def: $vgpr5_vgpr6
	s_delay_alu instid0(VALU_DEP_3) | instskip(SKIP_1) | instid1(VALU_DEP_3)
	v_lshlrev_b32_e32 v11, 3, v9
	v_cmp_gt_i32_e64 s10, v36, v9
	v_cmp_le_i32_e64 s9, v35, v10
	ds_load_b64 v[1:2], v7
	ds_load_b64 v[3:4], v11
	s_wait_dscnt 0x0
	v_cmp_lt_i64_e64 s8, v[3:4], v[1:2]
	s_or_b32 s8, s9, s8
	s_wait_alu 0xfffe
	s_and_b32 s8, s10, s8
	s_wait_alu 0xfffe
	s_xor_b32 s9, s8, -1
	s_wait_alu 0xfffe
	s_and_saveexec_b32 s10, s9
	s_wait_alu 0xfffe
	s_xor_b32 s9, exec_lo, s10
; %bb.55:                               ;   in Loop: Header=BB156_2 Depth=1
	ds_load_b64 v[5:6], v7 offset:8
                                        ; implicit-def: $vgpr11
; %bb.56:                               ;   in Loop: Header=BB156_2 Depth=1
	s_wait_alu 0xfffe
	s_or_saveexec_b32 s9, s9
	v_dual_mov_b32 v8, v4 :: v_dual_mov_b32 v7, v3
	s_wait_alu 0xfffe
	s_xor_b32 exec_lo, exec_lo, s9
	s_cbranch_execz .LBB156_58
; %bb.57:                               ;   in Loop: Header=BB156_2 Depth=1
	ds_load_b64 v[7:8], v11 offset:8
	s_wait_dscnt 0x1
	v_dual_mov_b32 v6, v2 :: v_dual_mov_b32 v5, v1
.LBB156_58:                             ;   in Loop: Header=BB156_2 Depth=1
	s_or_b32 exec_lo, exec_lo, s9
	v_add_nc_u32_e32 v11, 1, v10
	v_add_nc_u32_e32 v12, 1, v9
	s_wait_dscnt 0x0
	v_cmp_lt_i64_e64 s9, v[7:8], v[5:6]
	s_delay_alu instid0(VALU_DEP_3) | instskip(NEXT) | instid1(VALU_DEP_3)
	v_cndmask_b32_e64 v14, v11, v10, s8
	v_cndmask_b32_e64 v13, v9, v12, s8
                                        ; implicit-def: $vgpr9_vgpr10
	s_delay_alu instid0(VALU_DEP_2) | instskip(NEXT) | instid1(VALU_DEP_2)
	v_cmp_ge_i32_e64 s10, v14, v35
	v_cmp_lt_i32_e64 s11, v13, v36
	s_or_b32 s9, s10, s9
	s_wait_alu 0xfffe
	s_and_b32 s9, s11, s9
	s_wait_alu 0xfffe
	s_xor_b32 s10, s9, -1
	s_wait_alu 0xfffe
	s_and_saveexec_b32 s11, s10
	s_wait_alu 0xfffe
	s_xor_b32 s10, exec_lo, s11
; %bb.59:                               ;   in Loop: Header=BB156_2 Depth=1
	v_lshlrev_b32_e32 v9, 3, v14
	ds_load_b64 v[9:10], v9 offset:8
; %bb.60:                               ;   in Loop: Header=BB156_2 Depth=1
	s_wait_alu 0xfffe
	s_or_saveexec_b32 s10, s10
	v_dual_mov_b32 v12, v8 :: v_dual_mov_b32 v11, v7
	s_wait_alu 0xfffe
	s_xor_b32 exec_lo, exec_lo, s10
	s_cbranch_execz .LBB156_62
; %bb.61:                               ;   in Loop: Header=BB156_2 Depth=1
	s_wait_dscnt 0x0
	v_lshlrev_b32_e32 v9, 3, v13
	ds_load_b64 v[11:12], v9 offset:8
	v_dual_mov_b32 v10, v6 :: v_dual_mov_b32 v9, v5
.LBB156_62:                             ;   in Loop: Header=BB156_2 Depth=1
	s_or_b32 exec_lo, exec_lo, s10
	v_add_nc_u32_e32 v15, 1, v14
	v_add_nc_u32_e32 v16, 1, v13
	s_wait_dscnt 0x0
	v_cmp_lt_i64_e64 s10, v[11:12], v[9:10]
	s_delay_alu instid0(VALU_DEP_3) | instskip(NEXT) | instid1(VALU_DEP_3)
	v_cndmask_b32_e64 v87, v15, v14, s9
	v_cndmask_b32_e64 v86, v13, v16, s9
                                        ; implicit-def: $vgpr13_vgpr14
	s_delay_alu instid0(VALU_DEP_2) | instskip(NEXT) | instid1(VALU_DEP_2)
	v_cmp_ge_i32_e64 s11, v87, v35
	v_cmp_lt_i32_e64 s12, v86, v36
	s_or_b32 s10, s11, s10
	s_wait_alu 0xfffe
	s_and_b32 s10, s12, s10
	s_wait_alu 0xfffe
	s_xor_b32 s11, s10, -1
	s_wait_alu 0xfffe
	s_and_saveexec_b32 s12, s11
	s_delay_alu instid0(SALU_CYCLE_1)
	s_xor_b32 s11, exec_lo, s12
; %bb.63:                               ;   in Loop: Header=BB156_2 Depth=1
	v_lshlrev_b32_e32 v13, 3, v87
	ds_load_b64 v[13:14], v13 offset:8
; %bb.64:                               ;   in Loop: Header=BB156_2 Depth=1
	s_wait_alu 0xfffe
	s_or_saveexec_b32 s11, s11
	v_dual_mov_b32 v16, v12 :: v_dual_mov_b32 v15, v11
	s_wait_alu 0xfffe
	s_xor_b32 exec_lo, exec_lo, s11
	s_cbranch_execz .LBB156_66
; %bb.65:                               ;   in Loop: Header=BB156_2 Depth=1
	s_wait_dscnt 0x0
	v_lshlrev_b32_e32 v13, 3, v86
	ds_load_b64 v[15:16], v13 offset:8
	v_dual_mov_b32 v14, v10 :: v_dual_mov_b32 v13, v9
.LBB156_66:                             ;   in Loop: Header=BB156_2 Depth=1
	s_or_b32 exec_lo, exec_lo, s11
	v_add_nc_u32_e32 v88, 1, v87
	v_add_nc_u32_e32 v89, 1, v86
	v_cndmask_b32_e64 v9, v9, v11, s10
	v_cndmask_b32_e64 v7, v5, v7, s9
	v_mov_b32_e32 v5, v51
	v_cndmask_b32_e64 v11, v88, v87, s10
	v_cndmask_b32_e64 v8, v6, v8, s9
	;; [unrolled: 1-line block ×3, first 2 shown]
	s_wait_dscnt 0x0
	v_cmp_lt_i64_e64 s9, v[15:16], v[13:14]
	v_cndmask_b32_e64 v10, v10, v12, s10
	v_cmp_ge_i32_e64 s10, v11, v35
	v_cndmask_b32_e64 v2, v2, v4, s8
	v_cmp_lt_i32_e64 s11, v6, v36
	v_cndmask_b32_e64 v1, v1, v3, s8
	s_wait_loadcnt 0x0
	s_or_b32 s8, s10, s9
	s_barrier_signal -1
	s_wait_alu 0xfffe
	s_and_b32 s8, s11, s8
	s_barrier_wait -1
	s_wait_alu 0xfffe
	v_cndmask_b32_e64 v4, v14, v16, s8
	v_cndmask_b32_e64 v3, v13, v15, s8
	global_inv scope:SCOPE_SE
	ds_store_2addr_b64 v25, v[1:2], v[7:8] offset1:1
	ds_store_2addr_b64 v25, v[9:10], v[3:4] offset0:2 offset1:3
	s_wait_loadcnt_dscnt 0x0
	s_barrier_signal -1
	s_barrier_wait -1
	global_inv scope:SCOPE_SE
	s_and_saveexec_b32 s9, s3
	s_cbranch_execz .LBB156_70
; %bb.67:                               ;   in Loop: Header=BB156_2 Depth=1
	v_mov_b32_e32 v5, v51
	v_mov_b32_e32 v1, v52
	s_mov_b32 s10, 0
.LBB156_68:                             ;   Parent Loop BB156_2 Depth=1
                                        ; =>  This Inner Loop Header: Depth=2
	s_delay_alu instid0(VALU_DEP_1) | instskip(NEXT) | instid1(VALU_DEP_1)
	v_sub_nc_u32_e32 v2, v1, v5
	v_lshrrev_b32_e32 v2, 1, v2
	s_delay_alu instid0(VALU_DEP_1) | instskip(NEXT) | instid1(VALU_DEP_1)
	v_add_nc_u32_e32 v4, v2, v5
	v_not_b32_e32 v2, v4
	v_lshl_add_u32 v3, v4, 3, v54
	s_delay_alu instid0(VALU_DEP_2)
	v_lshl_add_u32 v6, v2, 3, v81
	ds_load_b64 v[2:3], v3
	ds_load_b64 v[6:7], v6
	s_wait_dscnt 0x0
	v_cmp_lt_i64_e64 s8, v[6:7], v[2:3]
	v_add_nc_u32_e32 v2, 1, v4
	s_wait_alu 0xf1ff
	s_delay_alu instid0(VALU_DEP_2) | instskip(NEXT) | instid1(VALU_DEP_2)
	v_cndmask_b32_e64 v1, v1, v4, s8
	v_cndmask_b32_e64 v5, v2, v5, s8
	s_delay_alu instid0(VALU_DEP_1)
	v_cmp_ge_i32_e64 s8, v5, v1
	s_wait_alu 0xfffe
	s_or_b32 s10, s8, s10
	s_wait_alu 0xfffe
	s_and_not1_b32 exec_lo, exec_lo, s10
	s_cbranch_execnz .LBB156_68
; %bb.69:                               ;   in Loop: Header=BB156_2 Depth=1
	s_or_b32 exec_lo, exec_lo, s10
.LBB156_70:                             ;   in Loop: Header=BB156_2 Depth=1
	s_wait_alu 0xfffe
	s_or_b32 exec_lo, exec_lo, s9
	v_sub_nc_u32_e32 v9, v55, v5
	v_lshl_add_u32 v7, v5, 3, v54
	v_add_nc_u32_e32 v10, v5, v40
                                        ; implicit-def: $vgpr5_vgpr6
	s_delay_alu instid0(VALU_DEP_3) | instskip(SKIP_1) | instid1(VALU_DEP_3)
	v_lshlrev_b32_e32 v11, 3, v9
	v_cmp_gt_i32_e64 s10, v43, v9
	v_cmp_le_i32_e64 s9, v42, v10
	ds_load_b64 v[1:2], v7
	ds_load_b64 v[3:4], v11
	s_wait_dscnt 0x0
	v_cmp_lt_i64_e64 s8, v[3:4], v[1:2]
	s_or_b32 s8, s9, s8
	s_wait_alu 0xfffe
	s_and_b32 s8, s10, s8
	s_wait_alu 0xfffe
	s_xor_b32 s9, s8, -1
	s_wait_alu 0xfffe
	s_and_saveexec_b32 s10, s9
	s_wait_alu 0xfffe
	s_xor_b32 s9, exec_lo, s10
; %bb.71:                               ;   in Loop: Header=BB156_2 Depth=1
	ds_load_b64 v[5:6], v7 offset:8
                                        ; implicit-def: $vgpr11
; %bb.72:                               ;   in Loop: Header=BB156_2 Depth=1
	s_wait_alu 0xfffe
	s_or_saveexec_b32 s9, s9
	v_dual_mov_b32 v8, v4 :: v_dual_mov_b32 v7, v3
	s_wait_alu 0xfffe
	s_xor_b32 exec_lo, exec_lo, s9
	s_cbranch_execz .LBB156_74
; %bb.73:                               ;   in Loop: Header=BB156_2 Depth=1
	ds_load_b64 v[7:8], v11 offset:8
	s_wait_dscnt 0x1
	v_dual_mov_b32 v6, v2 :: v_dual_mov_b32 v5, v1
.LBB156_74:                             ;   in Loop: Header=BB156_2 Depth=1
	s_or_b32 exec_lo, exec_lo, s9
	v_add_nc_u32_e32 v11, 1, v10
	v_add_nc_u32_e32 v12, 1, v9
	s_wait_dscnt 0x0
	v_cmp_lt_i64_e64 s9, v[7:8], v[5:6]
	s_delay_alu instid0(VALU_DEP_3) | instskip(NEXT) | instid1(VALU_DEP_3)
	v_cndmask_b32_e64 v14, v11, v10, s8
	v_cndmask_b32_e64 v13, v9, v12, s8
                                        ; implicit-def: $vgpr9_vgpr10
	s_delay_alu instid0(VALU_DEP_2) | instskip(NEXT) | instid1(VALU_DEP_2)
	v_cmp_ge_i32_e64 s10, v14, v42
	v_cmp_lt_i32_e64 s11, v13, v43
	s_or_b32 s9, s10, s9
	s_wait_alu 0xfffe
	s_and_b32 s9, s11, s9
	s_wait_alu 0xfffe
	s_xor_b32 s10, s9, -1
	s_wait_alu 0xfffe
	s_and_saveexec_b32 s11, s10
	s_wait_alu 0xfffe
	s_xor_b32 s10, exec_lo, s11
; %bb.75:                               ;   in Loop: Header=BB156_2 Depth=1
	v_lshlrev_b32_e32 v9, 3, v14
	ds_load_b64 v[9:10], v9 offset:8
; %bb.76:                               ;   in Loop: Header=BB156_2 Depth=1
	s_wait_alu 0xfffe
	s_or_saveexec_b32 s10, s10
	v_dual_mov_b32 v12, v8 :: v_dual_mov_b32 v11, v7
	s_wait_alu 0xfffe
	s_xor_b32 exec_lo, exec_lo, s10
	s_cbranch_execz .LBB156_78
; %bb.77:                               ;   in Loop: Header=BB156_2 Depth=1
	s_wait_dscnt 0x0
	v_lshlrev_b32_e32 v9, 3, v13
	ds_load_b64 v[11:12], v9 offset:8
	v_dual_mov_b32 v10, v6 :: v_dual_mov_b32 v9, v5
.LBB156_78:                             ;   in Loop: Header=BB156_2 Depth=1
	s_or_b32 exec_lo, exec_lo, s10
	v_add_nc_u32_e32 v15, 1, v14
	v_add_nc_u32_e32 v16, 1, v13
	s_wait_dscnt 0x0
	v_cmp_lt_i64_e64 s10, v[11:12], v[9:10]
	s_delay_alu instid0(VALU_DEP_3) | instskip(NEXT) | instid1(VALU_DEP_3)
	v_cndmask_b32_e64 v87, v15, v14, s9
	v_cndmask_b32_e64 v86, v13, v16, s9
                                        ; implicit-def: $vgpr13_vgpr14
	s_delay_alu instid0(VALU_DEP_2) | instskip(NEXT) | instid1(VALU_DEP_2)
	v_cmp_ge_i32_e64 s11, v87, v42
	v_cmp_lt_i32_e64 s12, v86, v43
	s_or_b32 s10, s11, s10
	s_wait_alu 0xfffe
	s_and_b32 s10, s12, s10
	s_wait_alu 0xfffe
	s_xor_b32 s11, s10, -1
	s_wait_alu 0xfffe
	s_and_saveexec_b32 s12, s11
	s_delay_alu instid0(SALU_CYCLE_1)
	s_xor_b32 s11, exec_lo, s12
; %bb.79:                               ;   in Loop: Header=BB156_2 Depth=1
	v_lshlrev_b32_e32 v13, 3, v87
	ds_load_b64 v[13:14], v13 offset:8
; %bb.80:                               ;   in Loop: Header=BB156_2 Depth=1
	s_wait_alu 0xfffe
	s_or_saveexec_b32 s11, s11
	v_dual_mov_b32 v16, v12 :: v_dual_mov_b32 v15, v11
	s_wait_alu 0xfffe
	s_xor_b32 exec_lo, exec_lo, s11
	s_cbranch_execz .LBB156_82
; %bb.81:                               ;   in Loop: Header=BB156_2 Depth=1
	s_wait_dscnt 0x0
	v_lshlrev_b32_e32 v13, 3, v86
	ds_load_b64 v[15:16], v13 offset:8
	v_dual_mov_b32 v14, v10 :: v_dual_mov_b32 v13, v9
.LBB156_82:                             ;   in Loop: Header=BB156_2 Depth=1
	s_or_b32 exec_lo, exec_lo, s11
	v_add_nc_u32_e32 v88, 1, v87
	v_add_nc_u32_e32 v89, 1, v86
	v_cndmask_b32_e64 v9, v9, v11, s10
	v_cndmask_b32_e64 v7, v5, v7, s9
	v_mov_b32_e32 v5, v59
	v_cndmask_b32_e64 v11, v88, v87, s10
	v_cndmask_b32_e64 v8, v6, v8, s9
	;; [unrolled: 1-line block ×3, first 2 shown]
	s_wait_dscnt 0x0
	v_cmp_lt_i64_e64 s9, v[15:16], v[13:14]
	v_cndmask_b32_e64 v10, v10, v12, s10
	v_cmp_ge_i32_e64 s10, v11, v42
	v_cndmask_b32_e64 v2, v2, v4, s8
	v_cmp_lt_i32_e64 s11, v6, v43
	v_cndmask_b32_e64 v1, v1, v3, s8
	s_wait_loadcnt 0x0
	s_or_b32 s8, s10, s9
	s_barrier_signal -1
	s_wait_alu 0xfffe
	s_and_b32 s8, s11, s8
	s_barrier_wait -1
	s_wait_alu 0xfffe
	v_cndmask_b32_e64 v4, v14, v16, s8
	v_cndmask_b32_e64 v3, v13, v15, s8
	global_inv scope:SCOPE_SE
	ds_store_2addr_b64 v25, v[1:2], v[7:8] offset1:1
	ds_store_2addr_b64 v25, v[9:10], v[3:4] offset0:2 offset1:3
	s_wait_loadcnt_dscnt 0x0
	s_barrier_signal -1
	s_barrier_wait -1
	global_inv scope:SCOPE_SE
	s_and_saveexec_b32 s9, s4
	s_cbranch_execz .LBB156_86
; %bb.83:                               ;   in Loop: Header=BB156_2 Depth=1
	v_mov_b32_e32 v5, v59
	v_mov_b32_e32 v1, v62
	s_mov_b32 s10, 0
.LBB156_84:                             ;   Parent Loop BB156_2 Depth=1
                                        ; =>  This Inner Loop Header: Depth=2
	s_delay_alu instid0(VALU_DEP_1) | instskip(NEXT) | instid1(VALU_DEP_1)
	v_sub_nc_u32_e32 v2, v1, v5
	v_lshrrev_b32_e32 v2, 1, v2
	s_delay_alu instid0(VALU_DEP_1) | instskip(NEXT) | instid1(VALU_DEP_1)
	v_add_nc_u32_e32 v4, v2, v5
	v_not_b32_e32 v2, v4
	v_lshl_add_u32 v3, v4, 3, v57
	s_delay_alu instid0(VALU_DEP_2)
	v_lshl_add_u32 v6, v2, 3, v82
	ds_load_b64 v[2:3], v3
	ds_load_b64 v[6:7], v6
	s_wait_dscnt 0x0
	v_cmp_lt_i64_e64 s8, v[6:7], v[2:3]
	v_add_nc_u32_e32 v2, 1, v4
	s_wait_alu 0xf1ff
	s_delay_alu instid0(VALU_DEP_2) | instskip(NEXT) | instid1(VALU_DEP_2)
	v_cndmask_b32_e64 v1, v1, v4, s8
	v_cndmask_b32_e64 v5, v2, v5, s8
	s_delay_alu instid0(VALU_DEP_1)
	v_cmp_ge_i32_e64 s8, v5, v1
	s_wait_alu 0xfffe
	s_or_b32 s10, s8, s10
	s_wait_alu 0xfffe
	s_and_not1_b32 exec_lo, exec_lo, s10
	s_cbranch_execnz .LBB156_84
; %bb.85:                               ;   in Loop: Header=BB156_2 Depth=1
	s_or_b32 exec_lo, exec_lo, s10
.LBB156_86:                             ;   in Loop: Header=BB156_2 Depth=1
	s_wait_alu 0xfffe
	s_or_b32 exec_lo, exec_lo, s9
	v_sub_nc_u32_e32 v9, v65, v5
	v_lshl_add_u32 v7, v5, 3, v57
	v_add_nc_u32_e32 v10, v5, v47
                                        ; implicit-def: $vgpr5_vgpr6
	s_delay_alu instid0(VALU_DEP_3) | instskip(SKIP_1) | instid1(VALU_DEP_3)
	v_lshlrev_b32_e32 v11, 3, v9
	v_cmp_gt_i32_e64 s10, v50, v9
	v_cmp_le_i32_e64 s9, v49, v10
	ds_load_b64 v[1:2], v7
	ds_load_b64 v[3:4], v11
	s_wait_dscnt 0x0
	v_cmp_lt_i64_e64 s8, v[3:4], v[1:2]
	s_or_b32 s8, s9, s8
	s_wait_alu 0xfffe
	s_and_b32 s8, s10, s8
	s_wait_alu 0xfffe
	s_xor_b32 s9, s8, -1
	s_wait_alu 0xfffe
	s_and_saveexec_b32 s10, s9
	s_wait_alu 0xfffe
	s_xor_b32 s9, exec_lo, s10
; %bb.87:                               ;   in Loop: Header=BB156_2 Depth=1
	ds_load_b64 v[5:6], v7 offset:8
                                        ; implicit-def: $vgpr11
; %bb.88:                               ;   in Loop: Header=BB156_2 Depth=1
	s_wait_alu 0xfffe
	s_or_saveexec_b32 s9, s9
	v_dual_mov_b32 v8, v4 :: v_dual_mov_b32 v7, v3
	s_wait_alu 0xfffe
	s_xor_b32 exec_lo, exec_lo, s9
	s_cbranch_execz .LBB156_90
; %bb.89:                               ;   in Loop: Header=BB156_2 Depth=1
	ds_load_b64 v[7:8], v11 offset:8
	s_wait_dscnt 0x1
	v_dual_mov_b32 v6, v2 :: v_dual_mov_b32 v5, v1
.LBB156_90:                             ;   in Loop: Header=BB156_2 Depth=1
	s_or_b32 exec_lo, exec_lo, s9
	v_add_nc_u32_e32 v11, 1, v10
	v_add_nc_u32_e32 v12, 1, v9
	s_wait_dscnt 0x0
	v_cmp_lt_i64_e64 s9, v[7:8], v[5:6]
	s_delay_alu instid0(VALU_DEP_3) | instskip(NEXT) | instid1(VALU_DEP_3)
	v_cndmask_b32_e64 v14, v11, v10, s8
	v_cndmask_b32_e64 v13, v9, v12, s8
                                        ; implicit-def: $vgpr9_vgpr10
	s_delay_alu instid0(VALU_DEP_2) | instskip(NEXT) | instid1(VALU_DEP_2)
	v_cmp_ge_i32_e64 s10, v14, v49
	v_cmp_lt_i32_e64 s11, v13, v50
	s_or_b32 s9, s10, s9
	s_wait_alu 0xfffe
	s_and_b32 s9, s11, s9
	s_wait_alu 0xfffe
	s_xor_b32 s10, s9, -1
	s_wait_alu 0xfffe
	s_and_saveexec_b32 s11, s10
	s_wait_alu 0xfffe
	s_xor_b32 s10, exec_lo, s11
; %bb.91:                               ;   in Loop: Header=BB156_2 Depth=1
	v_lshlrev_b32_e32 v9, 3, v14
	ds_load_b64 v[9:10], v9 offset:8
; %bb.92:                               ;   in Loop: Header=BB156_2 Depth=1
	s_wait_alu 0xfffe
	s_or_saveexec_b32 s10, s10
	v_dual_mov_b32 v12, v8 :: v_dual_mov_b32 v11, v7
	s_wait_alu 0xfffe
	s_xor_b32 exec_lo, exec_lo, s10
	s_cbranch_execz .LBB156_94
; %bb.93:                               ;   in Loop: Header=BB156_2 Depth=1
	s_wait_dscnt 0x0
	v_lshlrev_b32_e32 v9, 3, v13
	ds_load_b64 v[11:12], v9 offset:8
	v_dual_mov_b32 v10, v6 :: v_dual_mov_b32 v9, v5
.LBB156_94:                             ;   in Loop: Header=BB156_2 Depth=1
	s_or_b32 exec_lo, exec_lo, s10
	v_add_nc_u32_e32 v15, 1, v14
	v_add_nc_u32_e32 v16, 1, v13
	s_wait_dscnt 0x0
	v_cmp_lt_i64_e64 s10, v[11:12], v[9:10]
	s_delay_alu instid0(VALU_DEP_3) | instskip(NEXT) | instid1(VALU_DEP_3)
	v_cndmask_b32_e64 v87, v15, v14, s9
	v_cndmask_b32_e64 v86, v13, v16, s9
                                        ; implicit-def: $vgpr13_vgpr14
	s_delay_alu instid0(VALU_DEP_2) | instskip(NEXT) | instid1(VALU_DEP_2)
	v_cmp_ge_i32_e64 s11, v87, v49
	v_cmp_lt_i32_e64 s12, v86, v50
	s_or_b32 s10, s11, s10
	s_wait_alu 0xfffe
	s_and_b32 s10, s12, s10
	s_wait_alu 0xfffe
	s_xor_b32 s11, s10, -1
	s_wait_alu 0xfffe
	s_and_saveexec_b32 s12, s11
	s_delay_alu instid0(SALU_CYCLE_1)
	s_xor_b32 s11, exec_lo, s12
; %bb.95:                               ;   in Loop: Header=BB156_2 Depth=1
	v_lshlrev_b32_e32 v13, 3, v87
	ds_load_b64 v[13:14], v13 offset:8
; %bb.96:                               ;   in Loop: Header=BB156_2 Depth=1
	s_wait_alu 0xfffe
	s_or_saveexec_b32 s11, s11
	v_dual_mov_b32 v16, v12 :: v_dual_mov_b32 v15, v11
	s_wait_alu 0xfffe
	s_xor_b32 exec_lo, exec_lo, s11
	s_cbranch_execz .LBB156_98
; %bb.97:                               ;   in Loop: Header=BB156_2 Depth=1
	s_wait_dscnt 0x0
	v_lshlrev_b32_e32 v13, 3, v86
	ds_load_b64 v[15:16], v13 offset:8
	v_dual_mov_b32 v14, v10 :: v_dual_mov_b32 v13, v9
.LBB156_98:                             ;   in Loop: Header=BB156_2 Depth=1
	s_or_b32 exec_lo, exec_lo, s11
	v_add_nc_u32_e32 v88, 1, v87
	v_add_nc_u32_e32 v89, 1, v86
	v_cndmask_b32_e64 v9, v9, v11, s10
	v_cndmask_b32_e64 v7, v5, v7, s9
	v_mov_b32_e32 v5, v66
	v_cndmask_b32_e64 v11, v88, v87, s10
	v_cndmask_b32_e64 v8, v6, v8, s9
	v_cndmask_b32_e64 v6, v86, v89, s10
	s_wait_dscnt 0x0
	v_cmp_lt_i64_e64 s9, v[15:16], v[13:14]
	v_cndmask_b32_e64 v10, v10, v12, s10
	v_cmp_ge_i32_e64 s10, v11, v49
	v_cndmask_b32_e64 v2, v2, v4, s8
	v_cmp_lt_i32_e64 s11, v6, v50
	v_cndmask_b32_e64 v1, v1, v3, s8
	s_wait_loadcnt 0x0
	s_or_b32 s8, s10, s9
	s_barrier_signal -1
	s_wait_alu 0xfffe
	s_and_b32 s8, s11, s8
	s_barrier_wait -1
	s_wait_alu 0xfffe
	v_cndmask_b32_e64 v4, v14, v16, s8
	v_cndmask_b32_e64 v3, v13, v15, s8
	global_inv scope:SCOPE_SE
	ds_store_2addr_b64 v25, v[1:2], v[7:8] offset1:1
	ds_store_2addr_b64 v25, v[9:10], v[3:4] offset0:2 offset1:3
	s_wait_loadcnt_dscnt 0x0
	s_barrier_signal -1
	s_barrier_wait -1
	global_inv scope:SCOPE_SE
	s_and_saveexec_b32 s9, s5
	s_cbranch_execz .LBB156_102
; %bb.99:                               ;   in Loop: Header=BB156_2 Depth=1
	v_mov_b32_e32 v5, v66
	v_mov_b32_e32 v1, v67
	s_mov_b32 s10, 0
.LBB156_100:                            ;   Parent Loop BB156_2 Depth=1
                                        ; =>  This Inner Loop Header: Depth=2
	s_delay_alu instid0(VALU_DEP_1) | instskip(NEXT) | instid1(VALU_DEP_1)
	v_sub_nc_u32_e32 v2, v1, v5
	v_lshrrev_b32_e32 v2, 1, v2
	s_delay_alu instid0(VALU_DEP_1) | instskip(NEXT) | instid1(VALU_DEP_1)
	v_add_nc_u32_e32 v4, v2, v5
	v_not_b32_e32 v2, v4
	v_lshl_add_u32 v3, v4, 3, v70
	s_delay_alu instid0(VALU_DEP_2)
	v_lshl_add_u32 v6, v2, 3, v83
	ds_load_b64 v[2:3], v3
	ds_load_b64 v[6:7], v6
	s_wait_dscnt 0x0
	v_cmp_lt_i64_e64 s8, v[6:7], v[2:3]
	v_add_nc_u32_e32 v2, 1, v4
	s_wait_alu 0xf1ff
	s_delay_alu instid0(VALU_DEP_2) | instskip(NEXT) | instid1(VALU_DEP_2)
	v_cndmask_b32_e64 v1, v1, v4, s8
	v_cndmask_b32_e64 v5, v2, v5, s8
	s_delay_alu instid0(VALU_DEP_1)
	v_cmp_ge_i32_e64 s8, v5, v1
	s_wait_alu 0xfffe
	s_or_b32 s10, s8, s10
	s_wait_alu 0xfffe
	s_and_not1_b32 exec_lo, exec_lo, s10
	s_cbranch_execnz .LBB156_100
; %bb.101:                              ;   in Loop: Header=BB156_2 Depth=1
	s_or_b32 exec_lo, exec_lo, s10
.LBB156_102:                            ;   in Loop: Header=BB156_2 Depth=1
	s_wait_alu 0xfffe
	s_or_b32 exec_lo, exec_lo, s9
	v_sub_nc_u32_e32 v9, v71, v5
	v_lshl_add_u32 v7, v5, 3, v70
	v_add_nc_u32_e32 v10, v5, v56
                                        ; implicit-def: $vgpr5_vgpr6
	s_delay_alu instid0(VALU_DEP_3) | instskip(SKIP_1) | instid1(VALU_DEP_3)
	v_lshlrev_b32_e32 v11, 3, v9
	v_cmp_gt_i32_e64 s10, v61, v9
	v_cmp_le_i32_e64 s9, v60, v10
	ds_load_b64 v[1:2], v7
	ds_load_b64 v[3:4], v11
	s_wait_dscnt 0x0
	v_cmp_lt_i64_e64 s8, v[3:4], v[1:2]
	s_or_b32 s8, s9, s8
	s_wait_alu 0xfffe
	s_and_b32 s8, s10, s8
	s_wait_alu 0xfffe
	s_xor_b32 s9, s8, -1
	s_wait_alu 0xfffe
	s_and_saveexec_b32 s10, s9
	s_wait_alu 0xfffe
	s_xor_b32 s9, exec_lo, s10
; %bb.103:                              ;   in Loop: Header=BB156_2 Depth=1
	ds_load_b64 v[5:6], v7 offset:8
                                        ; implicit-def: $vgpr11
; %bb.104:                              ;   in Loop: Header=BB156_2 Depth=1
	s_wait_alu 0xfffe
	s_or_saveexec_b32 s9, s9
	v_dual_mov_b32 v8, v4 :: v_dual_mov_b32 v7, v3
	s_wait_alu 0xfffe
	s_xor_b32 exec_lo, exec_lo, s9
	s_cbranch_execz .LBB156_106
; %bb.105:                              ;   in Loop: Header=BB156_2 Depth=1
	ds_load_b64 v[7:8], v11 offset:8
	s_wait_dscnt 0x1
	v_dual_mov_b32 v6, v2 :: v_dual_mov_b32 v5, v1
.LBB156_106:                            ;   in Loop: Header=BB156_2 Depth=1
	s_or_b32 exec_lo, exec_lo, s9
	v_add_nc_u32_e32 v11, 1, v10
	v_add_nc_u32_e32 v12, 1, v9
	s_wait_dscnt 0x0
	v_cmp_lt_i64_e64 s9, v[7:8], v[5:6]
	s_delay_alu instid0(VALU_DEP_3) | instskip(NEXT) | instid1(VALU_DEP_3)
	v_cndmask_b32_e64 v14, v11, v10, s8
	v_cndmask_b32_e64 v13, v9, v12, s8
                                        ; implicit-def: $vgpr9_vgpr10
	s_delay_alu instid0(VALU_DEP_2) | instskip(NEXT) | instid1(VALU_DEP_2)
	v_cmp_ge_i32_e64 s10, v14, v60
	v_cmp_lt_i32_e64 s11, v13, v61
	s_or_b32 s9, s10, s9
	s_wait_alu 0xfffe
	s_and_b32 s9, s11, s9
	s_wait_alu 0xfffe
	s_xor_b32 s10, s9, -1
	s_wait_alu 0xfffe
	s_and_saveexec_b32 s11, s10
	s_wait_alu 0xfffe
	s_xor_b32 s10, exec_lo, s11
; %bb.107:                              ;   in Loop: Header=BB156_2 Depth=1
	v_lshlrev_b32_e32 v9, 3, v14
	ds_load_b64 v[9:10], v9 offset:8
; %bb.108:                              ;   in Loop: Header=BB156_2 Depth=1
	s_wait_alu 0xfffe
	s_or_saveexec_b32 s10, s10
	v_dual_mov_b32 v12, v8 :: v_dual_mov_b32 v11, v7
	s_wait_alu 0xfffe
	s_xor_b32 exec_lo, exec_lo, s10
	s_cbranch_execz .LBB156_110
; %bb.109:                              ;   in Loop: Header=BB156_2 Depth=1
	s_wait_dscnt 0x0
	v_lshlrev_b32_e32 v9, 3, v13
	ds_load_b64 v[11:12], v9 offset:8
	v_dual_mov_b32 v10, v6 :: v_dual_mov_b32 v9, v5
.LBB156_110:                            ;   in Loop: Header=BB156_2 Depth=1
	s_or_b32 exec_lo, exec_lo, s10
	v_add_nc_u32_e32 v15, 1, v14
	v_add_nc_u32_e32 v16, 1, v13
	s_wait_dscnt 0x0
	v_cmp_lt_i64_e64 s10, v[11:12], v[9:10]
	s_delay_alu instid0(VALU_DEP_3) | instskip(NEXT) | instid1(VALU_DEP_3)
	v_cndmask_b32_e64 v87, v15, v14, s9
	v_cndmask_b32_e64 v86, v13, v16, s9
                                        ; implicit-def: $vgpr13_vgpr14
	s_delay_alu instid0(VALU_DEP_2) | instskip(NEXT) | instid1(VALU_DEP_2)
	v_cmp_ge_i32_e64 s11, v87, v60
	v_cmp_lt_i32_e64 s12, v86, v61
	s_or_b32 s10, s11, s10
	s_wait_alu 0xfffe
	s_and_b32 s10, s12, s10
	s_wait_alu 0xfffe
	s_xor_b32 s11, s10, -1
	s_wait_alu 0xfffe
	s_and_saveexec_b32 s12, s11
	s_delay_alu instid0(SALU_CYCLE_1)
	s_xor_b32 s11, exec_lo, s12
; %bb.111:                              ;   in Loop: Header=BB156_2 Depth=1
	v_lshlrev_b32_e32 v13, 3, v87
	ds_load_b64 v[13:14], v13 offset:8
; %bb.112:                              ;   in Loop: Header=BB156_2 Depth=1
	s_wait_alu 0xfffe
	s_or_saveexec_b32 s11, s11
	v_dual_mov_b32 v16, v12 :: v_dual_mov_b32 v15, v11
	s_wait_alu 0xfffe
	s_xor_b32 exec_lo, exec_lo, s11
	s_cbranch_execz .LBB156_114
; %bb.113:                              ;   in Loop: Header=BB156_2 Depth=1
	s_wait_dscnt 0x0
	v_lshlrev_b32_e32 v13, 3, v86
	ds_load_b64 v[15:16], v13 offset:8
	v_dual_mov_b32 v14, v10 :: v_dual_mov_b32 v13, v9
.LBB156_114:                            ;   in Loop: Header=BB156_2 Depth=1
	s_or_b32 exec_lo, exec_lo, s11
	v_add_nc_u32_e32 v88, 1, v87
	v_add_nc_u32_e32 v89, 1, v86
	v_cndmask_b32_e64 v9, v9, v11, s10
	v_cndmask_b32_e64 v7, v5, v7, s9
	v_mov_b32_e32 v5, v68
	v_cndmask_b32_e64 v11, v88, v87, s10
	v_cndmask_b32_e64 v8, v6, v8, s9
	;; [unrolled: 1-line block ×3, first 2 shown]
	s_wait_dscnt 0x0
	v_cmp_lt_i64_e64 s9, v[15:16], v[13:14]
	v_cndmask_b32_e64 v10, v10, v12, s10
	v_cmp_ge_i32_e64 s10, v11, v60
	v_cndmask_b32_e64 v2, v2, v4, s8
	v_cmp_lt_i32_e64 s11, v6, v61
	v_cndmask_b32_e64 v1, v1, v3, s8
	s_wait_loadcnt 0x0
	s_or_b32 s8, s10, s9
	s_barrier_signal -1
	s_wait_alu 0xfffe
	s_and_b32 s8, s11, s8
	s_barrier_wait -1
	s_wait_alu 0xfffe
	v_cndmask_b32_e64 v4, v14, v16, s8
	v_cndmask_b32_e64 v3, v13, v15, s8
	global_inv scope:SCOPE_SE
	ds_store_2addr_b64 v25, v[1:2], v[7:8] offset1:1
	ds_store_2addr_b64 v25, v[9:10], v[3:4] offset0:2 offset1:3
	s_wait_loadcnt_dscnt 0x0
	s_barrier_signal -1
	s_barrier_wait -1
	global_inv scope:SCOPE_SE
	s_and_saveexec_b32 s9, s6
	s_cbranch_execz .LBB156_118
; %bb.115:                              ;   in Loop: Header=BB156_2 Depth=1
	v_mov_b32_e32 v5, v68
	v_mov_b32_e32 v1, v69
	s_mov_b32 s10, 0
.LBB156_116:                            ;   Parent Loop BB156_2 Depth=1
                                        ; =>  This Inner Loop Header: Depth=2
	s_delay_alu instid0(VALU_DEP_1) | instskip(NEXT) | instid1(VALU_DEP_1)
	v_sub_nc_u32_e32 v2, v1, v5
	v_lshrrev_b32_e32 v2, 1, v2
	s_delay_alu instid0(VALU_DEP_1) | instskip(NEXT) | instid1(VALU_DEP_1)
	v_add_nc_u32_e32 v4, v2, v5
	v_not_b32_e32 v2, v4
	v_lshl_add_u32 v3, v4, 3, v72
	s_delay_alu instid0(VALU_DEP_2)
	v_lshl_add_u32 v6, v2, 3, v84
	ds_load_b64 v[2:3], v3
	ds_load_b64 v[6:7], v6
	s_wait_dscnt 0x0
	v_cmp_lt_i64_e64 s8, v[6:7], v[2:3]
	v_add_nc_u32_e32 v2, 1, v4
	s_wait_alu 0xf1ff
	s_delay_alu instid0(VALU_DEP_2) | instskip(NEXT) | instid1(VALU_DEP_2)
	v_cndmask_b32_e64 v1, v1, v4, s8
	v_cndmask_b32_e64 v5, v2, v5, s8
	s_delay_alu instid0(VALU_DEP_1)
	v_cmp_ge_i32_e64 s8, v5, v1
	s_wait_alu 0xfffe
	s_or_b32 s10, s8, s10
	s_wait_alu 0xfffe
	s_and_not1_b32 exec_lo, exec_lo, s10
	s_cbranch_execnz .LBB156_116
; %bb.117:                              ;   in Loop: Header=BB156_2 Depth=1
	s_or_b32 exec_lo, exec_lo, s10
.LBB156_118:                            ;   in Loop: Header=BB156_2 Depth=1
	s_wait_alu 0xfffe
	s_or_b32 exec_lo, exec_lo, s9
	v_sub_nc_u32_e32 v9, v75, v5
	v_lshl_add_u32 v7, v5, 3, v72
	v_add_nc_u32_e32 v10, v5, v58
                                        ; implicit-def: $vgpr5_vgpr6
	s_delay_alu instid0(VALU_DEP_3) | instskip(SKIP_1) | instid1(VALU_DEP_3)
	v_lshlrev_b32_e32 v11, 3, v9
	v_cmp_gt_i32_e64 s10, v64, v9
	v_cmp_le_i32_e64 s9, v63, v10
	ds_load_b64 v[1:2], v7
	ds_load_b64 v[3:4], v11
	s_wait_dscnt 0x0
	v_cmp_lt_i64_e64 s8, v[3:4], v[1:2]
	s_or_b32 s8, s9, s8
	s_wait_alu 0xfffe
	s_and_b32 s8, s10, s8
	s_wait_alu 0xfffe
	s_xor_b32 s9, s8, -1
	s_wait_alu 0xfffe
	s_and_saveexec_b32 s10, s9
	s_wait_alu 0xfffe
	s_xor_b32 s9, exec_lo, s10
; %bb.119:                              ;   in Loop: Header=BB156_2 Depth=1
	ds_load_b64 v[5:6], v7 offset:8
                                        ; implicit-def: $vgpr11
; %bb.120:                              ;   in Loop: Header=BB156_2 Depth=1
	s_wait_alu 0xfffe
	s_or_saveexec_b32 s9, s9
	v_dual_mov_b32 v8, v4 :: v_dual_mov_b32 v7, v3
	s_wait_alu 0xfffe
	s_xor_b32 exec_lo, exec_lo, s9
	s_cbranch_execz .LBB156_122
; %bb.121:                              ;   in Loop: Header=BB156_2 Depth=1
	ds_load_b64 v[7:8], v11 offset:8
	s_wait_dscnt 0x1
	v_dual_mov_b32 v6, v2 :: v_dual_mov_b32 v5, v1
.LBB156_122:                            ;   in Loop: Header=BB156_2 Depth=1
	s_or_b32 exec_lo, exec_lo, s9
	v_add_nc_u32_e32 v11, 1, v10
	v_add_nc_u32_e32 v12, 1, v9
	s_wait_dscnt 0x0
	v_cmp_lt_i64_e64 s9, v[7:8], v[5:6]
	s_delay_alu instid0(VALU_DEP_3) | instskip(NEXT) | instid1(VALU_DEP_3)
	v_cndmask_b32_e64 v14, v11, v10, s8
	v_cndmask_b32_e64 v13, v9, v12, s8
                                        ; implicit-def: $vgpr9_vgpr10
	s_delay_alu instid0(VALU_DEP_2) | instskip(NEXT) | instid1(VALU_DEP_2)
	v_cmp_ge_i32_e64 s10, v14, v63
	v_cmp_lt_i32_e64 s11, v13, v64
	s_or_b32 s9, s10, s9
	s_wait_alu 0xfffe
	s_and_b32 s9, s11, s9
	s_wait_alu 0xfffe
	s_xor_b32 s10, s9, -1
	s_wait_alu 0xfffe
	s_and_saveexec_b32 s11, s10
	s_wait_alu 0xfffe
	s_xor_b32 s10, exec_lo, s11
; %bb.123:                              ;   in Loop: Header=BB156_2 Depth=1
	v_lshlrev_b32_e32 v9, 3, v14
	ds_load_b64 v[9:10], v9 offset:8
; %bb.124:                              ;   in Loop: Header=BB156_2 Depth=1
	s_wait_alu 0xfffe
	s_or_saveexec_b32 s10, s10
	v_dual_mov_b32 v12, v8 :: v_dual_mov_b32 v11, v7
	s_wait_alu 0xfffe
	s_xor_b32 exec_lo, exec_lo, s10
	s_cbranch_execz .LBB156_126
; %bb.125:                              ;   in Loop: Header=BB156_2 Depth=1
	s_wait_dscnt 0x0
	v_lshlrev_b32_e32 v9, 3, v13
	ds_load_b64 v[11:12], v9 offset:8
	v_dual_mov_b32 v10, v6 :: v_dual_mov_b32 v9, v5
.LBB156_126:                            ;   in Loop: Header=BB156_2 Depth=1
	s_or_b32 exec_lo, exec_lo, s10
	v_add_nc_u32_e32 v15, 1, v14
	v_add_nc_u32_e32 v16, 1, v13
	s_wait_dscnt 0x0
	v_cmp_lt_i64_e64 s10, v[11:12], v[9:10]
	s_delay_alu instid0(VALU_DEP_3) | instskip(NEXT) | instid1(VALU_DEP_3)
	v_cndmask_b32_e64 v87, v15, v14, s9
	v_cndmask_b32_e64 v86, v13, v16, s9
                                        ; implicit-def: $vgpr13_vgpr14
	s_delay_alu instid0(VALU_DEP_2) | instskip(NEXT) | instid1(VALU_DEP_2)
	v_cmp_ge_i32_e64 s11, v87, v63
	v_cmp_lt_i32_e64 s12, v86, v64
	s_or_b32 s10, s11, s10
	s_wait_alu 0xfffe
	s_and_b32 s10, s12, s10
	s_wait_alu 0xfffe
	s_xor_b32 s11, s10, -1
	s_wait_alu 0xfffe
	s_and_saveexec_b32 s12, s11
	s_delay_alu instid0(SALU_CYCLE_1)
	s_xor_b32 s11, exec_lo, s12
; %bb.127:                              ;   in Loop: Header=BB156_2 Depth=1
	v_lshlrev_b32_e32 v13, 3, v87
	ds_load_b64 v[13:14], v13 offset:8
; %bb.128:                              ;   in Loop: Header=BB156_2 Depth=1
	s_wait_alu 0xfffe
	s_or_saveexec_b32 s11, s11
	v_dual_mov_b32 v16, v12 :: v_dual_mov_b32 v15, v11
	s_wait_alu 0xfffe
	s_xor_b32 exec_lo, exec_lo, s11
	s_cbranch_execz .LBB156_130
; %bb.129:                              ;   in Loop: Header=BB156_2 Depth=1
	s_wait_dscnt 0x0
	v_lshlrev_b32_e32 v13, 3, v86
	ds_load_b64 v[15:16], v13 offset:8
	v_dual_mov_b32 v14, v10 :: v_dual_mov_b32 v13, v9
.LBB156_130:                            ;   in Loop: Header=BB156_2 Depth=1
	s_or_b32 exec_lo, exec_lo, s11
	v_add_nc_u32_e32 v88, 1, v87
	v_add_nc_u32_e32 v89, 1, v86
	v_cndmask_b32_e64 v11, v9, v11, s10
	v_cndmask_b32_e64 v6, v6, v8, s9
	;; [unrolled: 1-line block ×5, first 2 shown]
	s_wait_dscnt 0x0
	v_cmp_lt_i64_e64 s9, v[15:16], v[13:14]
	v_cndmask_b32_e64 v12, v10, v12, s10
	v_cndmask_b32_e64 v2, v2, v4, s8
	v_cmp_ge_i32_e64 s10, v9, v63
	v_cmp_lt_i32_e64 s11, v8, v64
	v_cndmask_b32_e64 v1, v1, v3, s8
	v_mov_b32_e32 v9, v73
	s_wait_loadcnt 0x0
	s_or_b32 s8, s10, s9
	s_barrier_signal -1
	s_wait_alu 0xfffe
	s_and_b32 s8, s11, s8
	s_barrier_wait -1
	s_wait_alu 0xfffe
	v_cndmask_b32_e64 v4, v14, v16, s8
	v_cndmask_b32_e64 v3, v13, v15, s8
	global_inv scope:SCOPE_SE
	ds_store_2addr_b64 v25, v[1:2], v[5:6] offset1:1
	ds_store_2addr_b64 v25, v[11:12], v[3:4] offset0:2 offset1:3
	s_wait_loadcnt_dscnt 0x0
	s_barrier_signal -1
	s_barrier_wait -1
	global_inv scope:SCOPE_SE
	s_and_saveexec_b32 s9, s7
	s_cbranch_execz .LBB156_134
; %bb.131:                              ;   in Loop: Header=BB156_2 Depth=1
	v_mov_b32_e32 v9, v73
	v_mov_b32_e32 v1, v74
	s_mov_b32 s10, 0
.LBB156_132:                            ;   Parent Loop BB156_2 Depth=1
                                        ; =>  This Inner Loop Header: Depth=2
	s_delay_alu instid0(VALU_DEP_1) | instskip(NEXT) | instid1(VALU_DEP_1)
	v_sub_nc_u32_e32 v2, v1, v9
	v_lshrrev_b32_e32 v2, 1, v2
	s_delay_alu instid0(VALU_DEP_1) | instskip(NEXT) | instid1(VALU_DEP_1)
	v_add_nc_u32_e32 v6, v2, v9
	v_not_b32_e32 v2, v6
	v_lshlrev_b32_e32 v3, 3, v6
	s_delay_alu instid0(VALU_DEP_2)
	v_lshl_add_u32 v4, v2, 3, v85
	ds_load_b64 v[2:3], v3
	ds_load_b64 v[4:5], v4
	s_wait_dscnt 0x0
	v_cmp_lt_i64_e64 s8, v[4:5], v[2:3]
	v_add_nc_u32_e32 v2, 1, v6
	s_wait_alu 0xf1ff
	s_delay_alu instid0(VALU_DEP_2) | instskip(NEXT) | instid1(VALU_DEP_2)
	v_cndmask_b32_e64 v1, v1, v6, s8
	v_cndmask_b32_e64 v9, v2, v9, s8
	s_delay_alu instid0(VALU_DEP_1)
	v_cmp_ge_i32_e64 s8, v9, v1
	s_wait_alu 0xfffe
	s_or_b32 s10, s8, s10
	s_wait_alu 0xfffe
	s_and_not1_b32 exec_lo, exec_lo, s10
	s_cbranch_execnz .LBB156_132
; %bb.133:                              ;   in Loop: Header=BB156_2 Depth=1
	s_or_b32 exec_lo, exec_lo, s10
.LBB156_134:                            ;   in Loop: Header=BB156_2 Depth=1
	s_wait_alu 0xfffe
	s_or_b32 exec_lo, exec_lo, s9
	v_sub_nc_u32_e32 v10, v76, v9
	v_lshlrev_b32_e32 v7, 3, v9
	v_cmp_le_i32_e64 s9, 0x400, v9
                                        ; implicit-def: $vgpr3_vgpr4
	s_delay_alu instid0(VALU_DEP_3)
	v_lshlrev_b32_e32 v11, 3, v10
	v_cmp_gt_i32_e64 s10, 0x800, v10
	ds_load_b64 v[1:2], v7
	ds_load_b64 v[5:6], v11
	s_wait_dscnt 0x0
	v_cmp_lt_i64_e64 s8, v[5:6], v[1:2]
	s_or_b32 s8, s9, s8
	s_wait_alu 0xfffe
	s_and_b32 s8, s10, s8
	s_wait_alu 0xfffe
	s_xor_b32 s9, s8, -1
	s_wait_alu 0xfffe
	s_and_saveexec_b32 s10, s9
	s_wait_alu 0xfffe
	s_xor_b32 s9, exec_lo, s10
; %bb.135:                              ;   in Loop: Header=BB156_2 Depth=1
	ds_load_b64 v[3:4], v7 offset:8
                                        ; implicit-def: $vgpr11
; %bb.136:                              ;   in Loop: Header=BB156_2 Depth=1
	s_wait_alu 0xfffe
	s_or_saveexec_b32 s9, s9
	v_dual_mov_b32 v8, v6 :: v_dual_mov_b32 v7, v5
	s_wait_alu 0xfffe
	s_xor_b32 exec_lo, exec_lo, s9
	s_cbranch_execz .LBB156_138
; %bb.137:                              ;   in Loop: Header=BB156_2 Depth=1
	ds_load_b64 v[7:8], v11 offset:8
	s_wait_dscnt 0x1
	v_dual_mov_b32 v4, v2 :: v_dual_mov_b32 v3, v1
.LBB156_138:                            ;   in Loop: Header=BB156_2 Depth=1
	s_or_b32 exec_lo, exec_lo, s9
	v_add_nc_u32_e32 v11, 1, v9
	v_add_nc_u32_e32 v12, 1, v10
	s_wait_dscnt 0x0
	v_cmp_lt_i64_e64 s9, v[7:8], v[3:4]
	s_delay_alu instid0(VALU_DEP_3) | instskip(NEXT) | instid1(VALU_DEP_3)
	v_cndmask_b32_e64 v14, v11, v9, s8
	v_cndmask_b32_e64 v13, v10, v12, s8
                                        ; implicit-def: $vgpr9_vgpr10
	s_delay_alu instid0(VALU_DEP_2) | instskip(NEXT) | instid1(VALU_DEP_2)
	v_cmp_le_i32_e64 s10, 0x400, v14
	v_cmp_gt_i32_e64 s11, 0x800, v13
	s_or_b32 s9, s10, s9
	s_wait_alu 0xfffe
	s_and_b32 s9, s11, s9
	s_wait_alu 0xfffe
	s_xor_b32 s10, s9, -1
	s_wait_alu 0xfffe
	s_and_saveexec_b32 s11, s10
	s_wait_alu 0xfffe
	s_xor_b32 s10, exec_lo, s11
; %bb.139:                              ;   in Loop: Header=BB156_2 Depth=1
	v_lshlrev_b32_e32 v9, 3, v14
	ds_load_b64 v[9:10], v9 offset:8
; %bb.140:                              ;   in Loop: Header=BB156_2 Depth=1
	s_wait_alu 0xfffe
	s_or_saveexec_b32 s10, s10
	v_dual_mov_b32 v12, v8 :: v_dual_mov_b32 v11, v7
	s_wait_alu 0xfffe
	s_xor_b32 exec_lo, exec_lo, s10
	s_cbranch_execz .LBB156_142
; %bb.141:                              ;   in Loop: Header=BB156_2 Depth=1
	s_wait_dscnt 0x0
	v_lshlrev_b32_e32 v9, 3, v13
	ds_load_b64 v[11:12], v9 offset:8
	v_dual_mov_b32 v10, v4 :: v_dual_mov_b32 v9, v3
.LBB156_142:                            ;   in Loop: Header=BB156_2 Depth=1
	s_or_b32 exec_lo, exec_lo, s10
	v_add_nc_u32_e32 v15, 1, v14
	v_add_nc_u32_e32 v16, 1, v13
	s_wait_dscnt 0x0
	v_cmp_lt_i64_e64 s10, v[11:12], v[9:10]
                                        ; implicit-def: $vgpr87
	s_delay_alu instid0(VALU_DEP_3) | instskip(NEXT) | instid1(VALU_DEP_3)
	v_cndmask_b32_e64 v88, v15, v14, s9
	v_cndmask_b32_e64 v86, v13, v16, s9
                                        ; implicit-def: $vgpr13_vgpr14
	s_delay_alu instid0(VALU_DEP_2) | instskip(NEXT) | instid1(VALU_DEP_2)
	v_cmp_le_i32_e64 s11, 0x400, v88
	v_cmp_gt_i32_e64 s12, 0x800, v86
	s_or_b32 s10, s11, s10
	s_wait_alu 0xfffe
	s_and_b32 s10, s12, s10
	s_wait_alu 0xfffe
	s_xor_b32 s11, s10, -1
	s_wait_alu 0xfffe
	s_and_saveexec_b32 s12, s11
	s_delay_alu instid0(SALU_CYCLE_1)
	s_xor_b32 s11, exec_lo, s12
; %bb.143:                              ;   in Loop: Header=BB156_2 Depth=1
	v_lshlrev_b32_e32 v13, 3, v88
	v_add_nc_u32_e32 v87, 1, v88
                                        ; implicit-def: $vgpr88
	ds_load_b64 v[13:14], v13 offset:8
; %bb.144:                              ;   in Loop: Header=BB156_2 Depth=1
	s_wait_alu 0xfffe
	s_or_saveexec_b32 s11, s11
	v_dual_mov_b32 v16, v12 :: v_dual_mov_b32 v15, v11
	s_wait_alu 0xfffe
	s_xor_b32 exec_lo, exec_lo, s11
	s_cbranch_execz .LBB156_1
; %bb.145:                              ;   in Loop: Header=BB156_2 Depth=1
	s_wait_dscnt 0x0
	v_lshlrev_b32_e32 v13, 3, v86
	v_dual_mov_b32 v87, v88 :: v_dual_add_nc_u32 v86, 1, v86
	ds_load_b64 v[15:16], v13 offset:8
	v_dual_mov_b32 v14, v10 :: v_dual_mov_b32 v13, v9
	s_branch .LBB156_1
.LBB156_146:
	v_lshlrev_b32_e32 v0, 3, v0
	s_add_nc_u64 s[0:1], s[14:15], s[18:19]
	s_clause 0x3
	global_store_b64 v0, v[1:2], s[0:1]
	global_store_b64 v0, v[7:8], s[0:1] offset:4096
	global_store_b64 v0, v[3:4], s[0:1] offset:8192
	;; [unrolled: 1-line block ×3, first 2 shown]
	s_endpgm
	.section	.rodata,"a",@progbits
	.p2align	6, 0x0
	.amdhsa_kernel _Z16sort_keys_kernelIxLj512ELj4EN10test_utils4lessELj10EEvPKT_PS2_T2_
		.amdhsa_group_segment_fixed_size 16392
		.amdhsa_private_segment_fixed_size 0
		.amdhsa_kernarg_size 20
		.amdhsa_user_sgpr_count 2
		.amdhsa_user_sgpr_dispatch_ptr 0
		.amdhsa_user_sgpr_queue_ptr 0
		.amdhsa_user_sgpr_kernarg_segment_ptr 1
		.amdhsa_user_sgpr_dispatch_id 0
		.amdhsa_user_sgpr_private_segment_size 0
		.amdhsa_wavefront_size32 1
		.amdhsa_uses_dynamic_stack 0
		.amdhsa_enable_private_segment 0
		.amdhsa_system_sgpr_workgroup_id_x 1
		.amdhsa_system_sgpr_workgroup_id_y 0
		.amdhsa_system_sgpr_workgroup_id_z 0
		.amdhsa_system_sgpr_workgroup_info 0
		.amdhsa_system_vgpr_workitem_id 0
		.amdhsa_next_free_vgpr 91
		.amdhsa_next_free_sgpr 20
		.amdhsa_reserve_vcc 1
		.amdhsa_float_round_mode_32 0
		.amdhsa_float_round_mode_16_64 0
		.amdhsa_float_denorm_mode_32 3
		.amdhsa_float_denorm_mode_16_64 3
		.amdhsa_fp16_overflow 0
		.amdhsa_workgroup_processor_mode 1
		.amdhsa_memory_ordered 1
		.amdhsa_forward_progress 1
		.amdhsa_inst_pref_size 71
		.amdhsa_round_robin_scheduling 0
		.amdhsa_exception_fp_ieee_invalid_op 0
		.amdhsa_exception_fp_denorm_src 0
		.amdhsa_exception_fp_ieee_div_zero 0
		.amdhsa_exception_fp_ieee_overflow 0
		.amdhsa_exception_fp_ieee_underflow 0
		.amdhsa_exception_fp_ieee_inexact 0
		.amdhsa_exception_int_div_zero 0
	.end_amdhsa_kernel
	.section	.text._Z16sort_keys_kernelIxLj512ELj4EN10test_utils4lessELj10EEvPKT_PS2_T2_,"axG",@progbits,_Z16sort_keys_kernelIxLj512ELj4EN10test_utils4lessELj10EEvPKT_PS2_T2_,comdat
.Lfunc_end156:
	.size	_Z16sort_keys_kernelIxLj512ELj4EN10test_utils4lessELj10EEvPKT_PS2_T2_, .Lfunc_end156-_Z16sort_keys_kernelIxLj512ELj4EN10test_utils4lessELj10EEvPKT_PS2_T2_
                                        ; -- End function
	.set _Z16sort_keys_kernelIxLj512ELj4EN10test_utils4lessELj10EEvPKT_PS2_T2_.num_vgpr, 91
	.set _Z16sort_keys_kernelIxLj512ELj4EN10test_utils4lessELj10EEvPKT_PS2_T2_.num_agpr, 0
	.set _Z16sort_keys_kernelIxLj512ELj4EN10test_utils4lessELj10EEvPKT_PS2_T2_.numbered_sgpr, 20
	.set _Z16sort_keys_kernelIxLj512ELj4EN10test_utils4lessELj10EEvPKT_PS2_T2_.num_named_barrier, 0
	.set _Z16sort_keys_kernelIxLj512ELj4EN10test_utils4lessELj10EEvPKT_PS2_T2_.private_seg_size, 0
	.set _Z16sort_keys_kernelIxLj512ELj4EN10test_utils4lessELj10EEvPKT_PS2_T2_.uses_vcc, 1
	.set _Z16sort_keys_kernelIxLj512ELj4EN10test_utils4lessELj10EEvPKT_PS2_T2_.uses_flat_scratch, 0
	.set _Z16sort_keys_kernelIxLj512ELj4EN10test_utils4lessELj10EEvPKT_PS2_T2_.has_dyn_sized_stack, 0
	.set _Z16sort_keys_kernelIxLj512ELj4EN10test_utils4lessELj10EEvPKT_PS2_T2_.has_recursion, 0
	.set _Z16sort_keys_kernelIxLj512ELj4EN10test_utils4lessELj10EEvPKT_PS2_T2_.has_indirect_call, 0
	.section	.AMDGPU.csdata,"",@progbits
; Kernel info:
; codeLenInByte = 9004
; TotalNumSgprs: 22
; NumVgprs: 91
; ScratchSize: 0
; MemoryBound: 0
; FloatMode: 240
; IeeeMode: 1
; LDSByteSize: 16392 bytes/workgroup (compile time only)
; SGPRBlocks: 0
; VGPRBlocks: 11
; NumSGPRsForWavesPerEU: 22
; NumVGPRsForWavesPerEU: 91
; Occupancy: 16
; WaveLimiterHint : 1
; COMPUTE_PGM_RSRC2:SCRATCH_EN: 0
; COMPUTE_PGM_RSRC2:USER_SGPR: 2
; COMPUTE_PGM_RSRC2:TRAP_HANDLER: 0
; COMPUTE_PGM_RSRC2:TGID_X_EN: 1
; COMPUTE_PGM_RSRC2:TGID_Y_EN: 0
; COMPUTE_PGM_RSRC2:TGID_Z_EN: 0
; COMPUTE_PGM_RSRC2:TIDIG_COMP_CNT: 0
	.section	.text._Z17sort_pairs_kernelIxLj512ELj4EN10test_utils4lessELj10EEvPKT_PS2_T2_,"axG",@progbits,_Z17sort_pairs_kernelIxLj512ELj4EN10test_utils4lessELj10EEvPKT_PS2_T2_,comdat
	.protected	_Z17sort_pairs_kernelIxLj512ELj4EN10test_utils4lessELj10EEvPKT_PS2_T2_ ; -- Begin function _Z17sort_pairs_kernelIxLj512ELj4EN10test_utils4lessELj10EEvPKT_PS2_T2_
	.globl	_Z17sort_pairs_kernelIxLj512ELj4EN10test_utils4lessELj10EEvPKT_PS2_T2_
	.p2align	8
	.type	_Z17sort_pairs_kernelIxLj512ELj4EN10test_utils4lessELj10EEvPKT_PS2_T2_,@function
_Z17sort_pairs_kernelIxLj512ELj4EN10test_utils4lessELj10EEvPKT_PS2_T2_: ; @_Z17sort_pairs_kernelIxLj512ELj4EN10test_utils4lessELj10EEvPKT_PS2_T2_
; %bb.0:
	s_load_b128 s[20:23], s[0:1], 0x0
	s_lshl_b32 s18, ttmp9, 11
	s_mov_b32 s19, 0
	v_lshlrev_b32_e32 v1, 3, v0
	s_lshl_b64 s[24:25], s[18:19], 3
	v_lshlrev_b32_e32 v27, 5, v0
	s_delay_alu instid0(VALU_DEP_1)
	v_add_nc_u32_e32 v95, 0x2000, v27
	s_wait_kmcnt 0x0
	s_add_nc_u64 s[0:1], s[20:21], s[24:25]
	s_clause 0x3
	global_load_b64 v[15:16], v1, s[0:1]
	global_load_b64 v[13:14], v1, s[0:1] offset:4096
	global_load_b64 v[11:12], v1, s[0:1] offset:8192
	;; [unrolled: 1-line block ×3, first 2 shown]
	v_lshlrev_b32_e32 v1, 2, v0
	s_delay_alu instid0(VALU_DEP_1)
	v_and_b32_e32 v28, 0x7f8, v1
	v_and_b32_e32 v2, 4, v1
	v_and_b32_e32 v29, 0x7f0, v1
	v_and_b32_e32 v5, 12, v1
	v_and_b32_e32 v30, 0x7e0, v1
	v_or_b32_e32 v39, 4, v28
	v_add_nc_u32_e32 v40, 8, v28
	v_and_b32_e32 v6, 28, v1
	v_and_b32_e32 v31, 0x7c0, v1
	;; [unrolled: 1-line block ×11, first 2 shown]
	v_subrev_nc_u32_e64 v36, 0x400, v1 clamp
	v_min_i32_e32 v37, 0x400, v1
	v_add_nc_u32_e32 v38, 0x400, v1
	v_or_b32_e32 v42, 8, v29
	v_add_nc_u32_e32 v43, 16, v29
	v_lshlrev_b32_e32 v1, 3, v2
	v_sub_nc_u32_e32 v26, v40, v39
	v_or_b32_e32 v45, 16, v30
	v_add_nc_u32_e32 v46, 32, v30
	v_lshlrev_b32_e32 v18, 3, v5
	v_sub_nc_u32_e32 v88, v43, v42
	v_lshl_add_u32 v71, v39, 3, v1
	v_sub_nc_u32_e32 v1, v2, v26
	v_cmp_ge_i32_e64 s0, v2, v26
	v_or_b32_e32 v48, 32, v31
	v_add_nc_u32_e32 v49, 64, v31
	v_lshlrev_b32_e32 v19, 3, v6
	v_sub_nc_u32_e32 v89, v46, v45
	v_lshl_add_u32 v72, v42, 3, v18
	v_sub_nc_u32_e32 v18, v5, v88
	v_cndmask_b32_e64 v87, 0, v1, s0
	v_cmp_ge_i32_e64 s0, v5, v88
	v_or_b32_e32 v51, 64, v32
	v_add_nc_u32_e32 v52, 0x80, v32
	v_lshlrev_b32_e32 v20, 3, v7
	v_sub_nc_u32_e32 v90, v49, v48
	v_lshl_add_u32 v73, v45, 3, v19
	v_sub_nc_u32_e32 v19, v6, v89
	s_wait_alu 0xf1ff
	v_cndmask_b32_e64 v88, 0, v18, s0
	v_cmp_ge_i32_e64 s0, v6, v89
	v_or_b32_e32 v54, 0x80, v33
	v_add_nc_u32_e32 v55, 0x100, v33
	v_lshlrev_b32_e32 v21, 3, v8
	v_sub_nc_u32_e32 v91, v52, v51
	v_lshl_add_u32 v74, v48, 3, v20
	v_sub_nc_u32_e32 v20, v7, v90
	s_wait_alu 0xf1ff
	;; [unrolled: 9-line block ×4, first 2 shown]
	v_cndmask_b32_e64 v91, 0, v21, s0
	v_cmp_ge_i32_e64 s0, v9, v92
	v_lshlrev_b32_e32 v24, 3, v17
	v_sub_nc_u32_e32 v94, v61, v60
	v_lshl_add_u32 v77, v57, 3, v23
	v_sub_nc_u32_e32 v23, v10, v93
	s_wait_alu 0xf1ff
	v_cndmask_b32_e64 v92, 0, v22, s0
	v_cmp_ge_i32_e64 s0, v10, v93
	v_sub_nc_u32_e32 v84, v54, v33
	v_sub_nc_u32_e32 v82, v48, v31
	;; [unrolled: 1-line block ×8, first 2 shown]
	v_lshl_add_u32 v78, v60, 3, v24
	v_sub_nc_u32_e32 v24, v17, v94
	s_wait_alu 0xf1ff
	v_cndmask_b32_e64 v93, 0, v23, s0
	v_cmp_ge_i32_e64 s0, v17, v94
	v_add_nc_u32_e32 v68, v54, v9
	v_min_i32_e32 v84, v9, v84
	v_add_nc_u32_e32 v66, v48, v7
	v_add_nc_u32_e32 v69, v57, v10
	v_min_i32_e32 v82, v7, v82
	v_min_i32_e32 v85, v10, v85
	v_min_i32_e32 v79, v2, v25
	v_min_i32_e32 v80, v5, v80
	v_min_i32_e32 v81, v6, v81
	v_min_i32_e32 v83, v8, v83
	v_min_i32_e32 v86, v17, v86
	s_wait_alu 0xf1ff
	v_cndmask_b32_e64 v94, 0, v24, s0
	v_add_nc_u32_e32 v64, v42, v5
	v_add_nc_u32_e32 v67, v51, v8
	;; [unrolled: 1-line block ×3, first 2 shown]
	v_lshlrev_b32_e32 v41, 3, v28
	v_lshlrev_b32_e32 v44, 3, v29
	;; [unrolled: 1-line block ×8, first 2 shown]
	v_add_nc_u32_e32 v63, v39, v2
	v_add_nc_u32_e32 v70, v60, v17
	v_cmp_lt_i32_e64 s0, v87, v79
	v_cmp_lt_i32_e64 s1, v88, v80
	;; [unrolled: 1-line block ×8, first 2 shown]
	v_cmp_lt_i32_e32 vcc_lo, v36, v37
	s_wait_loadcnt 0x3
	v_add_co_u32 v9, s8, v15, 1
	s_delay_alu instid0(VALU_DEP_1)
	v_add_co_ci_u32_e64 v10, null, 0, v16, s8
	s_wait_loadcnt 0x2
	v_add_co_u32 v7, s8, v13, 1
	s_wait_alu 0xf1ff
	v_add_co_ci_u32_e64 v8, null, 0, v14, s8
	s_wait_loadcnt 0x1
	v_add_co_u32 v5, s8, v11, 1
	s_wait_alu 0xf1ff
	;; [unrolled: 4-line block ×3, first 2 shown]
	v_add_co_ci_u32_e64 v2, null, 0, v4, s8
	s_branch .LBB157_2
.LBB157_1:                              ;   in Loop: Header=BB157_2 Depth=1
	s_or_b32 exec_lo, exec_lo, s11
	s_wait_dscnt 0x0
	s_delay_alu instid0(VALU_DEP_1)
	v_cmp_lt_i64_e64 s11, v[25:26], v[3:4]
	v_cmp_le_i32_e64 s12, 0x400, v100
	v_cmp_gt_i32_e64 s13, 0x800, v98
	v_cndmask_b32_e64 v15, v15, v16, s8
	v_cndmask_b32_e64 v96, v96, v97, s9
	s_wait_loadcnt 0x0
	s_or_b32 s11, s12, s11
	s_barrier_signal -1
	s_wait_alu 0xfffe
	s_and_b32 s11, s13, s11
	s_barrier_wait -1
	s_wait_alu 0xfffe
	v_cndmask_b32_e64 v16, v100, v98, s11
	global_inv scope:SCOPE_SE
	ds_store_2addr_b64 v27, v[7:8], v[9:10] offset1:1
	ds_store_2addr_b64 v27, v[1:2], v[5:6] offset0:2 offset1:3
	v_lshlrev_b32_e32 v1, 3, v15
	v_lshlrev_b32_e32 v2, 3, v96
	;; [unrolled: 1-line block ×4, first 2 shown]
	s_wait_loadcnt_dscnt 0x0
	s_barrier_signal -1
	s_barrier_wait -1
	global_inv scope:SCOPE_SE
	ds_load_b64 v[9:10], v1
	ds_load_b64 v[7:8], v2
	;; [unrolled: 1-line block ×4, first 2 shown]
	v_cndmask_b32_e64 v4, v4, v26, s11
	v_cndmask_b32_e64 v16, v12, v14, s8
	;; [unrolled: 1-line block ×8, first 2 shown]
	s_add_co_i32 s19, s19, 1
	s_delay_alu instid0(SALU_CYCLE_1)
	s_cmp_eq_u32 s19, 10
	s_cbranch_scc1 .LBB157_146
.LBB157_2:                              ; =>This Loop Header: Depth=1
                                        ;     Child Loop BB157_4 Depth 2
                                        ;     Child Loop BB157_20 Depth 2
	;; [unrolled: 1-line block ×9, first 2 shown]
	v_cmp_lt_i64_e64 s8, v[13:14], v[15:16]
	v_cmp_lt_i64_e64 s9, v[3:4], v[11:12]
	s_barrier_signal -1
	s_barrier_wait -1
	global_inv scope:SCOPE_SE
	s_wait_alu 0xf1ff
	v_cndmask_b32_e64 v21, v14, v16, s8
	v_cndmask_b32_e64 v20, v13, v15, s8
	;; [unrolled: 1-line block ×8, first 2 shown]
	v_cmp_lt_i64_e64 s10, v[22:23], v[20:21]
	s_wait_alu 0xf1ff
	s_delay_alu instid0(VALU_DEP_1) | instskip(SKIP_3) | instid1(VALU_DEP_2)
	v_cndmask_b32_e64 v4, v23, v21, s10
	v_cndmask_b32_e64 v12, v21, v23, s10
	;; [unrolled: 1-line block ×4, first 2 shown]
	v_cmp_lt_i64_e64 s11, v[11:12], v[16:17]
	s_delay_alu instid0(VALU_DEP_2) | instskip(SKIP_1) | instid1(VALU_DEP_2)
	v_cmp_lt_i64_e64 s12, v[18:19], v[3:4]
	s_wait_alu 0xf1ff
	v_cndmask_b32_e64 v14, v12, v17, s11
	v_cndmask_b32_e64 v13, v11, v16, s11
	s_delay_alu instid0(VALU_DEP_3)
	v_cndmask_b32_e64 v22, v4, v19, s12
	v_cndmask_b32_e64 v21, v3, v18, s12
	;; [unrolled: 1-line block ×5, first 2 shown]
	v_mov_b32_e32 v4, v87
	v_cmp_lt_i64_e64 s13, v[21:22], v[13:14]
	v_cndmask_b32_e64 v19, v18, v3, s12
	s_wait_alu 0xf1ff
	s_delay_alu instid0(VALU_DEP_2)
	v_cndmask_b32_e64 v17, v14, v22, s13
	v_cndmask_b32_e64 v16, v13, v21, s13
	;; [unrolled: 1-line block ×4, first 2 shown]
	ds_store_2addr_b64 v27, v[11:12], v[16:17] offset1:1
	ds_store_2addr_b64 v27, v[14:15], v[19:20] offset0:2 offset1:3
	s_wait_loadcnt_dscnt 0x0
	s_barrier_signal -1
	s_barrier_wait -1
	global_inv scope:SCOPE_SE
	s_and_saveexec_b32 s15, s0
	s_cbranch_execz .LBB157_6
; %bb.3:                                ;   in Loop: Header=BB157_2 Depth=1
	v_dual_mov_b32 v4, v87 :: v_dual_mov_b32 v3, v79
	s_mov_b32 s16, 0
.LBB157_4:                              ;   Parent Loop BB157_2 Depth=1
                                        ; =>  This Inner Loop Header: Depth=2
	s_delay_alu instid0(VALU_DEP_1) | instskip(NEXT) | instid1(VALU_DEP_1)
	v_sub_nc_u32_e32 v11, v3, v4
	v_lshrrev_b32_e32 v11, 1, v11
	s_delay_alu instid0(VALU_DEP_1) | instskip(NEXT) | instid1(VALU_DEP_1)
	v_add_nc_u32_e32 v15, v11, v4
	v_not_b32_e32 v11, v15
	v_lshl_add_u32 v12, v15, 3, v41
	s_delay_alu instid0(VALU_DEP_2)
	v_lshl_add_u32 v13, v11, 3, v71
	ds_load_b64 v[11:12], v12
	ds_load_b64 v[13:14], v13
	s_wait_dscnt 0x0
	v_cmp_lt_i64_e64 s14, v[13:14], v[11:12]
	v_add_nc_u32_e32 v11, 1, v15
	s_wait_alu 0xf1ff
	s_delay_alu instid0(VALU_DEP_2) | instskip(NEXT) | instid1(VALU_DEP_2)
	v_cndmask_b32_e64 v3, v3, v15, s14
	v_cndmask_b32_e64 v4, v11, v4, s14
	s_delay_alu instid0(VALU_DEP_1)
	v_cmp_ge_i32_e64 s14, v4, v3
	s_wait_alu 0xfffe
	s_or_b32 s16, s14, s16
	s_wait_alu 0xfffe
	s_and_not1_b32 exec_lo, exec_lo, s16
	s_cbranch_execnz .LBB157_4
; %bb.5:                                ;   in Loop: Header=BB157_2 Depth=1
	s_or_b32 exec_lo, exec_lo, s16
.LBB157_6:                              ;   in Loop: Header=BB157_2 Depth=1
	s_wait_alu 0xfffe
	s_or_b32 exec_lo, exec_lo, s15
	v_sub_nc_u32_e32 v3, v63, v4
	v_lshl_add_u32 v17, v4, 3, v41
	v_add_nc_u32_e32 v4, v4, v28
                                        ; implicit-def: $vgpr15_vgpr16
	s_delay_alu instid0(VALU_DEP_3) | instskip(SKIP_1) | instid1(VALU_DEP_3)
	v_lshlrev_b32_e32 v19, 3, v3
	v_cmp_gt_i32_e64 s16, v40, v3
	v_cmp_le_i32_e64 s15, v39, v4
	ds_load_b64 v[11:12], v17
	ds_load_b64 v[13:14], v19
	s_wait_dscnt 0x0
	v_cmp_lt_i64_e64 s14, v[13:14], v[11:12]
	s_or_b32 s14, s15, s14
	s_wait_alu 0xfffe
	s_and_b32 s14, s16, s14
	s_wait_alu 0xfffe
	s_xor_b32 s15, s14, -1
	s_wait_alu 0xfffe
	s_and_saveexec_b32 s16, s15
	s_wait_alu 0xfffe
	s_xor_b32 s15, exec_lo, s16
; %bb.7:                                ;   in Loop: Header=BB157_2 Depth=1
	ds_load_b64 v[15:16], v17 offset:8
                                        ; implicit-def: $vgpr19
; %bb.8:                                ;   in Loop: Header=BB157_2 Depth=1
	s_wait_alu 0xfffe
	s_or_saveexec_b32 s15, s15
	v_dual_mov_b32 v18, v14 :: v_dual_mov_b32 v17, v13
	s_wait_alu 0xfffe
	s_xor_b32 exec_lo, exec_lo, s15
	s_cbranch_execz .LBB157_10
; %bb.9:                                ;   in Loop: Header=BB157_2 Depth=1
	ds_load_b64 v[17:18], v19 offset:8
	s_wait_dscnt 0x1
	v_dual_mov_b32 v16, v12 :: v_dual_mov_b32 v15, v11
.LBB157_10:                             ;   in Loop: Header=BB157_2 Depth=1
	s_or_b32 exec_lo, exec_lo, s15
	v_add_nc_u32_e32 v19, 1, v4
	v_add_nc_u32_e32 v20, 1, v3
	s_wait_dscnt 0x0
	v_cmp_lt_i64_e64 s15, v[17:18], v[15:16]
	s_delay_alu instid0(VALU_DEP_3) | instskip(NEXT) | instid1(VALU_DEP_3)
	v_cndmask_b32_e64 v96, v19, v4, s14
	v_cndmask_b32_e64 v97, v3, v20, s14
                                        ; implicit-def: $vgpr19_vgpr20
	s_delay_alu instid0(VALU_DEP_2) | instskip(NEXT) | instid1(VALU_DEP_2)
	v_cmp_ge_i32_e64 s16, v96, v39
	v_cmp_lt_i32_e64 s17, v97, v40
	s_or_b32 s15, s16, s15
	s_wait_alu 0xfffe
	s_and_b32 s15, s17, s15
	s_wait_alu 0xfffe
	s_xor_b32 s16, s15, -1
	s_wait_alu 0xfffe
	s_and_saveexec_b32 s17, s16
	s_wait_alu 0xfffe
	s_xor_b32 s16, exec_lo, s17
; %bb.11:                               ;   in Loop: Header=BB157_2 Depth=1
	v_lshlrev_b32_e32 v19, 3, v96
	ds_load_b64 v[19:20], v19 offset:8
; %bb.12:                               ;   in Loop: Header=BB157_2 Depth=1
	s_wait_alu 0xfffe
	s_or_saveexec_b32 s16, s16
	v_dual_mov_b32 v22, v18 :: v_dual_mov_b32 v21, v17
	s_wait_alu 0xfffe
	s_xor_b32 exec_lo, exec_lo, s16
	s_cbranch_execz .LBB157_14
; %bb.13:                               ;   in Loop: Header=BB157_2 Depth=1
	s_wait_dscnt 0x0
	v_lshlrev_b32_e32 v19, 3, v97
	ds_load_b64 v[21:22], v19 offset:8
	v_dual_mov_b32 v20, v16 :: v_dual_mov_b32 v19, v15
.LBB157_14:                             ;   in Loop: Header=BB157_2 Depth=1
	s_or_b32 exec_lo, exec_lo, s16
	v_add_nc_u32_e32 v23, 1, v96
	v_add_nc_u32_e32 v24, 1, v97
	s_wait_dscnt 0x0
	v_cmp_lt_i64_e64 s16, v[21:22], v[19:20]
	s_delay_alu instid0(VALU_DEP_3) | instskip(NEXT) | instid1(VALU_DEP_3)
	v_cndmask_b32_e64 v98, v23, v96, s15
	v_cndmask_b32_e64 v99, v97, v24, s15
                                        ; implicit-def: $vgpr23_vgpr24
	s_delay_alu instid0(VALU_DEP_2) | instskip(NEXT) | instid1(VALU_DEP_2)
	v_cmp_ge_i32_e64 s17, v98, v39
	v_cmp_lt_i32_e64 s18, v99, v40
	s_or_b32 s16, s17, s16
	s_wait_alu 0xfffe
	s_and_b32 s16, s18, s16
	s_wait_alu 0xfffe
	s_xor_b32 s17, s16, -1
	s_wait_alu 0xfffe
	s_and_saveexec_b32 s18, s17
	s_delay_alu instid0(SALU_CYCLE_1)
	s_xor_b32 s17, exec_lo, s18
; %bb.15:                               ;   in Loop: Header=BB157_2 Depth=1
	v_lshlrev_b32_e32 v23, 3, v98
	ds_load_b64 v[23:24], v23 offset:8
; %bb.16:                               ;   in Loop: Header=BB157_2 Depth=1
	s_wait_alu 0xfffe
	s_or_saveexec_b32 s17, s17
	v_dual_mov_b32 v26, v22 :: v_dual_mov_b32 v25, v21
	s_wait_alu 0xfffe
	s_xor_b32 exec_lo, exec_lo, s17
	s_cbranch_execz .LBB157_18
; %bb.17:                               ;   in Loop: Header=BB157_2 Depth=1
	s_wait_dscnt 0x0
	v_lshlrev_b32_e32 v23, 3, v99
	ds_load_b64 v[25:26], v23 offset:8
	v_dual_mov_b32 v24, v20 :: v_dual_mov_b32 v23, v19
.LBB157_18:                             ;   in Loop: Header=BB157_2 Depth=1
	s_or_b32 exec_lo, exec_lo, s17
	v_add_nc_u32_e32 v100, 1, v99
	v_add_nc_u32_e32 v101, 1, v98
	v_cndmask_b32_e64 v102, v98, v99, s16
	v_cndmask_b32_e64 v96, v96, v97, s15
	;; [unrolled: 1-line block ×3, first 2 shown]
	v_mov_b32_e32 v13, v88
	v_cndmask_b32_e64 v97, v99, v100, s16
	v_cndmask_b32_e64 v98, v101, v98, s16
	;; [unrolled: 1-line block ×15, first 2 shown]
	s_wait_dscnt 0x0
	v_cmp_lt_i64_e64 s8, v[25:26], v[23:24]
	v_cmp_ge_i32_e64 s9, v98, v39
	v_cndmask_b32_e64 v2, v8, v9, s11
	v_cndmask_b32_e64 v1, v7, v10, s11
	;; [unrolled: 1-line block ×6, first 2 shown]
	v_cmp_lt_i32_e64 s10, v97, v40
	s_or_b32 s8, s9, s8
	v_cndmask_b32_e64 v4, v6, v3, s12
	v_cndmask_b32_e64 v3, v5, v101, s12
	;; [unrolled: 1-line block ×6, first 2 shown]
	s_wait_alu 0xfffe
	s_and_b32 s8, s10, s8
	s_wait_loadcnt 0x0
	s_wait_alu 0xfffe
	v_cndmask_b32_e64 v9, v98, v97, s8
	s_barrier_signal -1
	s_barrier_wait -1
	global_inv scope:SCOPE_SE
	ds_store_2addr_b64 v27, v[1:2], v[7:8] offset1:1
	ds_store_2addr_b64 v27, v[5:6], v[3:4] offset0:2 offset1:3
	v_lshlrev_b32_e32 v1, 3, v99
	v_lshlrev_b32_e32 v2, 3, v96
	;; [unrolled: 1-line block ×4, first 2 shown]
	s_wait_loadcnt_dscnt 0x0
	s_barrier_signal -1
	s_barrier_wait -1
	global_inv scope:SCOPE_SE
	ds_load_b64 v[5:6], v1
	ds_load_b64 v[7:8], v2
	;; [unrolled: 1-line block ×4, first 2 shown]
	v_cndmask_b32_e64 v16, v16, v18, s15
	v_cndmask_b32_e64 v15, v15, v17, s15
	v_cndmask_b32_e64 v12, v12, v14, s14
	v_cndmask_b32_e64 v10, v24, v26, s8
	v_cndmask_b32_e64 v20, v20, v22, s16
	v_cndmask_b32_e64 v19, v19, v21, s16
	v_cndmask_b32_e64 v9, v23, v25, s8
	s_wait_loadcnt_dscnt 0x0
	s_barrier_signal -1
	s_barrier_wait -1
	global_inv scope:SCOPE_SE
	ds_store_2addr_b64 v27, v[11:12], v[15:16] offset1:1
	ds_store_2addr_b64 v27, v[19:20], v[9:10] offset0:2 offset1:3
	s_wait_loadcnt_dscnt 0x0
	s_barrier_signal -1
	s_barrier_wait -1
	global_inv scope:SCOPE_SE
	s_and_saveexec_b32 s9, s1
	s_cbranch_execz .LBB157_22
; %bb.19:                               ;   in Loop: Header=BB157_2 Depth=1
	v_mov_b32_e32 v13, v88
	v_mov_b32_e32 v9, v80
	s_mov_b32 s10, 0
.LBB157_20:                             ;   Parent Loop BB157_2 Depth=1
                                        ; =>  This Inner Loop Header: Depth=2
	s_delay_alu instid0(VALU_DEP_1) | instskip(NEXT) | instid1(VALU_DEP_1)
	v_sub_nc_u32_e32 v10, v9, v13
	v_lshrrev_b32_e32 v10, 1, v10
	s_delay_alu instid0(VALU_DEP_1) | instskip(NEXT) | instid1(VALU_DEP_1)
	v_add_nc_u32_e32 v12, v10, v13
	v_not_b32_e32 v10, v12
	v_lshl_add_u32 v11, v12, 3, v44
	s_delay_alu instid0(VALU_DEP_2)
	v_lshl_add_u32 v14, v10, 3, v72
	ds_load_b64 v[10:11], v11
	ds_load_b64 v[14:15], v14
	s_wait_dscnt 0x0
	v_cmp_lt_i64_e64 s8, v[14:15], v[10:11]
	v_add_nc_u32_e32 v10, 1, v12
	s_wait_alu 0xf1ff
	s_delay_alu instid0(VALU_DEP_2) | instskip(NEXT) | instid1(VALU_DEP_2)
	v_cndmask_b32_e64 v9, v9, v12, s8
	v_cndmask_b32_e64 v13, v10, v13, s8
	s_delay_alu instid0(VALU_DEP_1)
	v_cmp_ge_i32_e64 s8, v13, v9
	s_wait_alu 0xfffe
	s_or_b32 s10, s8, s10
	s_wait_alu 0xfffe
	s_and_not1_b32 exec_lo, exec_lo, s10
	s_cbranch_execnz .LBB157_20
; %bb.21:                               ;   in Loop: Header=BB157_2 Depth=1
	s_or_b32 exec_lo, exec_lo, s10
.LBB157_22:                             ;   in Loop: Header=BB157_2 Depth=1
	s_wait_alu 0xfffe
	s_or_b32 exec_lo, exec_lo, s9
	v_sub_nc_u32_e32 v25, v64, v13
	v_lshl_add_u32 v15, v13, 3, v44
	v_add_nc_u32_e32 v26, v13, v29
                                        ; implicit-def: $vgpr13_vgpr14
	s_delay_alu instid0(VALU_DEP_3) | instskip(SKIP_1) | instid1(VALU_DEP_3)
	v_lshlrev_b32_e32 v17, 3, v25
	v_cmp_gt_i32_e64 s10, v43, v25
	v_cmp_le_i32_e64 s9, v42, v26
	ds_load_b64 v[9:10], v15
	ds_load_b64 v[11:12], v17
	s_wait_dscnt 0x0
	v_cmp_lt_i64_e64 s8, v[11:12], v[9:10]
	s_or_b32 s8, s9, s8
	s_wait_alu 0xfffe
	s_and_b32 s8, s10, s8
	s_wait_alu 0xfffe
	s_xor_b32 s9, s8, -1
	s_wait_alu 0xfffe
	s_and_saveexec_b32 s10, s9
	s_wait_alu 0xfffe
	s_xor_b32 s9, exec_lo, s10
; %bb.23:                               ;   in Loop: Header=BB157_2 Depth=1
	ds_load_b64 v[13:14], v15 offset:8
                                        ; implicit-def: $vgpr17
; %bb.24:                               ;   in Loop: Header=BB157_2 Depth=1
	s_wait_alu 0xfffe
	s_or_saveexec_b32 s9, s9
	v_dual_mov_b32 v16, v12 :: v_dual_mov_b32 v15, v11
	s_wait_alu 0xfffe
	s_xor_b32 exec_lo, exec_lo, s9
	s_cbranch_execz .LBB157_26
; %bb.25:                               ;   in Loop: Header=BB157_2 Depth=1
	ds_load_b64 v[15:16], v17 offset:8
	s_wait_dscnt 0x1
	v_dual_mov_b32 v14, v10 :: v_dual_mov_b32 v13, v9
.LBB157_26:                             ;   in Loop: Header=BB157_2 Depth=1
	s_or_b32 exec_lo, exec_lo, s9
	v_add_nc_u32_e32 v17, 1, v26
	v_add_nc_u32_e32 v18, 1, v25
	s_wait_dscnt 0x0
	v_cmp_lt_i64_e64 s9, v[15:16], v[13:14]
	s_delay_alu instid0(VALU_DEP_3) | instskip(NEXT) | instid1(VALU_DEP_3)
	v_cndmask_b32_e64 v96, v17, v26, s8
	v_cndmask_b32_e64 v97, v25, v18, s8
                                        ; implicit-def: $vgpr17_vgpr18
	s_delay_alu instid0(VALU_DEP_2) | instskip(NEXT) | instid1(VALU_DEP_2)
	v_cmp_ge_i32_e64 s10, v96, v42
	v_cmp_lt_i32_e64 s11, v97, v43
	s_or_b32 s9, s10, s9
	s_wait_alu 0xfffe
	s_and_b32 s9, s11, s9
	s_wait_alu 0xfffe
	s_xor_b32 s10, s9, -1
	s_wait_alu 0xfffe
	s_and_saveexec_b32 s11, s10
	s_wait_alu 0xfffe
	s_xor_b32 s10, exec_lo, s11
; %bb.27:                               ;   in Loop: Header=BB157_2 Depth=1
	v_lshlrev_b32_e32 v17, 3, v96
	ds_load_b64 v[17:18], v17 offset:8
; %bb.28:                               ;   in Loop: Header=BB157_2 Depth=1
	s_wait_alu 0xfffe
	s_or_saveexec_b32 s10, s10
	v_dual_mov_b32 v20, v16 :: v_dual_mov_b32 v19, v15
	s_wait_alu 0xfffe
	s_xor_b32 exec_lo, exec_lo, s10
	s_cbranch_execz .LBB157_30
; %bb.29:                               ;   in Loop: Header=BB157_2 Depth=1
	s_wait_dscnt 0x0
	v_lshlrev_b32_e32 v17, 3, v97
	ds_load_b64 v[19:20], v17 offset:8
	v_dual_mov_b32 v18, v14 :: v_dual_mov_b32 v17, v13
.LBB157_30:                             ;   in Loop: Header=BB157_2 Depth=1
	s_or_b32 exec_lo, exec_lo, s10
	v_add_nc_u32_e32 v21, 1, v96
	v_add_nc_u32_e32 v22, 1, v97
	s_wait_dscnt 0x0
	v_cmp_lt_i64_e64 s10, v[19:20], v[17:18]
	s_delay_alu instid0(VALU_DEP_3) | instskip(NEXT) | instid1(VALU_DEP_3)
	v_cndmask_b32_e64 v99, v21, v96, s9
	v_cndmask_b32_e64 v98, v97, v22, s9
                                        ; implicit-def: $vgpr21_vgpr22
	s_delay_alu instid0(VALU_DEP_2) | instskip(NEXT) | instid1(VALU_DEP_2)
	v_cmp_ge_i32_e64 s11, v99, v42
	v_cmp_lt_i32_e64 s12, v98, v43
	s_or_b32 s10, s11, s10
	s_wait_alu 0xfffe
	s_and_b32 s10, s12, s10
	s_wait_alu 0xfffe
	s_xor_b32 s11, s10, -1
	s_wait_alu 0xfffe
	s_and_saveexec_b32 s12, s11
	s_wait_alu 0xfffe
	s_xor_b32 s11, exec_lo, s12
; %bb.31:                               ;   in Loop: Header=BB157_2 Depth=1
	v_lshlrev_b32_e32 v21, 3, v99
	ds_load_b64 v[21:22], v21 offset:8
; %bb.32:                               ;   in Loop: Header=BB157_2 Depth=1
	s_wait_alu 0xfffe
	s_or_saveexec_b32 s11, s11
	v_dual_mov_b32 v24, v20 :: v_dual_mov_b32 v23, v19
	s_wait_alu 0xfffe
	s_xor_b32 exec_lo, exec_lo, s11
	s_cbranch_execz .LBB157_34
; %bb.33:                               ;   in Loop: Header=BB157_2 Depth=1
	s_wait_dscnt 0x0
	v_lshlrev_b32_e32 v21, 3, v98
	ds_load_b64 v[23:24], v21 offset:8
	v_dual_mov_b32 v22, v18 :: v_dual_mov_b32 v21, v17
.LBB157_34:                             ;   in Loop: Header=BB157_2 Depth=1
	s_or_b32 exec_lo, exec_lo, s11
	v_add_nc_u32_e32 v100, 1, v99
	v_add_nc_u32_e32 v101, 1, v98
	v_cndmask_b32_e64 v96, v96, v97, s9
	v_cndmask_b32_e64 v25, v26, v25, s8
	s_wait_dscnt 0x0
	v_cmp_lt_i64_e64 s11, v[23:24], v[21:22]
	v_cndmask_b32_e64 v97, v100, v99, s10
	v_cndmask_b32_e64 v26, v98, v101, s10
	;; [unrolled: 1-line block ×3, first 2 shown]
	s_wait_loadcnt 0x0
	s_barrier_signal -1
	v_cmp_ge_i32_e64 s12, v97, v42
	v_cmp_lt_i32_e64 s13, v26, v43
	s_barrier_wait -1
	global_inv scope:SCOPE_SE
	ds_store_2addr_b64 v27, v[5:6], v[7:8] offset1:1
	ds_store_2addr_b64 v27, v[1:2], v[3:4] offset0:2 offset1:3
	s_or_b32 s11, s12, s11
	v_lshlrev_b32_e32 v2, 3, v25
	s_wait_alu 0xfffe
	s_and_b32 s11, s13, s11
	v_lshlrev_b32_e32 v3, 3, v96
	s_wait_alu 0xfffe
	v_cndmask_b32_e64 v1, v97, v26, s11
	v_lshlrev_b32_e32 v4, 3, v102
	v_cndmask_b32_e64 v22, v22, v24, s11
	s_wait_loadcnt_dscnt 0x0
	s_barrier_signal -1
	v_lshlrev_b32_e32 v24, 3, v1
	s_barrier_wait -1
	global_inv scope:SCOPE_SE
	ds_load_b64 v[5:6], v2
	ds_load_b64 v[7:8], v3
	;; [unrolled: 1-line block ×4, first 2 shown]
	v_cndmask_b32_e64 v14, v14, v16, s9
	v_cndmask_b32_e64 v13, v13, v15, s9
	;; [unrolled: 1-line block ×7, first 2 shown]
	s_wait_loadcnt_dscnt 0x0
	s_barrier_signal -1
	s_barrier_wait -1
	global_inv scope:SCOPE_SE
	ds_store_2addr_b64 v27, v[9:10], v[13:14] offset1:1
	ds_store_2addr_b64 v27, v[17:18], v[21:22] offset0:2 offset1:3
	v_mov_b32_e32 v13, v89
	s_wait_loadcnt_dscnt 0x0
	s_barrier_signal -1
	s_barrier_wait -1
	global_inv scope:SCOPE_SE
	s_and_saveexec_b32 s9, s2
	s_cbranch_execz .LBB157_38
; %bb.35:                               ;   in Loop: Header=BB157_2 Depth=1
	v_mov_b32_e32 v13, v89
	v_mov_b32_e32 v9, v81
	s_mov_b32 s10, 0
.LBB157_36:                             ;   Parent Loop BB157_2 Depth=1
                                        ; =>  This Inner Loop Header: Depth=2
	s_delay_alu instid0(VALU_DEP_1) | instskip(NEXT) | instid1(VALU_DEP_1)
	v_sub_nc_u32_e32 v10, v9, v13
	v_lshrrev_b32_e32 v10, 1, v10
	s_delay_alu instid0(VALU_DEP_1) | instskip(NEXT) | instid1(VALU_DEP_1)
	v_add_nc_u32_e32 v12, v10, v13
	v_not_b32_e32 v10, v12
	v_lshl_add_u32 v11, v12, 3, v47
	s_delay_alu instid0(VALU_DEP_2)
	v_lshl_add_u32 v14, v10, 3, v73
	ds_load_b64 v[10:11], v11
	ds_load_b64 v[14:15], v14
	s_wait_dscnt 0x0
	v_cmp_lt_i64_e64 s8, v[14:15], v[10:11]
	v_add_nc_u32_e32 v10, 1, v12
	s_wait_alu 0xf1ff
	s_delay_alu instid0(VALU_DEP_2) | instskip(NEXT) | instid1(VALU_DEP_2)
	v_cndmask_b32_e64 v9, v9, v12, s8
	v_cndmask_b32_e64 v13, v10, v13, s8
	s_delay_alu instid0(VALU_DEP_1)
	v_cmp_ge_i32_e64 s8, v13, v9
	s_wait_alu 0xfffe
	s_or_b32 s10, s8, s10
	s_wait_alu 0xfffe
	s_and_not1_b32 exec_lo, exec_lo, s10
	s_cbranch_execnz .LBB157_36
; %bb.37:                               ;   in Loop: Header=BB157_2 Depth=1
	s_or_b32 exec_lo, exec_lo, s10
.LBB157_38:                             ;   in Loop: Header=BB157_2 Depth=1
	s_wait_alu 0xfffe
	s_or_b32 exec_lo, exec_lo, s9
	v_sub_nc_u32_e32 v25, v65, v13
	v_lshl_add_u32 v15, v13, 3, v47
	v_add_nc_u32_e32 v26, v13, v30
                                        ; implicit-def: $vgpr13_vgpr14
	s_delay_alu instid0(VALU_DEP_3) | instskip(SKIP_1) | instid1(VALU_DEP_3)
	v_lshlrev_b32_e32 v17, 3, v25
	v_cmp_gt_i32_e64 s10, v46, v25
	v_cmp_le_i32_e64 s9, v45, v26
	ds_load_b64 v[9:10], v15
	ds_load_b64 v[11:12], v17
	s_wait_dscnt 0x0
	v_cmp_lt_i64_e64 s8, v[11:12], v[9:10]
	s_or_b32 s8, s9, s8
	s_wait_alu 0xfffe
	s_and_b32 s8, s10, s8
	s_wait_alu 0xfffe
	s_xor_b32 s9, s8, -1
	s_wait_alu 0xfffe
	s_and_saveexec_b32 s10, s9
	s_wait_alu 0xfffe
	s_xor_b32 s9, exec_lo, s10
; %bb.39:                               ;   in Loop: Header=BB157_2 Depth=1
	ds_load_b64 v[13:14], v15 offset:8
                                        ; implicit-def: $vgpr17
; %bb.40:                               ;   in Loop: Header=BB157_2 Depth=1
	s_wait_alu 0xfffe
	s_or_saveexec_b32 s9, s9
	v_dual_mov_b32 v16, v12 :: v_dual_mov_b32 v15, v11
	s_wait_alu 0xfffe
	s_xor_b32 exec_lo, exec_lo, s9
	s_cbranch_execz .LBB157_42
; %bb.41:                               ;   in Loop: Header=BB157_2 Depth=1
	ds_load_b64 v[15:16], v17 offset:8
	s_wait_dscnt 0x1
	v_dual_mov_b32 v14, v10 :: v_dual_mov_b32 v13, v9
.LBB157_42:                             ;   in Loop: Header=BB157_2 Depth=1
	s_or_b32 exec_lo, exec_lo, s9
	v_add_nc_u32_e32 v17, 1, v26
	v_add_nc_u32_e32 v18, 1, v25
	s_wait_dscnt 0x0
	v_cmp_lt_i64_e64 s9, v[15:16], v[13:14]
	s_delay_alu instid0(VALU_DEP_3) | instskip(NEXT) | instid1(VALU_DEP_3)
	v_cndmask_b32_e64 v96, v17, v26, s8
	v_cndmask_b32_e64 v97, v25, v18, s8
                                        ; implicit-def: $vgpr17_vgpr18
	s_delay_alu instid0(VALU_DEP_2) | instskip(NEXT) | instid1(VALU_DEP_2)
	v_cmp_ge_i32_e64 s10, v96, v45
	v_cmp_lt_i32_e64 s11, v97, v46
	s_or_b32 s9, s10, s9
	s_wait_alu 0xfffe
	s_and_b32 s9, s11, s9
	s_wait_alu 0xfffe
	s_xor_b32 s10, s9, -1
	s_wait_alu 0xfffe
	s_and_saveexec_b32 s11, s10
	s_wait_alu 0xfffe
	s_xor_b32 s10, exec_lo, s11
; %bb.43:                               ;   in Loop: Header=BB157_2 Depth=1
	v_lshlrev_b32_e32 v17, 3, v96
	ds_load_b64 v[17:18], v17 offset:8
; %bb.44:                               ;   in Loop: Header=BB157_2 Depth=1
	s_wait_alu 0xfffe
	s_or_saveexec_b32 s10, s10
	v_dual_mov_b32 v20, v16 :: v_dual_mov_b32 v19, v15
	s_wait_alu 0xfffe
	s_xor_b32 exec_lo, exec_lo, s10
	s_cbranch_execz .LBB157_46
; %bb.45:                               ;   in Loop: Header=BB157_2 Depth=1
	s_wait_dscnt 0x0
	v_lshlrev_b32_e32 v17, 3, v97
	ds_load_b64 v[19:20], v17 offset:8
	v_dual_mov_b32 v18, v14 :: v_dual_mov_b32 v17, v13
.LBB157_46:                             ;   in Loop: Header=BB157_2 Depth=1
	s_or_b32 exec_lo, exec_lo, s10
	v_add_nc_u32_e32 v21, 1, v96
	v_add_nc_u32_e32 v22, 1, v97
	s_wait_dscnt 0x0
	v_cmp_lt_i64_e64 s10, v[19:20], v[17:18]
	s_delay_alu instid0(VALU_DEP_3) | instskip(NEXT) | instid1(VALU_DEP_3)
	v_cndmask_b32_e64 v99, v21, v96, s9
	v_cndmask_b32_e64 v98, v97, v22, s9
                                        ; implicit-def: $vgpr21_vgpr22
	s_delay_alu instid0(VALU_DEP_2) | instskip(NEXT) | instid1(VALU_DEP_2)
	v_cmp_ge_i32_e64 s11, v99, v45
	v_cmp_lt_i32_e64 s12, v98, v46
	s_or_b32 s10, s11, s10
	s_wait_alu 0xfffe
	s_and_b32 s10, s12, s10
	s_wait_alu 0xfffe
	s_xor_b32 s11, s10, -1
	s_wait_alu 0xfffe
	s_and_saveexec_b32 s12, s11
	s_wait_alu 0xfffe
	s_xor_b32 s11, exec_lo, s12
; %bb.47:                               ;   in Loop: Header=BB157_2 Depth=1
	v_lshlrev_b32_e32 v21, 3, v99
	ds_load_b64 v[21:22], v21 offset:8
; %bb.48:                               ;   in Loop: Header=BB157_2 Depth=1
	s_wait_alu 0xfffe
	s_or_saveexec_b32 s11, s11
	v_dual_mov_b32 v24, v20 :: v_dual_mov_b32 v23, v19
	s_wait_alu 0xfffe
	s_xor_b32 exec_lo, exec_lo, s11
	s_cbranch_execz .LBB157_50
; %bb.49:                               ;   in Loop: Header=BB157_2 Depth=1
	s_wait_dscnt 0x0
	v_lshlrev_b32_e32 v21, 3, v98
	ds_load_b64 v[23:24], v21 offset:8
	v_dual_mov_b32 v22, v18 :: v_dual_mov_b32 v21, v17
.LBB157_50:                             ;   in Loop: Header=BB157_2 Depth=1
	s_or_b32 exec_lo, exec_lo, s11
	v_add_nc_u32_e32 v100, 1, v99
	v_add_nc_u32_e32 v101, 1, v98
	v_cndmask_b32_e64 v96, v96, v97, s9
	v_cndmask_b32_e64 v25, v26, v25, s8
	s_wait_dscnt 0x0
	v_cmp_lt_i64_e64 s11, v[23:24], v[21:22]
	v_cndmask_b32_e64 v97, v100, v99, s10
	v_cndmask_b32_e64 v26, v98, v101, s10
	;; [unrolled: 1-line block ×3, first 2 shown]
	s_wait_loadcnt 0x0
	s_barrier_signal -1
	v_cmp_ge_i32_e64 s12, v97, v45
	v_cmp_lt_i32_e64 s13, v26, v46
	s_barrier_wait -1
	global_inv scope:SCOPE_SE
	ds_store_2addr_b64 v27, v[5:6], v[7:8] offset1:1
	ds_store_2addr_b64 v27, v[1:2], v[3:4] offset0:2 offset1:3
	s_or_b32 s11, s12, s11
	v_lshlrev_b32_e32 v2, 3, v25
	s_wait_alu 0xfffe
	s_and_b32 s11, s13, s11
	v_lshlrev_b32_e32 v3, 3, v96
	s_wait_alu 0xfffe
	v_cndmask_b32_e64 v1, v97, v26, s11
	v_lshlrev_b32_e32 v4, 3, v102
	v_cndmask_b32_e64 v22, v22, v24, s11
	s_wait_loadcnt_dscnt 0x0
	s_barrier_signal -1
	v_lshlrev_b32_e32 v24, 3, v1
	s_barrier_wait -1
	global_inv scope:SCOPE_SE
	ds_load_b64 v[5:6], v2
	ds_load_b64 v[7:8], v3
	;; [unrolled: 1-line block ×4, first 2 shown]
	v_cndmask_b32_e64 v14, v14, v16, s9
	v_cndmask_b32_e64 v13, v13, v15, s9
	v_cndmask_b32_e64 v10, v10, v12, s8
	v_cndmask_b32_e64 v9, v9, v11, s8
	v_cndmask_b32_e64 v18, v18, v20, s10
	v_cndmask_b32_e64 v17, v17, v19, s10
	v_cndmask_b32_e64 v21, v21, v23, s11
	s_wait_loadcnt_dscnt 0x0
	s_barrier_signal -1
	s_barrier_wait -1
	global_inv scope:SCOPE_SE
	ds_store_2addr_b64 v27, v[9:10], v[13:14] offset1:1
	ds_store_2addr_b64 v27, v[17:18], v[21:22] offset0:2 offset1:3
	v_mov_b32_e32 v13, v90
	s_wait_loadcnt_dscnt 0x0
	s_barrier_signal -1
	s_barrier_wait -1
	global_inv scope:SCOPE_SE
	s_and_saveexec_b32 s9, s3
	s_cbranch_execz .LBB157_54
; %bb.51:                               ;   in Loop: Header=BB157_2 Depth=1
	v_mov_b32_e32 v13, v90
	v_mov_b32_e32 v9, v82
	s_mov_b32 s10, 0
.LBB157_52:                             ;   Parent Loop BB157_2 Depth=1
                                        ; =>  This Inner Loop Header: Depth=2
	s_delay_alu instid0(VALU_DEP_1) | instskip(NEXT) | instid1(VALU_DEP_1)
	v_sub_nc_u32_e32 v10, v9, v13
	v_lshrrev_b32_e32 v10, 1, v10
	s_delay_alu instid0(VALU_DEP_1) | instskip(NEXT) | instid1(VALU_DEP_1)
	v_add_nc_u32_e32 v12, v10, v13
	v_not_b32_e32 v10, v12
	v_lshl_add_u32 v11, v12, 3, v50
	s_delay_alu instid0(VALU_DEP_2)
	v_lshl_add_u32 v14, v10, 3, v74
	ds_load_b64 v[10:11], v11
	ds_load_b64 v[14:15], v14
	s_wait_dscnt 0x0
	v_cmp_lt_i64_e64 s8, v[14:15], v[10:11]
	v_add_nc_u32_e32 v10, 1, v12
	s_wait_alu 0xf1ff
	s_delay_alu instid0(VALU_DEP_2) | instskip(NEXT) | instid1(VALU_DEP_2)
	v_cndmask_b32_e64 v9, v9, v12, s8
	v_cndmask_b32_e64 v13, v10, v13, s8
	s_delay_alu instid0(VALU_DEP_1)
	v_cmp_ge_i32_e64 s8, v13, v9
	s_wait_alu 0xfffe
	s_or_b32 s10, s8, s10
	s_wait_alu 0xfffe
	s_and_not1_b32 exec_lo, exec_lo, s10
	s_cbranch_execnz .LBB157_52
; %bb.53:                               ;   in Loop: Header=BB157_2 Depth=1
	s_or_b32 exec_lo, exec_lo, s10
.LBB157_54:                             ;   in Loop: Header=BB157_2 Depth=1
	s_wait_alu 0xfffe
	s_or_b32 exec_lo, exec_lo, s9
	v_sub_nc_u32_e32 v25, v66, v13
	v_lshl_add_u32 v15, v13, 3, v50
	v_add_nc_u32_e32 v26, v13, v31
                                        ; implicit-def: $vgpr13_vgpr14
	s_delay_alu instid0(VALU_DEP_3) | instskip(SKIP_1) | instid1(VALU_DEP_3)
	v_lshlrev_b32_e32 v17, 3, v25
	v_cmp_gt_i32_e64 s10, v49, v25
	v_cmp_le_i32_e64 s9, v48, v26
	ds_load_b64 v[9:10], v15
	ds_load_b64 v[11:12], v17
	s_wait_dscnt 0x0
	v_cmp_lt_i64_e64 s8, v[11:12], v[9:10]
	s_or_b32 s8, s9, s8
	s_wait_alu 0xfffe
	s_and_b32 s8, s10, s8
	s_wait_alu 0xfffe
	s_xor_b32 s9, s8, -1
	s_wait_alu 0xfffe
	s_and_saveexec_b32 s10, s9
	s_wait_alu 0xfffe
	s_xor_b32 s9, exec_lo, s10
; %bb.55:                               ;   in Loop: Header=BB157_2 Depth=1
	ds_load_b64 v[13:14], v15 offset:8
                                        ; implicit-def: $vgpr17
; %bb.56:                               ;   in Loop: Header=BB157_2 Depth=1
	s_wait_alu 0xfffe
	s_or_saveexec_b32 s9, s9
	v_dual_mov_b32 v16, v12 :: v_dual_mov_b32 v15, v11
	s_wait_alu 0xfffe
	s_xor_b32 exec_lo, exec_lo, s9
	s_cbranch_execz .LBB157_58
; %bb.57:                               ;   in Loop: Header=BB157_2 Depth=1
	ds_load_b64 v[15:16], v17 offset:8
	s_wait_dscnt 0x1
	v_dual_mov_b32 v14, v10 :: v_dual_mov_b32 v13, v9
.LBB157_58:                             ;   in Loop: Header=BB157_2 Depth=1
	s_or_b32 exec_lo, exec_lo, s9
	v_add_nc_u32_e32 v17, 1, v26
	v_add_nc_u32_e32 v18, 1, v25
	s_wait_dscnt 0x0
	v_cmp_lt_i64_e64 s9, v[15:16], v[13:14]
	s_delay_alu instid0(VALU_DEP_3) | instskip(NEXT) | instid1(VALU_DEP_3)
	v_cndmask_b32_e64 v96, v17, v26, s8
	v_cndmask_b32_e64 v97, v25, v18, s8
                                        ; implicit-def: $vgpr17_vgpr18
	s_delay_alu instid0(VALU_DEP_2) | instskip(NEXT) | instid1(VALU_DEP_2)
	v_cmp_ge_i32_e64 s10, v96, v48
	v_cmp_lt_i32_e64 s11, v97, v49
	s_or_b32 s9, s10, s9
	s_wait_alu 0xfffe
	s_and_b32 s9, s11, s9
	s_wait_alu 0xfffe
	s_xor_b32 s10, s9, -1
	s_wait_alu 0xfffe
	s_and_saveexec_b32 s11, s10
	s_wait_alu 0xfffe
	s_xor_b32 s10, exec_lo, s11
; %bb.59:                               ;   in Loop: Header=BB157_2 Depth=1
	v_lshlrev_b32_e32 v17, 3, v96
	ds_load_b64 v[17:18], v17 offset:8
; %bb.60:                               ;   in Loop: Header=BB157_2 Depth=1
	s_wait_alu 0xfffe
	s_or_saveexec_b32 s10, s10
	v_dual_mov_b32 v20, v16 :: v_dual_mov_b32 v19, v15
	s_wait_alu 0xfffe
	s_xor_b32 exec_lo, exec_lo, s10
	s_cbranch_execz .LBB157_62
; %bb.61:                               ;   in Loop: Header=BB157_2 Depth=1
	s_wait_dscnt 0x0
	v_lshlrev_b32_e32 v17, 3, v97
	ds_load_b64 v[19:20], v17 offset:8
	v_dual_mov_b32 v18, v14 :: v_dual_mov_b32 v17, v13
.LBB157_62:                             ;   in Loop: Header=BB157_2 Depth=1
	s_or_b32 exec_lo, exec_lo, s10
	v_add_nc_u32_e32 v21, 1, v96
	v_add_nc_u32_e32 v22, 1, v97
	s_wait_dscnt 0x0
	v_cmp_lt_i64_e64 s10, v[19:20], v[17:18]
	s_delay_alu instid0(VALU_DEP_3) | instskip(NEXT) | instid1(VALU_DEP_3)
	v_cndmask_b32_e64 v99, v21, v96, s9
	v_cndmask_b32_e64 v98, v97, v22, s9
                                        ; implicit-def: $vgpr21_vgpr22
	s_delay_alu instid0(VALU_DEP_2) | instskip(NEXT) | instid1(VALU_DEP_2)
	v_cmp_ge_i32_e64 s11, v99, v48
	v_cmp_lt_i32_e64 s12, v98, v49
	s_or_b32 s10, s11, s10
	s_wait_alu 0xfffe
	s_and_b32 s10, s12, s10
	s_wait_alu 0xfffe
	s_xor_b32 s11, s10, -1
	s_wait_alu 0xfffe
	s_and_saveexec_b32 s12, s11
	s_wait_alu 0xfffe
	s_xor_b32 s11, exec_lo, s12
; %bb.63:                               ;   in Loop: Header=BB157_2 Depth=1
	v_lshlrev_b32_e32 v21, 3, v99
	ds_load_b64 v[21:22], v21 offset:8
; %bb.64:                               ;   in Loop: Header=BB157_2 Depth=1
	s_wait_alu 0xfffe
	s_or_saveexec_b32 s11, s11
	v_dual_mov_b32 v24, v20 :: v_dual_mov_b32 v23, v19
	s_wait_alu 0xfffe
	s_xor_b32 exec_lo, exec_lo, s11
	s_cbranch_execz .LBB157_66
; %bb.65:                               ;   in Loop: Header=BB157_2 Depth=1
	s_wait_dscnt 0x0
	v_lshlrev_b32_e32 v21, 3, v98
	ds_load_b64 v[23:24], v21 offset:8
	v_dual_mov_b32 v22, v18 :: v_dual_mov_b32 v21, v17
.LBB157_66:                             ;   in Loop: Header=BB157_2 Depth=1
	s_or_b32 exec_lo, exec_lo, s11
	v_add_nc_u32_e32 v100, 1, v99
	v_add_nc_u32_e32 v101, 1, v98
	v_cndmask_b32_e64 v96, v96, v97, s9
	v_cndmask_b32_e64 v25, v26, v25, s8
	s_wait_dscnt 0x0
	v_cmp_lt_i64_e64 s11, v[23:24], v[21:22]
	v_cndmask_b32_e64 v97, v100, v99, s10
	v_cndmask_b32_e64 v26, v98, v101, s10
	;; [unrolled: 1-line block ×3, first 2 shown]
	s_wait_loadcnt 0x0
	s_barrier_signal -1
	v_cmp_ge_i32_e64 s12, v97, v48
	v_cmp_lt_i32_e64 s13, v26, v49
	s_barrier_wait -1
	global_inv scope:SCOPE_SE
	ds_store_2addr_b64 v27, v[5:6], v[7:8] offset1:1
	ds_store_2addr_b64 v27, v[1:2], v[3:4] offset0:2 offset1:3
	s_or_b32 s11, s12, s11
	v_lshlrev_b32_e32 v2, 3, v25
	s_wait_alu 0xfffe
	s_and_b32 s11, s13, s11
	v_lshlrev_b32_e32 v3, 3, v96
	s_wait_alu 0xfffe
	v_cndmask_b32_e64 v1, v97, v26, s11
	v_lshlrev_b32_e32 v4, 3, v102
	v_cndmask_b32_e64 v22, v22, v24, s11
	s_wait_loadcnt_dscnt 0x0
	s_barrier_signal -1
	v_lshlrev_b32_e32 v24, 3, v1
	s_barrier_wait -1
	global_inv scope:SCOPE_SE
	ds_load_b64 v[5:6], v2
	ds_load_b64 v[7:8], v3
	;; [unrolled: 1-line block ×4, first 2 shown]
	v_cndmask_b32_e64 v14, v14, v16, s9
	v_cndmask_b32_e64 v13, v13, v15, s9
	;; [unrolled: 1-line block ×7, first 2 shown]
	s_wait_loadcnt_dscnt 0x0
	s_barrier_signal -1
	s_barrier_wait -1
	global_inv scope:SCOPE_SE
	ds_store_2addr_b64 v27, v[9:10], v[13:14] offset1:1
	ds_store_2addr_b64 v27, v[17:18], v[21:22] offset0:2 offset1:3
	v_mov_b32_e32 v13, v91
	s_wait_loadcnt_dscnt 0x0
	s_barrier_signal -1
	s_barrier_wait -1
	global_inv scope:SCOPE_SE
	s_and_saveexec_b32 s9, s4
	s_cbranch_execz .LBB157_70
; %bb.67:                               ;   in Loop: Header=BB157_2 Depth=1
	v_mov_b32_e32 v13, v91
	v_mov_b32_e32 v9, v83
	s_mov_b32 s10, 0
.LBB157_68:                             ;   Parent Loop BB157_2 Depth=1
                                        ; =>  This Inner Loop Header: Depth=2
	s_delay_alu instid0(VALU_DEP_1) | instskip(NEXT) | instid1(VALU_DEP_1)
	v_sub_nc_u32_e32 v10, v9, v13
	v_lshrrev_b32_e32 v10, 1, v10
	s_delay_alu instid0(VALU_DEP_1) | instskip(NEXT) | instid1(VALU_DEP_1)
	v_add_nc_u32_e32 v12, v10, v13
	v_not_b32_e32 v10, v12
	v_lshl_add_u32 v11, v12, 3, v53
	s_delay_alu instid0(VALU_DEP_2)
	v_lshl_add_u32 v14, v10, 3, v75
	ds_load_b64 v[10:11], v11
	ds_load_b64 v[14:15], v14
	s_wait_dscnt 0x0
	v_cmp_lt_i64_e64 s8, v[14:15], v[10:11]
	v_add_nc_u32_e32 v10, 1, v12
	s_wait_alu 0xf1ff
	s_delay_alu instid0(VALU_DEP_2) | instskip(NEXT) | instid1(VALU_DEP_2)
	v_cndmask_b32_e64 v9, v9, v12, s8
	v_cndmask_b32_e64 v13, v10, v13, s8
	s_delay_alu instid0(VALU_DEP_1)
	v_cmp_ge_i32_e64 s8, v13, v9
	s_wait_alu 0xfffe
	s_or_b32 s10, s8, s10
	s_wait_alu 0xfffe
	s_and_not1_b32 exec_lo, exec_lo, s10
	s_cbranch_execnz .LBB157_68
; %bb.69:                               ;   in Loop: Header=BB157_2 Depth=1
	s_or_b32 exec_lo, exec_lo, s10
.LBB157_70:                             ;   in Loop: Header=BB157_2 Depth=1
	s_wait_alu 0xfffe
	s_or_b32 exec_lo, exec_lo, s9
	v_sub_nc_u32_e32 v25, v67, v13
	v_lshl_add_u32 v15, v13, 3, v53
	v_add_nc_u32_e32 v26, v13, v32
                                        ; implicit-def: $vgpr13_vgpr14
	s_delay_alu instid0(VALU_DEP_3) | instskip(SKIP_1) | instid1(VALU_DEP_3)
	v_lshlrev_b32_e32 v17, 3, v25
	v_cmp_gt_i32_e64 s10, v52, v25
	v_cmp_le_i32_e64 s9, v51, v26
	ds_load_b64 v[9:10], v15
	ds_load_b64 v[11:12], v17
	s_wait_dscnt 0x0
	v_cmp_lt_i64_e64 s8, v[11:12], v[9:10]
	s_or_b32 s8, s9, s8
	s_wait_alu 0xfffe
	s_and_b32 s8, s10, s8
	s_wait_alu 0xfffe
	s_xor_b32 s9, s8, -1
	s_wait_alu 0xfffe
	s_and_saveexec_b32 s10, s9
	s_wait_alu 0xfffe
	s_xor_b32 s9, exec_lo, s10
; %bb.71:                               ;   in Loop: Header=BB157_2 Depth=1
	ds_load_b64 v[13:14], v15 offset:8
                                        ; implicit-def: $vgpr17
; %bb.72:                               ;   in Loop: Header=BB157_2 Depth=1
	s_wait_alu 0xfffe
	s_or_saveexec_b32 s9, s9
	v_dual_mov_b32 v16, v12 :: v_dual_mov_b32 v15, v11
	s_wait_alu 0xfffe
	s_xor_b32 exec_lo, exec_lo, s9
	s_cbranch_execz .LBB157_74
; %bb.73:                               ;   in Loop: Header=BB157_2 Depth=1
	ds_load_b64 v[15:16], v17 offset:8
	s_wait_dscnt 0x1
	v_dual_mov_b32 v14, v10 :: v_dual_mov_b32 v13, v9
.LBB157_74:                             ;   in Loop: Header=BB157_2 Depth=1
	s_or_b32 exec_lo, exec_lo, s9
	v_add_nc_u32_e32 v17, 1, v26
	v_add_nc_u32_e32 v18, 1, v25
	s_wait_dscnt 0x0
	v_cmp_lt_i64_e64 s9, v[15:16], v[13:14]
	s_delay_alu instid0(VALU_DEP_3) | instskip(NEXT) | instid1(VALU_DEP_3)
	v_cndmask_b32_e64 v96, v17, v26, s8
	v_cndmask_b32_e64 v97, v25, v18, s8
                                        ; implicit-def: $vgpr17_vgpr18
	s_delay_alu instid0(VALU_DEP_2) | instskip(NEXT) | instid1(VALU_DEP_2)
	v_cmp_ge_i32_e64 s10, v96, v51
	v_cmp_lt_i32_e64 s11, v97, v52
	s_or_b32 s9, s10, s9
	s_wait_alu 0xfffe
	s_and_b32 s9, s11, s9
	s_wait_alu 0xfffe
	s_xor_b32 s10, s9, -1
	s_wait_alu 0xfffe
	s_and_saveexec_b32 s11, s10
	s_wait_alu 0xfffe
	s_xor_b32 s10, exec_lo, s11
; %bb.75:                               ;   in Loop: Header=BB157_2 Depth=1
	v_lshlrev_b32_e32 v17, 3, v96
	ds_load_b64 v[17:18], v17 offset:8
; %bb.76:                               ;   in Loop: Header=BB157_2 Depth=1
	s_wait_alu 0xfffe
	s_or_saveexec_b32 s10, s10
	v_dual_mov_b32 v20, v16 :: v_dual_mov_b32 v19, v15
	s_wait_alu 0xfffe
	s_xor_b32 exec_lo, exec_lo, s10
	s_cbranch_execz .LBB157_78
; %bb.77:                               ;   in Loop: Header=BB157_2 Depth=1
	s_wait_dscnt 0x0
	v_lshlrev_b32_e32 v17, 3, v97
	ds_load_b64 v[19:20], v17 offset:8
	v_dual_mov_b32 v18, v14 :: v_dual_mov_b32 v17, v13
.LBB157_78:                             ;   in Loop: Header=BB157_2 Depth=1
	s_or_b32 exec_lo, exec_lo, s10
	v_add_nc_u32_e32 v21, 1, v96
	v_add_nc_u32_e32 v22, 1, v97
	s_wait_dscnt 0x0
	v_cmp_lt_i64_e64 s10, v[19:20], v[17:18]
	s_delay_alu instid0(VALU_DEP_3) | instskip(NEXT) | instid1(VALU_DEP_3)
	v_cndmask_b32_e64 v99, v21, v96, s9
	v_cndmask_b32_e64 v98, v97, v22, s9
                                        ; implicit-def: $vgpr21_vgpr22
	s_delay_alu instid0(VALU_DEP_2) | instskip(NEXT) | instid1(VALU_DEP_2)
	v_cmp_ge_i32_e64 s11, v99, v51
	v_cmp_lt_i32_e64 s12, v98, v52
	s_or_b32 s10, s11, s10
	s_wait_alu 0xfffe
	s_and_b32 s10, s12, s10
	s_wait_alu 0xfffe
	s_xor_b32 s11, s10, -1
	s_wait_alu 0xfffe
	s_and_saveexec_b32 s12, s11
	s_wait_alu 0xfffe
	s_xor_b32 s11, exec_lo, s12
; %bb.79:                               ;   in Loop: Header=BB157_2 Depth=1
	v_lshlrev_b32_e32 v21, 3, v99
	ds_load_b64 v[21:22], v21 offset:8
; %bb.80:                               ;   in Loop: Header=BB157_2 Depth=1
	s_wait_alu 0xfffe
	s_or_saveexec_b32 s11, s11
	v_dual_mov_b32 v24, v20 :: v_dual_mov_b32 v23, v19
	s_wait_alu 0xfffe
	s_xor_b32 exec_lo, exec_lo, s11
	s_cbranch_execz .LBB157_82
; %bb.81:                               ;   in Loop: Header=BB157_2 Depth=1
	s_wait_dscnt 0x0
	v_lshlrev_b32_e32 v21, 3, v98
	ds_load_b64 v[23:24], v21 offset:8
	v_dual_mov_b32 v22, v18 :: v_dual_mov_b32 v21, v17
.LBB157_82:                             ;   in Loop: Header=BB157_2 Depth=1
	s_or_b32 exec_lo, exec_lo, s11
	v_add_nc_u32_e32 v100, 1, v99
	v_add_nc_u32_e32 v101, 1, v98
	v_cndmask_b32_e64 v96, v96, v97, s9
	v_cndmask_b32_e64 v25, v26, v25, s8
	s_wait_dscnt 0x0
	v_cmp_lt_i64_e64 s11, v[23:24], v[21:22]
	v_cndmask_b32_e64 v97, v100, v99, s10
	v_cndmask_b32_e64 v26, v98, v101, s10
	;; [unrolled: 1-line block ×3, first 2 shown]
	s_wait_loadcnt 0x0
	s_barrier_signal -1
	v_cmp_ge_i32_e64 s12, v97, v51
	v_cmp_lt_i32_e64 s13, v26, v52
	s_barrier_wait -1
	global_inv scope:SCOPE_SE
	ds_store_2addr_b64 v27, v[5:6], v[7:8] offset1:1
	ds_store_2addr_b64 v27, v[1:2], v[3:4] offset0:2 offset1:3
	s_or_b32 s11, s12, s11
	v_lshlrev_b32_e32 v2, 3, v25
	s_wait_alu 0xfffe
	s_and_b32 s11, s13, s11
	v_lshlrev_b32_e32 v3, 3, v96
	s_wait_alu 0xfffe
	v_cndmask_b32_e64 v1, v97, v26, s11
	v_lshlrev_b32_e32 v4, 3, v102
	v_cndmask_b32_e64 v22, v22, v24, s11
	s_wait_loadcnt_dscnt 0x0
	s_barrier_signal -1
	v_lshlrev_b32_e32 v24, 3, v1
	s_barrier_wait -1
	global_inv scope:SCOPE_SE
	ds_load_b64 v[5:6], v2
	ds_load_b64 v[7:8], v3
	;; [unrolled: 1-line block ×4, first 2 shown]
	v_cndmask_b32_e64 v14, v14, v16, s9
	v_cndmask_b32_e64 v13, v13, v15, s9
	;; [unrolled: 1-line block ×7, first 2 shown]
	s_wait_loadcnt_dscnt 0x0
	s_barrier_signal -1
	s_barrier_wait -1
	global_inv scope:SCOPE_SE
	ds_store_2addr_b64 v27, v[9:10], v[13:14] offset1:1
	ds_store_2addr_b64 v27, v[17:18], v[21:22] offset0:2 offset1:3
	v_mov_b32_e32 v13, v92
	s_wait_loadcnt_dscnt 0x0
	s_barrier_signal -1
	s_barrier_wait -1
	global_inv scope:SCOPE_SE
	s_and_saveexec_b32 s9, s5
	s_cbranch_execz .LBB157_86
; %bb.83:                               ;   in Loop: Header=BB157_2 Depth=1
	v_mov_b32_e32 v13, v92
	v_mov_b32_e32 v9, v84
	s_mov_b32 s10, 0
.LBB157_84:                             ;   Parent Loop BB157_2 Depth=1
                                        ; =>  This Inner Loop Header: Depth=2
	s_delay_alu instid0(VALU_DEP_1) | instskip(NEXT) | instid1(VALU_DEP_1)
	v_sub_nc_u32_e32 v10, v9, v13
	v_lshrrev_b32_e32 v10, 1, v10
	s_delay_alu instid0(VALU_DEP_1) | instskip(NEXT) | instid1(VALU_DEP_1)
	v_add_nc_u32_e32 v12, v10, v13
	v_not_b32_e32 v10, v12
	v_lshl_add_u32 v11, v12, 3, v56
	s_delay_alu instid0(VALU_DEP_2)
	v_lshl_add_u32 v14, v10, 3, v76
	ds_load_b64 v[10:11], v11
	ds_load_b64 v[14:15], v14
	s_wait_dscnt 0x0
	v_cmp_lt_i64_e64 s8, v[14:15], v[10:11]
	v_add_nc_u32_e32 v10, 1, v12
	s_wait_alu 0xf1ff
	s_delay_alu instid0(VALU_DEP_2) | instskip(NEXT) | instid1(VALU_DEP_2)
	v_cndmask_b32_e64 v9, v9, v12, s8
	v_cndmask_b32_e64 v13, v10, v13, s8
	s_delay_alu instid0(VALU_DEP_1)
	v_cmp_ge_i32_e64 s8, v13, v9
	s_wait_alu 0xfffe
	s_or_b32 s10, s8, s10
	s_wait_alu 0xfffe
	s_and_not1_b32 exec_lo, exec_lo, s10
	s_cbranch_execnz .LBB157_84
; %bb.85:                               ;   in Loop: Header=BB157_2 Depth=1
	s_or_b32 exec_lo, exec_lo, s10
.LBB157_86:                             ;   in Loop: Header=BB157_2 Depth=1
	s_wait_alu 0xfffe
	s_or_b32 exec_lo, exec_lo, s9
	v_sub_nc_u32_e32 v25, v68, v13
	v_lshl_add_u32 v15, v13, 3, v56
	v_add_nc_u32_e32 v26, v13, v33
                                        ; implicit-def: $vgpr13_vgpr14
	s_delay_alu instid0(VALU_DEP_3) | instskip(SKIP_1) | instid1(VALU_DEP_3)
	v_lshlrev_b32_e32 v17, 3, v25
	v_cmp_gt_i32_e64 s10, v55, v25
	v_cmp_le_i32_e64 s9, v54, v26
	ds_load_b64 v[9:10], v15
	ds_load_b64 v[11:12], v17
	s_wait_dscnt 0x0
	v_cmp_lt_i64_e64 s8, v[11:12], v[9:10]
	s_or_b32 s8, s9, s8
	s_wait_alu 0xfffe
	s_and_b32 s8, s10, s8
	s_wait_alu 0xfffe
	s_xor_b32 s9, s8, -1
	s_wait_alu 0xfffe
	s_and_saveexec_b32 s10, s9
	s_wait_alu 0xfffe
	s_xor_b32 s9, exec_lo, s10
; %bb.87:                               ;   in Loop: Header=BB157_2 Depth=1
	ds_load_b64 v[13:14], v15 offset:8
                                        ; implicit-def: $vgpr17
; %bb.88:                               ;   in Loop: Header=BB157_2 Depth=1
	s_wait_alu 0xfffe
	s_or_saveexec_b32 s9, s9
	v_dual_mov_b32 v16, v12 :: v_dual_mov_b32 v15, v11
	s_wait_alu 0xfffe
	s_xor_b32 exec_lo, exec_lo, s9
	s_cbranch_execz .LBB157_90
; %bb.89:                               ;   in Loop: Header=BB157_2 Depth=1
	ds_load_b64 v[15:16], v17 offset:8
	s_wait_dscnt 0x1
	v_dual_mov_b32 v14, v10 :: v_dual_mov_b32 v13, v9
.LBB157_90:                             ;   in Loop: Header=BB157_2 Depth=1
	s_or_b32 exec_lo, exec_lo, s9
	v_add_nc_u32_e32 v17, 1, v26
	v_add_nc_u32_e32 v18, 1, v25
	s_wait_dscnt 0x0
	v_cmp_lt_i64_e64 s9, v[15:16], v[13:14]
	s_delay_alu instid0(VALU_DEP_3) | instskip(NEXT) | instid1(VALU_DEP_3)
	v_cndmask_b32_e64 v96, v17, v26, s8
	v_cndmask_b32_e64 v97, v25, v18, s8
                                        ; implicit-def: $vgpr17_vgpr18
	s_delay_alu instid0(VALU_DEP_2) | instskip(NEXT) | instid1(VALU_DEP_2)
	v_cmp_ge_i32_e64 s10, v96, v54
	v_cmp_lt_i32_e64 s11, v97, v55
	s_or_b32 s9, s10, s9
	s_wait_alu 0xfffe
	s_and_b32 s9, s11, s9
	s_wait_alu 0xfffe
	s_xor_b32 s10, s9, -1
	s_wait_alu 0xfffe
	s_and_saveexec_b32 s11, s10
	s_wait_alu 0xfffe
	s_xor_b32 s10, exec_lo, s11
; %bb.91:                               ;   in Loop: Header=BB157_2 Depth=1
	v_lshlrev_b32_e32 v17, 3, v96
	ds_load_b64 v[17:18], v17 offset:8
; %bb.92:                               ;   in Loop: Header=BB157_2 Depth=1
	s_wait_alu 0xfffe
	s_or_saveexec_b32 s10, s10
	v_dual_mov_b32 v20, v16 :: v_dual_mov_b32 v19, v15
	s_wait_alu 0xfffe
	s_xor_b32 exec_lo, exec_lo, s10
	s_cbranch_execz .LBB157_94
; %bb.93:                               ;   in Loop: Header=BB157_2 Depth=1
	s_wait_dscnt 0x0
	v_lshlrev_b32_e32 v17, 3, v97
	ds_load_b64 v[19:20], v17 offset:8
	v_dual_mov_b32 v18, v14 :: v_dual_mov_b32 v17, v13
.LBB157_94:                             ;   in Loop: Header=BB157_2 Depth=1
	s_or_b32 exec_lo, exec_lo, s10
	v_add_nc_u32_e32 v21, 1, v96
	v_add_nc_u32_e32 v22, 1, v97
	s_wait_dscnt 0x0
	v_cmp_lt_i64_e64 s10, v[19:20], v[17:18]
	s_delay_alu instid0(VALU_DEP_3) | instskip(NEXT) | instid1(VALU_DEP_3)
	v_cndmask_b32_e64 v99, v21, v96, s9
	v_cndmask_b32_e64 v98, v97, v22, s9
                                        ; implicit-def: $vgpr21_vgpr22
	s_delay_alu instid0(VALU_DEP_2) | instskip(NEXT) | instid1(VALU_DEP_2)
	v_cmp_ge_i32_e64 s11, v99, v54
	v_cmp_lt_i32_e64 s12, v98, v55
	s_or_b32 s10, s11, s10
	s_wait_alu 0xfffe
	s_and_b32 s10, s12, s10
	s_wait_alu 0xfffe
	s_xor_b32 s11, s10, -1
	s_wait_alu 0xfffe
	s_and_saveexec_b32 s12, s11
	s_wait_alu 0xfffe
	s_xor_b32 s11, exec_lo, s12
; %bb.95:                               ;   in Loop: Header=BB157_2 Depth=1
	v_lshlrev_b32_e32 v21, 3, v99
	ds_load_b64 v[21:22], v21 offset:8
; %bb.96:                               ;   in Loop: Header=BB157_2 Depth=1
	s_wait_alu 0xfffe
	s_or_saveexec_b32 s11, s11
	v_dual_mov_b32 v24, v20 :: v_dual_mov_b32 v23, v19
	s_wait_alu 0xfffe
	s_xor_b32 exec_lo, exec_lo, s11
	s_cbranch_execz .LBB157_98
; %bb.97:                               ;   in Loop: Header=BB157_2 Depth=1
	s_wait_dscnt 0x0
	v_lshlrev_b32_e32 v21, 3, v98
	ds_load_b64 v[23:24], v21 offset:8
	v_dual_mov_b32 v22, v18 :: v_dual_mov_b32 v21, v17
.LBB157_98:                             ;   in Loop: Header=BB157_2 Depth=1
	s_or_b32 exec_lo, exec_lo, s11
	v_add_nc_u32_e32 v100, 1, v99
	v_add_nc_u32_e32 v101, 1, v98
	v_cndmask_b32_e64 v96, v96, v97, s9
	v_cndmask_b32_e64 v25, v26, v25, s8
	s_wait_dscnt 0x0
	v_cmp_lt_i64_e64 s11, v[23:24], v[21:22]
	v_cndmask_b32_e64 v97, v100, v99, s10
	v_cndmask_b32_e64 v26, v98, v101, s10
	;; [unrolled: 1-line block ×3, first 2 shown]
	s_wait_loadcnt 0x0
	s_barrier_signal -1
	v_cmp_ge_i32_e64 s12, v97, v54
	v_cmp_lt_i32_e64 s13, v26, v55
	s_barrier_wait -1
	global_inv scope:SCOPE_SE
	ds_store_2addr_b64 v27, v[5:6], v[7:8] offset1:1
	ds_store_2addr_b64 v27, v[1:2], v[3:4] offset0:2 offset1:3
	s_or_b32 s11, s12, s11
	v_lshlrev_b32_e32 v2, 3, v25
	s_wait_alu 0xfffe
	s_and_b32 s11, s13, s11
	v_lshlrev_b32_e32 v3, 3, v96
	s_wait_alu 0xfffe
	v_cndmask_b32_e64 v1, v97, v26, s11
	v_lshlrev_b32_e32 v4, 3, v102
	v_cndmask_b32_e64 v22, v22, v24, s11
	s_wait_loadcnt_dscnt 0x0
	s_barrier_signal -1
	v_lshlrev_b32_e32 v24, 3, v1
	s_barrier_wait -1
	global_inv scope:SCOPE_SE
	ds_load_b64 v[5:6], v2
	ds_load_b64 v[7:8], v3
	;; [unrolled: 1-line block ×4, first 2 shown]
	v_cndmask_b32_e64 v14, v14, v16, s9
	v_cndmask_b32_e64 v13, v13, v15, s9
	;; [unrolled: 1-line block ×7, first 2 shown]
	s_wait_loadcnt_dscnt 0x0
	s_barrier_signal -1
	s_barrier_wait -1
	global_inv scope:SCOPE_SE
	ds_store_2addr_b64 v27, v[9:10], v[13:14] offset1:1
	ds_store_2addr_b64 v27, v[17:18], v[21:22] offset0:2 offset1:3
	v_mov_b32_e32 v13, v93
	s_wait_loadcnt_dscnt 0x0
	s_barrier_signal -1
	s_barrier_wait -1
	global_inv scope:SCOPE_SE
	s_and_saveexec_b32 s9, s6
	s_cbranch_execz .LBB157_102
; %bb.99:                               ;   in Loop: Header=BB157_2 Depth=1
	v_mov_b32_e32 v13, v93
	v_mov_b32_e32 v9, v85
	s_mov_b32 s10, 0
.LBB157_100:                            ;   Parent Loop BB157_2 Depth=1
                                        ; =>  This Inner Loop Header: Depth=2
	s_delay_alu instid0(VALU_DEP_1) | instskip(NEXT) | instid1(VALU_DEP_1)
	v_sub_nc_u32_e32 v10, v9, v13
	v_lshrrev_b32_e32 v10, 1, v10
	s_delay_alu instid0(VALU_DEP_1) | instskip(NEXT) | instid1(VALU_DEP_1)
	v_add_nc_u32_e32 v12, v10, v13
	v_not_b32_e32 v10, v12
	v_lshl_add_u32 v11, v12, 3, v59
	s_delay_alu instid0(VALU_DEP_2)
	v_lshl_add_u32 v14, v10, 3, v77
	ds_load_b64 v[10:11], v11
	ds_load_b64 v[14:15], v14
	s_wait_dscnt 0x0
	v_cmp_lt_i64_e64 s8, v[14:15], v[10:11]
	v_add_nc_u32_e32 v10, 1, v12
	s_wait_alu 0xf1ff
	s_delay_alu instid0(VALU_DEP_2) | instskip(NEXT) | instid1(VALU_DEP_2)
	v_cndmask_b32_e64 v9, v9, v12, s8
	v_cndmask_b32_e64 v13, v10, v13, s8
	s_delay_alu instid0(VALU_DEP_1)
	v_cmp_ge_i32_e64 s8, v13, v9
	s_wait_alu 0xfffe
	s_or_b32 s10, s8, s10
	s_wait_alu 0xfffe
	s_and_not1_b32 exec_lo, exec_lo, s10
	s_cbranch_execnz .LBB157_100
; %bb.101:                              ;   in Loop: Header=BB157_2 Depth=1
	s_or_b32 exec_lo, exec_lo, s10
.LBB157_102:                            ;   in Loop: Header=BB157_2 Depth=1
	s_wait_alu 0xfffe
	s_or_b32 exec_lo, exec_lo, s9
	v_sub_nc_u32_e32 v25, v69, v13
	v_lshl_add_u32 v15, v13, 3, v59
	v_add_nc_u32_e32 v26, v13, v34
                                        ; implicit-def: $vgpr13_vgpr14
	s_delay_alu instid0(VALU_DEP_3) | instskip(SKIP_1) | instid1(VALU_DEP_3)
	v_lshlrev_b32_e32 v17, 3, v25
	v_cmp_gt_i32_e64 s10, v58, v25
	v_cmp_le_i32_e64 s9, v57, v26
	ds_load_b64 v[9:10], v15
	ds_load_b64 v[11:12], v17
	s_wait_dscnt 0x0
	v_cmp_lt_i64_e64 s8, v[11:12], v[9:10]
	s_or_b32 s8, s9, s8
	s_wait_alu 0xfffe
	s_and_b32 s8, s10, s8
	s_wait_alu 0xfffe
	s_xor_b32 s9, s8, -1
	s_wait_alu 0xfffe
	s_and_saveexec_b32 s10, s9
	s_wait_alu 0xfffe
	s_xor_b32 s9, exec_lo, s10
; %bb.103:                              ;   in Loop: Header=BB157_2 Depth=1
	ds_load_b64 v[13:14], v15 offset:8
                                        ; implicit-def: $vgpr17
; %bb.104:                              ;   in Loop: Header=BB157_2 Depth=1
	s_wait_alu 0xfffe
	s_or_saveexec_b32 s9, s9
	v_dual_mov_b32 v16, v12 :: v_dual_mov_b32 v15, v11
	s_wait_alu 0xfffe
	s_xor_b32 exec_lo, exec_lo, s9
	s_cbranch_execz .LBB157_106
; %bb.105:                              ;   in Loop: Header=BB157_2 Depth=1
	ds_load_b64 v[15:16], v17 offset:8
	s_wait_dscnt 0x1
	v_dual_mov_b32 v14, v10 :: v_dual_mov_b32 v13, v9
.LBB157_106:                            ;   in Loop: Header=BB157_2 Depth=1
	s_or_b32 exec_lo, exec_lo, s9
	v_add_nc_u32_e32 v17, 1, v26
	v_add_nc_u32_e32 v18, 1, v25
	s_wait_dscnt 0x0
	v_cmp_lt_i64_e64 s9, v[15:16], v[13:14]
	s_delay_alu instid0(VALU_DEP_3) | instskip(NEXT) | instid1(VALU_DEP_3)
	v_cndmask_b32_e64 v96, v17, v26, s8
	v_cndmask_b32_e64 v97, v25, v18, s8
                                        ; implicit-def: $vgpr17_vgpr18
	s_delay_alu instid0(VALU_DEP_2) | instskip(NEXT) | instid1(VALU_DEP_2)
	v_cmp_ge_i32_e64 s10, v96, v57
	v_cmp_lt_i32_e64 s11, v97, v58
	s_or_b32 s9, s10, s9
	s_wait_alu 0xfffe
	s_and_b32 s9, s11, s9
	s_wait_alu 0xfffe
	s_xor_b32 s10, s9, -1
	s_wait_alu 0xfffe
	s_and_saveexec_b32 s11, s10
	s_wait_alu 0xfffe
	s_xor_b32 s10, exec_lo, s11
; %bb.107:                              ;   in Loop: Header=BB157_2 Depth=1
	v_lshlrev_b32_e32 v17, 3, v96
	ds_load_b64 v[17:18], v17 offset:8
; %bb.108:                              ;   in Loop: Header=BB157_2 Depth=1
	s_wait_alu 0xfffe
	s_or_saveexec_b32 s10, s10
	v_dual_mov_b32 v20, v16 :: v_dual_mov_b32 v19, v15
	s_wait_alu 0xfffe
	s_xor_b32 exec_lo, exec_lo, s10
	s_cbranch_execz .LBB157_110
; %bb.109:                              ;   in Loop: Header=BB157_2 Depth=1
	s_wait_dscnt 0x0
	v_lshlrev_b32_e32 v17, 3, v97
	ds_load_b64 v[19:20], v17 offset:8
	v_dual_mov_b32 v18, v14 :: v_dual_mov_b32 v17, v13
.LBB157_110:                            ;   in Loop: Header=BB157_2 Depth=1
	s_or_b32 exec_lo, exec_lo, s10
	v_add_nc_u32_e32 v21, 1, v96
	v_add_nc_u32_e32 v22, 1, v97
	s_wait_dscnt 0x0
	v_cmp_lt_i64_e64 s10, v[19:20], v[17:18]
	s_delay_alu instid0(VALU_DEP_3) | instskip(NEXT) | instid1(VALU_DEP_3)
	v_cndmask_b32_e64 v99, v21, v96, s9
	v_cndmask_b32_e64 v98, v97, v22, s9
                                        ; implicit-def: $vgpr21_vgpr22
	s_delay_alu instid0(VALU_DEP_2) | instskip(NEXT) | instid1(VALU_DEP_2)
	v_cmp_ge_i32_e64 s11, v99, v57
	v_cmp_lt_i32_e64 s12, v98, v58
	s_or_b32 s10, s11, s10
	s_wait_alu 0xfffe
	s_and_b32 s10, s12, s10
	s_wait_alu 0xfffe
	s_xor_b32 s11, s10, -1
	s_wait_alu 0xfffe
	s_and_saveexec_b32 s12, s11
	s_wait_alu 0xfffe
	s_xor_b32 s11, exec_lo, s12
; %bb.111:                              ;   in Loop: Header=BB157_2 Depth=1
	v_lshlrev_b32_e32 v21, 3, v99
	ds_load_b64 v[21:22], v21 offset:8
; %bb.112:                              ;   in Loop: Header=BB157_2 Depth=1
	s_wait_alu 0xfffe
	s_or_saveexec_b32 s11, s11
	v_dual_mov_b32 v24, v20 :: v_dual_mov_b32 v23, v19
	s_wait_alu 0xfffe
	s_xor_b32 exec_lo, exec_lo, s11
	s_cbranch_execz .LBB157_114
; %bb.113:                              ;   in Loop: Header=BB157_2 Depth=1
	s_wait_dscnt 0x0
	v_lshlrev_b32_e32 v21, 3, v98
	ds_load_b64 v[23:24], v21 offset:8
	v_dual_mov_b32 v22, v18 :: v_dual_mov_b32 v21, v17
.LBB157_114:                            ;   in Loop: Header=BB157_2 Depth=1
	s_or_b32 exec_lo, exec_lo, s11
	v_add_nc_u32_e32 v100, 1, v99
	v_add_nc_u32_e32 v101, 1, v98
	v_cndmask_b32_e64 v96, v96, v97, s9
	v_cndmask_b32_e64 v25, v26, v25, s8
	s_wait_dscnt 0x0
	v_cmp_lt_i64_e64 s11, v[23:24], v[21:22]
	v_cndmask_b32_e64 v97, v100, v99, s10
	v_cndmask_b32_e64 v26, v98, v101, s10
	;; [unrolled: 1-line block ×3, first 2 shown]
	s_wait_loadcnt 0x0
	s_barrier_signal -1
	v_cmp_ge_i32_e64 s12, v97, v57
	v_cmp_lt_i32_e64 s13, v26, v58
	s_barrier_wait -1
	global_inv scope:SCOPE_SE
	ds_store_2addr_b64 v27, v[5:6], v[7:8] offset1:1
	ds_store_2addr_b64 v27, v[1:2], v[3:4] offset0:2 offset1:3
	s_or_b32 s11, s12, s11
	v_lshlrev_b32_e32 v2, 3, v25
	s_wait_alu 0xfffe
	s_and_b32 s11, s13, s11
	v_lshlrev_b32_e32 v3, 3, v96
	s_wait_alu 0xfffe
	v_cndmask_b32_e64 v1, v97, v26, s11
	v_lshlrev_b32_e32 v4, 3, v102
	v_cndmask_b32_e64 v22, v22, v24, s11
	s_wait_loadcnt_dscnt 0x0
	s_barrier_signal -1
	v_lshlrev_b32_e32 v24, 3, v1
	s_barrier_wait -1
	global_inv scope:SCOPE_SE
	ds_load_b64 v[5:6], v2
	ds_load_b64 v[7:8], v3
	;; [unrolled: 1-line block ×4, first 2 shown]
	v_cndmask_b32_e64 v14, v14, v16, s9
	v_cndmask_b32_e64 v13, v13, v15, s9
	;; [unrolled: 1-line block ×7, first 2 shown]
	s_wait_loadcnt_dscnt 0x0
	s_barrier_signal -1
	s_barrier_wait -1
	global_inv scope:SCOPE_SE
	ds_store_2addr_b64 v27, v[9:10], v[13:14] offset1:1
	ds_store_2addr_b64 v27, v[17:18], v[21:22] offset0:2 offset1:3
	v_mov_b32_e32 v10, v94
	s_wait_loadcnt_dscnt 0x0
	s_barrier_signal -1
	s_barrier_wait -1
	global_inv scope:SCOPE_SE
	s_and_saveexec_b32 s9, s7
	s_cbranch_execz .LBB157_118
; %bb.115:                              ;   in Loop: Header=BB157_2 Depth=1
	v_dual_mov_b32 v10, v94 :: v_dual_mov_b32 v9, v86
	s_mov_b32 s10, 0
.LBB157_116:                            ;   Parent Loop BB157_2 Depth=1
                                        ; =>  This Inner Loop Header: Depth=2
	s_delay_alu instid0(VALU_DEP_1) | instskip(NEXT) | instid1(VALU_DEP_1)
	v_sub_nc_u32_e32 v11, v9, v10
	v_lshrrev_b32_e32 v11, 1, v11
	s_delay_alu instid0(VALU_DEP_1) | instskip(NEXT) | instid1(VALU_DEP_1)
	v_add_nc_u32_e32 v15, v11, v10
	v_not_b32_e32 v11, v15
	v_lshl_add_u32 v12, v15, 3, v62
	s_delay_alu instid0(VALU_DEP_2)
	v_lshl_add_u32 v13, v11, 3, v78
	ds_load_b64 v[11:12], v12
	ds_load_b64 v[13:14], v13
	s_wait_dscnt 0x0
	v_cmp_lt_i64_e64 s8, v[13:14], v[11:12]
	v_add_nc_u32_e32 v11, 1, v15
	s_wait_alu 0xf1ff
	s_delay_alu instid0(VALU_DEP_2) | instskip(NEXT) | instid1(VALU_DEP_2)
	v_cndmask_b32_e64 v9, v9, v15, s8
	v_cndmask_b32_e64 v10, v11, v10, s8
	s_delay_alu instid0(VALU_DEP_1)
	v_cmp_ge_i32_e64 s8, v10, v9
	s_wait_alu 0xfffe
	s_or_b32 s10, s8, s10
	s_wait_alu 0xfffe
	s_and_not1_b32 exec_lo, exec_lo, s10
	s_cbranch_execnz .LBB157_116
; %bb.117:                              ;   in Loop: Header=BB157_2 Depth=1
	s_or_b32 exec_lo, exec_lo, s10
.LBB157_118:                            ;   in Loop: Header=BB157_2 Depth=1
	s_wait_alu 0xfffe
	s_or_b32 exec_lo, exec_lo, s9
	v_sub_nc_u32_e32 v9, v70, v10
	v_lshl_add_u32 v17, v10, 3, v62
	v_add_nc_u32_e32 v10, v10, v35
                                        ; implicit-def: $vgpr15_vgpr16
	s_delay_alu instid0(VALU_DEP_3) | instskip(SKIP_1) | instid1(VALU_DEP_3)
	v_lshlrev_b32_e32 v19, 3, v9
	v_cmp_gt_i32_e64 s10, v61, v9
	v_cmp_le_i32_e64 s9, v60, v10
	ds_load_b64 v[11:12], v17
	ds_load_b64 v[13:14], v19
	s_wait_dscnt 0x0
	v_cmp_lt_i64_e64 s8, v[13:14], v[11:12]
	s_or_b32 s8, s9, s8
	s_wait_alu 0xfffe
	s_and_b32 s8, s10, s8
	s_wait_alu 0xfffe
	s_xor_b32 s9, s8, -1
	s_wait_alu 0xfffe
	s_and_saveexec_b32 s10, s9
	s_wait_alu 0xfffe
	s_xor_b32 s9, exec_lo, s10
; %bb.119:                              ;   in Loop: Header=BB157_2 Depth=1
	ds_load_b64 v[15:16], v17 offset:8
                                        ; implicit-def: $vgpr19
; %bb.120:                              ;   in Loop: Header=BB157_2 Depth=1
	s_wait_alu 0xfffe
	s_or_saveexec_b32 s9, s9
	v_dual_mov_b32 v18, v14 :: v_dual_mov_b32 v17, v13
	s_wait_alu 0xfffe
	s_xor_b32 exec_lo, exec_lo, s9
	s_cbranch_execz .LBB157_122
; %bb.121:                              ;   in Loop: Header=BB157_2 Depth=1
	ds_load_b64 v[17:18], v19 offset:8
	s_wait_dscnt 0x1
	v_dual_mov_b32 v16, v12 :: v_dual_mov_b32 v15, v11
.LBB157_122:                            ;   in Loop: Header=BB157_2 Depth=1
	s_or_b32 exec_lo, exec_lo, s9
	v_add_nc_u32_e32 v19, 1, v10
	v_add_nc_u32_e32 v20, 1, v9
	s_wait_dscnt 0x0
	v_cmp_lt_i64_e64 s9, v[17:18], v[15:16]
	s_delay_alu instid0(VALU_DEP_3) | instskip(NEXT) | instid1(VALU_DEP_3)
	v_cndmask_b32_e64 v96, v19, v10, s8
	v_cndmask_b32_e64 v97, v9, v20, s8
                                        ; implicit-def: $vgpr19_vgpr20
	s_delay_alu instid0(VALU_DEP_2) | instskip(NEXT) | instid1(VALU_DEP_2)
	v_cmp_ge_i32_e64 s10, v96, v60
	v_cmp_lt_i32_e64 s11, v97, v61
	s_or_b32 s9, s10, s9
	s_wait_alu 0xfffe
	s_and_b32 s9, s11, s9
	s_wait_alu 0xfffe
	s_xor_b32 s10, s9, -1
	s_wait_alu 0xfffe
	s_and_saveexec_b32 s11, s10
	s_wait_alu 0xfffe
	s_xor_b32 s10, exec_lo, s11
; %bb.123:                              ;   in Loop: Header=BB157_2 Depth=1
	v_lshlrev_b32_e32 v19, 3, v96
	ds_load_b64 v[19:20], v19 offset:8
; %bb.124:                              ;   in Loop: Header=BB157_2 Depth=1
	s_wait_alu 0xfffe
	s_or_saveexec_b32 s10, s10
	v_dual_mov_b32 v22, v18 :: v_dual_mov_b32 v21, v17
	s_wait_alu 0xfffe
	s_xor_b32 exec_lo, exec_lo, s10
	s_cbranch_execz .LBB157_126
; %bb.125:                              ;   in Loop: Header=BB157_2 Depth=1
	s_wait_dscnt 0x0
	v_lshlrev_b32_e32 v19, 3, v97
	ds_load_b64 v[21:22], v19 offset:8
	v_dual_mov_b32 v20, v16 :: v_dual_mov_b32 v19, v15
.LBB157_126:                            ;   in Loop: Header=BB157_2 Depth=1
	s_or_b32 exec_lo, exec_lo, s10
	v_add_nc_u32_e32 v23, 1, v96
	v_add_nc_u32_e32 v24, 1, v97
	s_wait_dscnt 0x0
	v_cmp_lt_i64_e64 s10, v[21:22], v[19:20]
	s_delay_alu instid0(VALU_DEP_3) | instskip(NEXT) | instid1(VALU_DEP_3)
	v_cndmask_b32_e64 v99, v23, v96, s9
	v_cndmask_b32_e64 v98, v97, v24, s9
                                        ; implicit-def: $vgpr23_vgpr24
	s_delay_alu instid0(VALU_DEP_2) | instskip(NEXT) | instid1(VALU_DEP_2)
	v_cmp_ge_i32_e64 s11, v99, v60
	v_cmp_lt_i32_e64 s12, v98, v61
	s_or_b32 s10, s11, s10
	s_wait_alu 0xfffe
	s_and_b32 s10, s12, s10
	s_wait_alu 0xfffe
	s_xor_b32 s11, s10, -1
	s_wait_alu 0xfffe
	s_and_saveexec_b32 s12, s11
	s_wait_alu 0xfffe
	s_xor_b32 s11, exec_lo, s12
; %bb.127:                              ;   in Loop: Header=BB157_2 Depth=1
	v_lshlrev_b32_e32 v23, 3, v99
	ds_load_b64 v[23:24], v23 offset:8
; %bb.128:                              ;   in Loop: Header=BB157_2 Depth=1
	s_wait_alu 0xfffe
	s_or_saveexec_b32 s11, s11
	v_dual_mov_b32 v26, v22 :: v_dual_mov_b32 v25, v21
	s_wait_alu 0xfffe
	s_xor_b32 exec_lo, exec_lo, s11
	s_cbranch_execz .LBB157_130
; %bb.129:                              ;   in Loop: Header=BB157_2 Depth=1
	s_wait_dscnt 0x0
	v_lshlrev_b32_e32 v23, 3, v98
	ds_load_b64 v[25:26], v23 offset:8
	v_dual_mov_b32 v24, v20 :: v_dual_mov_b32 v23, v19
.LBB157_130:                            ;   in Loop: Header=BB157_2 Depth=1
	s_or_b32 exec_lo, exec_lo, s11
	v_add_nc_u32_e32 v100, 1, v99
	v_add_nc_u32_e32 v101, 1, v98
	v_cndmask_b32_e64 v96, v96, v97, s9
	v_cndmask_b32_e64 v9, v10, v9, s8
	s_wait_dscnt 0x0
	v_cmp_lt_i64_e64 s11, v[25:26], v[23:24]
	v_cndmask_b32_e64 v97, v100, v99, s10
	v_cndmask_b32_e64 v10, v98, v101, s10
	v_cndmask_b32_e64 v102, v99, v98, s10
	s_wait_loadcnt 0x0
	s_barrier_signal -1
	v_cmp_ge_i32_e64 s12, v97, v60
	v_cmp_lt_i32_e64 s13, v10, v61
	s_barrier_wait -1
	global_inv scope:SCOPE_SE
	ds_store_2addr_b64 v27, v[5:6], v[7:8] offset1:1
	ds_store_2addr_b64 v27, v[1:2], v[3:4] offset0:2 offset1:3
	s_or_b32 s11, s12, s11
	v_lshlrev_b32_e32 v2, 3, v9
	s_wait_alu 0xfffe
	s_and_b32 s11, s13, s11
	v_lshlrev_b32_e32 v3, 3, v96
	s_wait_alu 0xfffe
	v_cndmask_b32_e64 v1, v97, v10, s11
	v_lshlrev_b32_e32 v5, 3, v102
	s_wait_loadcnt_dscnt 0x0
	s_barrier_signal -1
	s_barrier_wait -1
	v_lshlrev_b32_e32 v6, 3, v1
	global_inv scope:SCOPE_SE
	ds_load_b64 v[7:8], v2
	ds_load_b64 v[9:10], v3
	;; [unrolled: 1-line block ×4, first 2 shown]
	v_cndmask_b32_e64 v16, v16, v18, s9
	v_cndmask_b32_e64 v15, v15, v17, s9
	;; [unrolled: 1-line block ×8, first 2 shown]
	s_wait_loadcnt_dscnt 0x0
	s_barrier_signal -1
	s_barrier_wait -1
	global_inv scope:SCOPE_SE
	ds_store_2addr_b64 v27, v[11:12], v[15:16] offset1:1
	ds_store_2addr_b64 v27, v[19:20], v[3:4] offset0:2 offset1:3
	v_mov_b32_e32 v15, v36
	s_wait_loadcnt_dscnt 0x0
	s_barrier_signal -1
	s_barrier_wait -1
	global_inv scope:SCOPE_SE
	s_and_saveexec_b32 s9, vcc_lo
	s_cbranch_execz .LBB157_134
; %bb.131:                              ;   in Loop: Header=BB157_2 Depth=1
	v_mov_b32_e32 v15, v36
	v_mov_b32_e32 v3, v37
	s_mov_b32 s10, 0
.LBB157_132:                            ;   Parent Loop BB157_2 Depth=1
                                        ; =>  This Inner Loop Header: Depth=2
	s_delay_alu instid0(VALU_DEP_1) | instskip(NEXT) | instid1(VALU_DEP_1)
	v_sub_nc_u32_e32 v4, v3, v15
	v_lshrrev_b32_e32 v4, 1, v4
	s_delay_alu instid0(VALU_DEP_1) | instskip(NEXT) | instid1(VALU_DEP_1)
	v_add_nc_u32_e32 v4, v4, v15
	v_not_b32_e32 v11, v4
	v_lshlrev_b32_e32 v12, 3, v4
	s_delay_alu instid0(VALU_DEP_2)
	v_lshl_add_u32 v13, v11, 3, v95
	ds_load_b64 v[11:12], v12
	ds_load_b64 v[13:14], v13
	s_wait_dscnt 0x0
	v_cmp_lt_i64_e64 s8, v[13:14], v[11:12]
	v_add_nc_u32_e32 v11, 1, v4
	s_wait_alu 0xf1ff
	s_delay_alu instid0(VALU_DEP_2) | instskip(NEXT) | instid1(VALU_DEP_2)
	v_cndmask_b32_e64 v3, v3, v4, s8
	v_cndmask_b32_e64 v15, v11, v15, s8
	s_delay_alu instid0(VALU_DEP_1)
	v_cmp_ge_i32_e64 s8, v15, v3
	s_wait_alu 0xfffe
	s_or_b32 s10, s8, s10
	s_wait_alu 0xfffe
	s_and_not1_b32 exec_lo, exec_lo, s10
	s_cbranch_execnz .LBB157_132
; %bb.133:                              ;   in Loop: Header=BB157_2 Depth=1
	s_or_b32 exec_lo, exec_lo, s10
.LBB157_134:                            ;   in Loop: Header=BB157_2 Depth=1
	s_wait_alu 0xfffe
	s_or_b32 exec_lo, exec_lo, s9
	v_sub_nc_u32_e32 v16, v38, v15
	v_lshlrev_b32_e32 v4, 3, v15
	v_cmp_le_i32_e64 s9, 0x400, v15
                                        ; implicit-def: $vgpr17_vgpr18
	s_delay_alu instid0(VALU_DEP_3)
	v_lshlrev_b32_e32 v3, 3, v16
	v_cmp_gt_i32_e64 s10, 0x800, v16
	ds_load_b64 v[11:12], v4
	ds_load_b64 v[13:14], v3
	s_wait_dscnt 0x0
	v_cmp_lt_i64_e64 s8, v[13:14], v[11:12]
	s_or_b32 s8, s9, s8
	s_wait_alu 0xfffe
	s_and_b32 s8, s10, s8
	s_wait_alu 0xfffe
	s_xor_b32 s9, s8, -1
	s_wait_alu 0xfffe
	s_and_saveexec_b32 s10, s9
	s_wait_alu 0xfffe
	s_xor_b32 s9, exec_lo, s10
; %bb.135:                              ;   in Loop: Header=BB157_2 Depth=1
	ds_load_b64 v[17:18], v4 offset:8
                                        ; implicit-def: $vgpr3
; %bb.136:                              ;   in Loop: Header=BB157_2 Depth=1
	s_wait_alu 0xfffe
	s_or_saveexec_b32 s9, s9
	v_dual_mov_b32 v20, v14 :: v_dual_mov_b32 v19, v13
	s_wait_alu 0xfffe
	s_xor_b32 exec_lo, exec_lo, s9
	s_cbranch_execz .LBB157_138
; %bb.137:                              ;   in Loop: Header=BB157_2 Depth=1
	ds_load_b64 v[19:20], v3 offset:8
	s_wait_dscnt 0x1
	v_dual_mov_b32 v18, v12 :: v_dual_mov_b32 v17, v11
.LBB157_138:                            ;   in Loop: Header=BB157_2 Depth=1
	s_or_b32 exec_lo, exec_lo, s9
	v_add_nc_u32_e32 v3, 1, v15
	v_add_nc_u32_e32 v4, 1, v16
	s_wait_dscnt 0x0
	v_cmp_lt_i64_e64 s9, v[19:20], v[17:18]
                                        ; implicit-def: $vgpr21_vgpr22
	s_delay_alu instid0(VALU_DEP_3) | instskip(NEXT) | instid1(VALU_DEP_3)
	v_cndmask_b32_e64 v96, v3, v15, s8
	v_cndmask_b32_e64 v97, v16, v4, s8
	s_delay_alu instid0(VALU_DEP_2) | instskip(NEXT) | instid1(VALU_DEP_2)
	v_cmp_le_i32_e64 s10, 0x400, v96
	v_cmp_gt_i32_e64 s11, 0x800, v97
	s_or_b32 s9, s10, s9
	s_wait_alu 0xfffe
	s_and_b32 s9, s11, s9
	s_wait_alu 0xfffe
	s_xor_b32 s10, s9, -1
	s_wait_alu 0xfffe
	s_and_saveexec_b32 s11, s10
	s_wait_alu 0xfffe
	s_xor_b32 s10, exec_lo, s11
; %bb.139:                              ;   in Loop: Header=BB157_2 Depth=1
	v_lshlrev_b32_e32 v3, 3, v96
	ds_load_b64 v[21:22], v3 offset:8
; %bb.140:                              ;   in Loop: Header=BB157_2 Depth=1
	s_wait_alu 0xfffe
	s_or_saveexec_b32 s10, s10
	v_dual_mov_b32 v24, v20 :: v_dual_mov_b32 v23, v19
	s_wait_alu 0xfffe
	s_xor_b32 exec_lo, exec_lo, s10
	s_cbranch_execz .LBB157_142
; %bb.141:                              ;   in Loop: Header=BB157_2 Depth=1
	s_wait_dscnt 0x0
	v_dual_mov_b32 v22, v18 :: v_dual_lshlrev_b32 v3, 3, v97
	v_mov_b32_e32 v21, v17
	ds_load_b64 v[23:24], v3 offset:8
.LBB157_142:                            ;   in Loop: Header=BB157_2 Depth=1
	s_or_b32 exec_lo, exec_lo, s10
	v_add_nc_u32_e32 v3, 1, v96
	v_add_nc_u32_e32 v4, 1, v97
	s_wait_dscnt 0x0
	v_cmp_lt_i64_e64 s10, v[23:24], v[21:22]
                                        ; implicit-def: $vgpr100
	s_delay_alu instid0(VALU_DEP_3) | instskip(NEXT) | instid1(VALU_DEP_3)
	v_cndmask_b32_e64 v101, v3, v96, s9
	v_cndmask_b32_e64 v98, v97, v4, s9
                                        ; implicit-def: $vgpr3_vgpr4
	s_delay_alu instid0(VALU_DEP_2) | instskip(NEXT) | instid1(VALU_DEP_2)
	v_cmp_le_i32_e64 s11, 0x400, v101
	v_cmp_gt_i32_e64 s12, 0x800, v98
	s_or_b32 s10, s11, s10
	s_wait_alu 0xfffe
	s_and_b32 s10, s12, s10
	s_wait_alu 0xfffe
	s_xor_b32 s11, s10, -1
	s_wait_alu 0xfffe
	s_and_saveexec_b32 s12, s11
	s_wait_alu 0xfffe
	s_xor_b32 s11, exec_lo, s12
; %bb.143:                              ;   in Loop: Header=BB157_2 Depth=1
	v_lshlrev_b32_e32 v3, 3, v101
	v_add_nc_u32_e32 v100, 1, v101
	ds_load_b64 v[3:4], v3 offset:8
; %bb.144:                              ;   in Loop: Header=BB157_2 Depth=1
	s_wait_alu 0xfffe
	s_or_saveexec_b32 s11, s11
	v_dual_mov_b32 v99, v101 :: v_dual_mov_b32 v26, v24
	v_mov_b32_e32 v25, v23
	s_wait_alu 0xfffe
	s_xor_b32 exec_lo, exec_lo, s11
	s_cbranch_execz .LBB157_1
; %bb.145:                              ;   in Loop: Header=BB157_2 Depth=1
	s_wait_dscnt 0x0
	v_dual_mov_b32 v100, v101 :: v_dual_lshlrev_b32 v3, 3, v98
	ds_load_b64 v[25:26], v3 offset:8
	v_add_nc_u32_e32 v3, 1, v98
	s_delay_alu instid0(VALU_DEP_1)
	v_dual_mov_b32 v99, v98 :: v_dual_mov_b32 v98, v3
	v_dual_mov_b32 v3, v21 :: v_dual_mov_b32 v4, v22
	s_branch .LBB157_1
.LBB157_146:
	s_wait_dscnt 0x3
	v_add_co_u32 v9, vcc_lo, v15, v9
	s_delay_alu instid0(VALU_DEP_1)
	v_add_co_ci_u32_e64 v10, null, v16, v10, vcc_lo
	s_wait_dscnt 0x2
	v_add_co_u32 v7, vcc_lo, v13, v7
	s_wait_alu 0xfffd
	v_add_co_ci_u32_e64 v8, null, v14, v8, vcc_lo
	s_wait_dscnt 0x1
	v_add_co_u32 v5, vcc_lo, v11, v5
	v_lshlrev_b32_e32 v11, 3, v0
	s_wait_alu 0xfffd
	v_add_co_ci_u32_e64 v6, null, v12, v6, vcc_lo
	s_wait_dscnt 0x0
	v_add_co_u32 v0, vcc_lo, v3, v1
	s_wait_alu 0xfffd
	v_add_co_ci_u32_e64 v1, null, v4, v2, vcc_lo
	s_add_nc_u64 s[0:1], s[22:23], s[24:25]
	s_clause 0x3
	global_store_b64 v11, v[9:10], s[0:1]
	global_store_b64 v11, v[7:8], s[0:1] offset:4096
	global_store_b64 v11, v[5:6], s[0:1] offset:8192
	;; [unrolled: 1-line block ×3, first 2 shown]
	s_nop 0
	s_sendmsg sendmsg(MSG_DEALLOC_VGPRS)
	s_endpgm
	.section	.rodata,"a",@progbits
	.p2align	6, 0x0
	.amdhsa_kernel _Z17sort_pairs_kernelIxLj512ELj4EN10test_utils4lessELj10EEvPKT_PS2_T2_
		.amdhsa_group_segment_fixed_size 16392
		.amdhsa_private_segment_fixed_size 0
		.amdhsa_kernarg_size 20
		.amdhsa_user_sgpr_count 2
		.amdhsa_user_sgpr_dispatch_ptr 0
		.amdhsa_user_sgpr_queue_ptr 0
		.amdhsa_user_sgpr_kernarg_segment_ptr 1
		.amdhsa_user_sgpr_dispatch_id 0
		.amdhsa_user_sgpr_private_segment_size 0
		.amdhsa_wavefront_size32 1
		.amdhsa_uses_dynamic_stack 0
		.amdhsa_enable_private_segment 0
		.amdhsa_system_sgpr_workgroup_id_x 1
		.amdhsa_system_sgpr_workgroup_id_y 0
		.amdhsa_system_sgpr_workgroup_id_z 0
		.amdhsa_system_sgpr_workgroup_info 0
		.amdhsa_system_vgpr_workitem_id 0
		.amdhsa_next_free_vgpr 103
		.amdhsa_next_free_sgpr 26
		.amdhsa_reserve_vcc 1
		.amdhsa_float_round_mode_32 0
		.amdhsa_float_round_mode_16_64 0
		.amdhsa_float_denorm_mode_32 3
		.amdhsa_float_denorm_mode_16_64 3
		.amdhsa_fp16_overflow 0
		.amdhsa_workgroup_processor_mode 1
		.amdhsa_memory_ordered 1
		.amdhsa_forward_progress 1
		.amdhsa_inst_pref_size 83
		.amdhsa_round_robin_scheduling 0
		.amdhsa_exception_fp_ieee_invalid_op 0
		.amdhsa_exception_fp_denorm_src 0
		.amdhsa_exception_fp_ieee_div_zero 0
		.amdhsa_exception_fp_ieee_overflow 0
		.amdhsa_exception_fp_ieee_underflow 0
		.amdhsa_exception_fp_ieee_inexact 0
		.amdhsa_exception_int_div_zero 0
	.end_amdhsa_kernel
	.section	.text._Z17sort_pairs_kernelIxLj512ELj4EN10test_utils4lessELj10EEvPKT_PS2_T2_,"axG",@progbits,_Z17sort_pairs_kernelIxLj512ELj4EN10test_utils4lessELj10EEvPKT_PS2_T2_,comdat
.Lfunc_end157:
	.size	_Z17sort_pairs_kernelIxLj512ELj4EN10test_utils4lessELj10EEvPKT_PS2_T2_, .Lfunc_end157-_Z17sort_pairs_kernelIxLj512ELj4EN10test_utils4lessELj10EEvPKT_PS2_T2_
                                        ; -- End function
	.set _Z17sort_pairs_kernelIxLj512ELj4EN10test_utils4lessELj10EEvPKT_PS2_T2_.num_vgpr, 103
	.set _Z17sort_pairs_kernelIxLj512ELj4EN10test_utils4lessELj10EEvPKT_PS2_T2_.num_agpr, 0
	.set _Z17sort_pairs_kernelIxLj512ELj4EN10test_utils4lessELj10EEvPKT_PS2_T2_.numbered_sgpr, 26
	.set _Z17sort_pairs_kernelIxLj512ELj4EN10test_utils4lessELj10EEvPKT_PS2_T2_.num_named_barrier, 0
	.set _Z17sort_pairs_kernelIxLj512ELj4EN10test_utils4lessELj10EEvPKT_PS2_T2_.private_seg_size, 0
	.set _Z17sort_pairs_kernelIxLj512ELj4EN10test_utils4lessELj10EEvPKT_PS2_T2_.uses_vcc, 1
	.set _Z17sort_pairs_kernelIxLj512ELj4EN10test_utils4lessELj10EEvPKT_PS2_T2_.uses_flat_scratch, 0
	.set _Z17sort_pairs_kernelIxLj512ELj4EN10test_utils4lessELj10EEvPKT_PS2_T2_.has_dyn_sized_stack, 0
	.set _Z17sort_pairs_kernelIxLj512ELj4EN10test_utils4lessELj10EEvPKT_PS2_T2_.has_recursion, 0
	.set _Z17sort_pairs_kernelIxLj512ELj4EN10test_utils4lessELj10EEvPKT_PS2_T2_.has_indirect_call, 0
	.section	.AMDGPU.csdata,"",@progbits
; Kernel info:
; codeLenInByte = 10620
; TotalNumSgprs: 28
; NumVgprs: 103
; ScratchSize: 0
; MemoryBound: 0
; FloatMode: 240
; IeeeMode: 1
; LDSByteSize: 16392 bytes/workgroup (compile time only)
; SGPRBlocks: 0
; VGPRBlocks: 12
; NumSGPRsForWavesPerEU: 28
; NumVGPRsForWavesPerEU: 103
; Occupancy: 12
; WaveLimiterHint : 1
; COMPUTE_PGM_RSRC2:SCRATCH_EN: 0
; COMPUTE_PGM_RSRC2:USER_SGPR: 2
; COMPUTE_PGM_RSRC2:TRAP_HANDLER: 0
; COMPUTE_PGM_RSRC2:TGID_X_EN: 1
; COMPUTE_PGM_RSRC2:TGID_Y_EN: 0
; COMPUTE_PGM_RSRC2:TGID_Z_EN: 0
; COMPUTE_PGM_RSRC2:TIDIG_COMP_CNT: 0
	.section	.text._Z16sort_keys_kernelIxLj512ELj8EN10test_utils4lessELj10EEvPKT_PS2_T2_,"axG",@progbits,_Z16sort_keys_kernelIxLj512ELj8EN10test_utils4lessELj10EEvPKT_PS2_T2_,comdat
	.protected	_Z16sort_keys_kernelIxLj512ELj8EN10test_utils4lessELj10EEvPKT_PS2_T2_ ; -- Begin function _Z16sort_keys_kernelIxLj512ELj8EN10test_utils4lessELj10EEvPKT_PS2_T2_
	.globl	_Z16sort_keys_kernelIxLj512ELj8EN10test_utils4lessELj10EEvPKT_PS2_T2_
	.p2align	8
	.type	_Z16sort_keys_kernelIxLj512ELj8EN10test_utils4lessELj10EEvPKT_PS2_T2_,@function
_Z16sort_keys_kernelIxLj512ELj8EN10test_utils4lessELj10EEvPKT_PS2_T2_: ; @_Z16sort_keys_kernelIxLj512ELj8EN10test_utils4lessELj10EEvPKT_PS2_T2_
; %bb.0:
	s_load_b128 s[16:19], s[0:1], 0x0
	s_lshl_b32 s20, ttmp9, 12
	s_mov_b32 s21, 0
	v_lshlrev_b32_e32 v17, 3, v0
	s_lshl_b64 s[22:23], s[20:21], 3
	v_lshlrev_b32_e32 v45, 6, v0
	s_delay_alu instid0(VALU_DEP_2)
	v_and_b32_e32 v37, 0xff0, v17
	v_and_b32_e32 v18, 8, v17
	;; [unrolled: 1-line block ×5, first 2 shown]
	v_or_b32_e32 v38, 8, v37
	v_add_nc_u32_e32 v39, 16, v37
	v_or_b32_e32 v41, 16, v40
	v_add_nc_u32_e32 v42, 32, v40
	v_or_b32_e32 v48, 32, v46
	v_sub_nc_u32_e32 v21, v38, v37
	v_sub_nc_u32_e32 v19, v39, v38
	s_wait_kmcnt 0x0
	s_add_nc_u64 s[0:1], s[16:17], s[22:23]
	v_add_nc_u32_e32 v49, 64, v46
	s_clause 0x7
	global_load_b64 v[11:12], v17, s[0:1]
	global_load_b64 v[15:16], v17, s[0:1] offset:4096
	global_load_b64 v[5:6], v17, s[0:1] offset:8192
	;; [unrolled: 1-line block ×7, first 2 shown]
	v_sub_nc_u32_e32 v22, v41, v40
	v_sub_nc_u32_e32 v20, v18, v19
	v_cmp_ge_i32_e32 vcc_lo, v18, v19
	v_and_b32_e32 v19, 24, v17
	v_or_b32_e32 v55, 64, v53
	v_add_nc_u32_e32 v56, 0x80, v53
	v_sub_nc_u32_e32 v23, v48, v46
	v_cndmask_b32_e32 v43, 0, v20, vcc_lo
	v_sub_nc_u32_e32 v20, v42, v41
	v_min_i32_e32 v44, v18, v21
	v_min_i32_e32 v51, v19, v22
	v_and_b32_e32 v60, 0xf00, v17
	v_sub_nc_u32_e32 v24, v55, v53
	v_sub_nc_u32_e32 v21, v19, v20
	v_cmp_ge_i32_e64 s0, v19, v20
	v_and_b32_e32 v20, 56, v17
	v_or_b32_e32 v62, 0x80, v60
	v_add_nc_u32_e32 v63, 0x100, v60
	v_and_b32_e32 v67, 0xe00, v17
	v_cndmask_b32_e64 v50, 0, v21, s0
	v_sub_nc_u32_e32 v21, v49, v48
	v_min_i32_e32 v58, v20, v23
	v_sub_nc_u32_e32 v25, v62, v60
	v_or_b32_e32 v69, 0x100, v67
	v_add_nc_u32_e32 v70, 0x200, v67
	v_sub_nc_u32_e32 v22, v20, v21
	v_cmp_ge_i32_e64 s1, v20, v21
	v_and_b32_e32 v21, 0x78, v17
	v_and_b32_e32 v76, 0xc00, v17
	;; [unrolled: 1-line block ×3, first 2 shown]
	v_add_nc_u32_e32 v52, v38, v18
	s_wait_alu 0xf1ff
	v_cndmask_b32_e64 v57, 0, v22, s1
	v_sub_nc_u32_e32 v22, v56, v55
	v_min_i32_e32 v65, v21, v24
	v_or_b32_e32 v80, 0x200, v76
	v_add_nc_u32_e32 v81, 0x400, v76
	v_or_b32_e32 v83, 0x400, v78
	v_sub_nc_u32_e32 v23, v21, v22
	v_cmp_ge_i32_e64 s2, v21, v22
	v_and_b32_e32 v22, 0xf8, v17
	v_add_nc_u32_e32 v84, 0x800, v78
	v_add_nc_u32_e32 v59, v41, v19
	;; [unrolled: 1-line block ×3, first 2 shown]
	v_cndmask_b32_e64 v64, 0, v23, s2
	v_sub_nc_u32_e32 v23, v63, v62
	v_min_i32_e32 v72, v22, v25
	v_sub_nc_u32_e32 v25, v69, v67
	v_sub_nc_u32_e32 v27, v84, v83
	;; [unrolled: 1-line block ×4, first 2 shown]
	v_cmp_ge_i32_e64 s3, v22, v23
	v_and_b32_e32 v23, 0x1f8, v17
	v_sub_nc_u32_e32 v30, v83, v78
	v_lshlrev_b32_e32 v18, 3, v18
	v_lshlrev_b32_e32 v19, 3, v19
	s_wait_alu 0xf1ff
	v_cndmask_b32_e64 v71, 0, v24, s3
	v_sub_nc_u32_e32 v24, v70, v69
	v_min_i32_e32 v82, v23, v25
	v_sub_nc_u32_e32 v25, v81, v80
	v_lshlrev_b32_e32 v20, 3, v20
	v_add_nc_u32_e32 v73, v55, v21
	v_sub_nc_u32_e32 v26, v23, v24
	v_cmp_ge_i32_e64 s4, v23, v24
	v_and_b32_e32 v24, 0x3f8, v17
	v_subrev_nc_u32_e64 v93, 0x800, v17 clamp
	v_min_i32_e32 v94, 0x800, v17
	v_add_nc_u32_e32 v96, 0x800, v17
	v_cndmask_b32_e64 v79, 0, v26, s4
	v_and_b32_e32 v26, 0x7f8, v17
	v_sub_nc_u32_e32 v28, v24, v25
	v_cmp_ge_i32_e64 s5, v24, v25
	v_min_i32_e32 v87, v24, v29
	v_lshl_add_u32 v97, v38, 3, v18
	v_sub_nc_u32_e32 v31, v26, v27
	v_min_i32_e32 v89, v26, v30
	s_wait_alu 0xf1ff
	v_cndmask_b32_e64 v86, 0, v28, s5
	v_cmp_ge_i32_e64 s5, v26, v27
	v_lshl_add_u32 v98, v41, 3, v19
	v_lshl_add_u32 v99, v48, 3, v20
	v_lshlrev_b32_e32 v17, 3, v21
	v_lshlrev_b32_e32 v18, 3, v22
	s_wait_alu 0xf1ff
	v_cndmask_b32_e64 v88, 0, v31, s5
	v_lshlrev_b32_e32 v19, 3, v23
	v_lshlrev_b32_e32 v20, 3, v24
	;; [unrolled: 1-line block ×5, first 2 shown]
	v_cmp_lt_i32_e64 s0, v50, v51
	v_lshlrev_b32_e32 v61, 3, v46
	v_cmp_lt_i32_e64 s1, v57, v58
	v_lshlrev_b32_e32 v68, 3, v53
	;; [unrolled: 2-line block ×3, first 2 shown]
	v_cmp_lt_i32_e64 s3, v71, v72
	v_add_nc_u32_e32 v75, v62, v22
	v_lshlrev_b32_e32 v77, 3, v67
	v_cmp_lt_i32_e64 s4, v79, v82
	v_add_nc_u32_e32 v85, v69, v23
	v_lshlrev_b32_e32 v90, 3, v76
	;; [unrolled: 3-line block ×3, first 2 shown]
	v_cmp_lt_i32_e64 s6, v88, v89
	v_add_nc_u32_e32 v95, v83, v26
	v_cmp_lt_i32_e64 s7, v93, v94
	v_lshl_add_u32 v100, v55, 3, v17
	v_lshl_add_u32 v101, v62, 3, v18
	;; [unrolled: 1-line block ×5, first 2 shown]
	v_add_nc_u32_e32 v105, 0x4000, v45
	v_cmp_lt_i32_e32 vcc_lo, v43, v44
	s_branch .LBB158_2
.LBB158_1:                              ;   in Loop: Header=BB158_2 Depth=1
	s_or_b32 exec_lo, exec_lo, s15
	v_cndmask_b32_e64 v12, v2, v4, s8
	v_cndmask_b32_e64 v11, v1, v3, s8
	s_wait_dscnt 0x0
	v_cmp_lt_i64_e64 s8, v[35:36], v[33:34]
	v_cndmask_b32_e64 v16, v6, v8, s9
	v_cndmask_b32_e64 v15, v5, v7, s9
	v_cmp_le_i32_e64 s9, 0x800, v107
	v_cndmask_b32_e64 v6, v10, v14, s10
	v_cndmask_b32_e64 v5, v9, v13, s10
	v_cmp_gt_i32_e64 s10, 0x1000, v106
	v_cndmask_b32_e64 v10, v18, v20, s11
	s_or_b32 s8, s9, s8
	v_cndmask_b32_e64 v9, v17, v19, s11
	v_cndmask_b32_e64 v2, v22, v24, s12
	s_wait_alu 0xfffe
	s_and_b32 s8, s10, s8
	v_cndmask_b32_e64 v1, v21, v23, s12
	v_cndmask_b32_e64 v14, v26, v28, s13
	v_cndmask_b32_e64 v13, v25, v27, s13
	v_cndmask_b32_e64 v4, v30, v32, s14
	v_cndmask_b32_e64 v3, v29, v31, s14
	s_wait_alu 0xfffe
	v_cndmask_b32_e64 v8, v34, v36, s8
	v_cndmask_b32_e64 v7, v33, v35, s8
	s_add_co_i32 s21, s21, 1
	s_delay_alu instid0(SALU_CYCLE_1)
	s_cmp_eq_u32 s21, 10
	s_cbranch_scc1 .LBB158_290
.LBB158_2:                              ; =>This Loop Header: Depth=1
                                        ;     Child Loop BB158_4 Depth 2
                                        ;     Child Loop BB158_36 Depth 2
	;; [unrolled: 1-line block ×9, first 2 shown]
	s_wait_loadcnt 0x6
	v_cmp_lt_i64_e64 s8, v[15:16], v[11:12]
	v_cmp_gt_i64_e64 s9, v[15:16], v[11:12]
	s_wait_loadcnt 0x4
	v_cmp_lt_i64_e64 s10, v[9:10], v[5:6]
	s_wait_loadcnt 0x0
	s_barrier_signal -1
	s_barrier_wait -1
	s_wait_alu 0xf1ff
	v_cndmask_b32_e64 v18, v12, v16, s8
	v_cndmask_b32_e64 v17, v11, v15, s8
	;; [unrolled: 1-line block ×4, first 2 shown]
	v_cmp_gt_i64_e64 s8, v[9:10], v[5:6]
	v_cndmask_b32_e64 v12, v12, v16, s9
	v_cndmask_b32_e64 v11, v11, v15, s9
	;; [unrolled: 1-line block ×5, first 2 shown]
	v_cmp_lt_i64_e64 s9, v[13:14], v[1:2]
	v_cndmask_b32_e64 v22, v10, v6, s10
	s_wait_alu 0xf1ff
	v_cndmask_b32_e64 v6, v6, v10, s8
	v_cndmask_b32_e64 v5, v5, v9, s8
	v_cmp_gt_i64_e64 s8, v[13:14], v[1:2]
	v_cmp_lt_i64_e64 s10, v[7:8], v[3:4]
	v_cndmask_b32_e64 v10, v2, v14, s9
	v_cndmask_b32_e64 v9, v1, v13, s9
	;; [unrolled: 1-line block ×4, first 2 shown]
	s_wait_alu 0xf1ff
	v_cndmask_b32_e64 v2, v2, v14, s8
	v_cndmask_b32_e64 v1, v1, v13, s8
	v_cmp_gt_i64_e64 s8, v[7:8], v[3:4]
	v_cndmask_b32_e64 v14, v4, v8, s10
	v_cndmask_b32_e64 v13, v3, v7, s10
	;; [unrolled: 1-line block ×4, first 2 shown]
	v_cmp_lt_i64_e64 s9, v[15:16], v[11:12]
	s_wait_alu 0xf1ff
	v_cndmask_b32_e64 v4, v4, v8, s8
	v_cndmask_b32_e64 v3, v3, v7, s8
	v_cmp_gt_i64_e64 s8, v[15:16], v[11:12]
	v_cmp_lt_i64_e64 s10, v[9:10], v[5:6]
	global_inv scope:SCOPE_SE
	v_cndmask_b32_e64 v27, v16, v12, s9
	v_cndmask_b32_e64 v28, v15, v11, s9
	;; [unrolled: 1-line block ×3, first 2 shown]
	s_wait_alu 0xf1ff
	v_cndmask_b32_e64 v8, v12, v16, s8
	v_cndmask_b32_e64 v7, v11, v15, s8
	v_cmp_gt_i64_e64 s8, v[9:10], v[5:6]
	v_cndmask_b32_e64 v19, v19, v15, s9
	v_cndmask_b32_e64 v29, v11, v15, s9
	;; [unrolled: 1-line block ×3, first 2 shown]
	v_cmp_lt_i64_e64 s9, v[13:14], v[1:2]
	v_cndmask_b32_e64 v31, v10, v6, s10
	s_wait_alu 0xf1ff
	v_cndmask_b32_e64 v12, v6, v10, s8
	v_cndmask_b32_e64 v11, v5, v9, s8
	v_cmp_gt_i64_e64 s8, v[13:14], v[1:2]
	v_cndmask_b32_e64 v32, v9, v5, s10
	v_cndmask_b32_e64 v6, v6, v10, s10
	;; [unrolled: 1-line block ×9, first 2 shown]
	v_cmp_lt_i64_e64 s10, v[15:16], v[17:18]
	s_wait_alu 0xf1ff
	v_cndmask_b32_e64 v35, v1, v13, s8
	v_cndmask_b32_e64 v36, v2, v14, s8
	;; [unrolled: 1-line block ×4, first 2 shown]
	v_cmp_lt_i64_e64 s8, v[5:6], v[7:8]
	v_cmp_gt_i64_e64 s9, v[5:6], v[7:8]
	v_cndmask_b32_e64 v14, v18, v30, s10
	v_cndmask_b32_e64 v13, v17, v29, s10
	;; [unrolled: 1-line block ×6, first 2 shown]
	s_wait_alu 0xf1ff
	v_cndmask_b32_e64 v21, v21, v7, s8
	v_cndmask_b32_e64 v22, v22, v8, s8
	;; [unrolled: 1-line block ×5, first 2 shown]
	v_cmp_lt_i64_e64 s10, v[9:10], v[11:12]
	v_cndmask_b32_e64 v17, v7, v5, s9
	v_cndmask_b32_e64 v6, v8, v6, s8
	;; [unrolled: 1-line block ×3, first 2 shown]
	v_cmp_gt_i64_e64 s8, v[9:10], v[11:12]
	v_cmp_gt_i64_e64 s9, v[1:2], v[3:4]
	s_wait_alu 0xf1ff
	v_cndmask_b32_e64 v29, v32, v9, s10
	v_cndmask_b32_e64 v30, v31, v10, s10
	;; [unrolled: 1-line block ×11, first 2 shown]
	v_cmp_lt_i64_e64 s8, v[5:6], v[15:16]
	v_cndmask_b32_e64 v9, v3, v35, s9
	v_cndmask_b32_e64 v4, v36, v4, s9
	;; [unrolled: 1-line block ×3, first 2 shown]
	v_cmp_gt_i64_e64 s9, v[5:6], v[15:16]
	v_cndmask_b32_e64 v23, v23, v11, s10
	v_cndmask_b32_e64 v24, v24, v12, s10
	s_wait_alu 0xf1ff
	v_cndmask_b32_e64 v27, v27, v16, s8
	v_cndmask_b32_e64 v28, v28, v15, s8
	;; [unrolled: 1-line block ×8, first 2 shown]
	v_cmp_gt_i64_e64 s8, v[7:8], v[17:18]
	v_cmp_lt_i64_e64 s10, v[7:8], v[17:18]
	v_cmp_lt_i64_e64 s9, v[3:4], v[1:2]
	s_wait_alu 0xf1ff
	s_delay_alu instid0(VALU_DEP_3)
	v_cndmask_b32_e64 v16, v18, v8, s8
	v_cndmask_b32_e64 v15, v17, v7, s8
	v_cmp_gt_i64_e64 s8, v[3:4], v[1:2]
	v_cndmask_b32_e64 v30, v30, v18, s10
	v_cndmask_b32_e64 v29, v29, v17, s10
	;; [unrolled: 1-line block ×6, first 2 shown]
	s_wait_alu 0xf1ff
	v_cndmask_b32_e64 v18, v2, v4, s8
	v_cmp_lt_i64_e64 s10, v[5:6], v[13:14]
	v_cndmask_b32_e64 v17, v1, v3, s8
	v_cmp_gt_i64_e64 s8, v[5:6], v[13:14]
	v_cndmask_b32_e64 v32, v32, v2, s9
	v_cndmask_b32_e64 v31, v31, v1, s9
	;; [unrolled: 1-line block ×6, first 2 shown]
	s_wait_alu 0xf1ff
	v_cndmask_b32_e64 v4, v14, v6, s10
	v_cndmask_b32_e64 v3, v13, v5, s10
	;; [unrolled: 1-line block ×4, first 2 shown]
	v_cmp_gt_i64_e64 s8, v[7:8], v[11:12]
	v_cndmask_b32_e64 v19, v19, v13, s10
	v_cndmask_b32_e64 v20, v20, v14, s10
	v_cmp_lt_i64_e64 s9, v[7:8], v[11:12]
	v_cmp_lt_i64_e64 s10, v[1:2], v[15:16]
	s_wait_alu 0xf1ff
	v_cndmask_b32_e64 v14, v12, v8, s8
	v_cndmask_b32_e64 v13, v11, v7, s8
	v_cmp_gt_i64_e64 s8, v[1:2], v[15:16]
	v_cndmask_b32_e64 v21, v21, v11, s9
	v_cndmask_b32_e64 v22, v22, v12, s9
	;; [unrolled: 1-line block ×6, first 2 shown]
	s_wait_alu 0xf1ff
	v_cndmask_b32_e64 v12, v16, v2, s8
	v_cndmask_b32_e64 v11, v15, v1, s8
	v_cmp_gt_i64_e64 s8, v[9:10], v[17:18]
	v_cndmask_b32_e64 v23, v23, v15, s10
	v_cndmask_b32_e64 v24, v24, v16, s10
	;; [unrolled: 1-line block ×4, first 2 shown]
	v_cmp_lt_i64_e64 s9, v[9:10], v[17:18]
	v_cndmask_b32_e64 v2, v16, v2, s10
	v_cndmask_b32_e64 v1, v15, v1, s10
	s_wait_alu 0xf1ff
	v_cndmask_b32_e64 v16, v18, v10, s8
	v_cndmask_b32_e64 v15, v17, v9, s8
	v_cmp_gt_i64_e64 s8, v[7:8], v[5:6]
	v_cndmask_b32_e64 v25, v25, v17, s9
	v_cndmask_b32_e64 v26, v26, v18, s9
	;; [unrolled: 1-line block ×4, first 2 shown]
	v_cmp_lt_i64_e64 s10, v[7:8], v[5:6]
	v_cndmask_b32_e64 v10, v18, v10, s9
	v_cndmask_b32_e64 v9, v17, v9, s9
	s_wait_alu 0xf1ff
	v_cndmask_b32_e64 v18, v6, v8, s8
	v_cmp_lt_i64_e64 s9, v[1:2], v[13:14]
	v_cndmask_b32_e64 v17, v5, v7, s8
	v_cmp_gt_i64_e64 s8, v[1:2], v[13:14]
	v_cndmask_b32_e64 v27, v27, v6, s10
	v_cndmask_b32_e64 v28, v28, v5, s10
	v_cndmask_b32_e64 v20, v20, v8, s10
	v_cndmask_b32_e64 v19, v19, v7, s10
	v_cndmask_b32_e64 v33, v5, v7, s10
	v_cndmask_b32_e64 v34, v6, v8, s10
	s_wait_alu 0xf1ff
	v_cndmask_b32_e64 v30, v30, v14, s9
	v_cndmask_b32_e64 v29, v29, v13, s9
	;; [unrolled: 1-line block ×5, first 2 shown]
	v_cmp_lt_i64_e64 s10, v[9:10], v[11:12]
	v_cndmask_b32_e64 v5, v13, v1, s8
	v_cndmask_b32_e64 v2, v14, v2, s9
	v_cndmask_b32_e64 v1, v13, v1, s9
	v_cmp_gt_i64_e64 s8, v[9:10], v[11:12]
	v_cmp_lt_i64_e64 s9, v[7:8], v[3:4]
	s_wait_alu 0xf1ff
	v_cndmask_b32_e64 v24, v24, v10, s10
	v_cndmask_b32_e64 v23, v23, v9, s10
	;; [unrolled: 1-line block ×9, first 2 shown]
	v_cmp_lt_i64_e64 s8, v[1:2], v[17:18]
	v_cndmask_b32_e64 v20, v20, v4, s9
	v_cndmask_b32_e64 v4, v34, v4, s9
	;; [unrolled: 1-line block ×3, first 2 shown]
	v_cmp_gt_i64_e64 s9, v[1:2], v[17:18]
	v_cndmask_b32_e64 v32, v32, v12, s10
	v_cndmask_b32_e64 v31, v31, v11, s10
	s_wait_alu 0xf1ff
	v_cndmask_b32_e64 v21, v21, v17, s8
	v_cndmask_b32_e64 v22, v22, v18, s8
	;; [unrolled: 1-line block ×5, first 2 shown]
	v_cmp_lt_i64_e64 s10, v[7:8], v[5:6]
	v_cndmask_b32_e64 v13, v17, v1, s9
	v_cndmask_b32_e64 v2, v18, v2, s8
	v_cndmask_b32_e64 v1, v17, v1, s8
	v_cmp_gt_i64_e64 s8, v[7:8], v[5:6]
	v_cmp_gt_i64_e64 s9, v[11:12], v[15:16]
	s_wait_alu 0xf1ff
	v_cndmask_b32_e64 v17, v23, v5, s10
	v_cndmask_b32_e64 v18, v24, v6, s10
	;; [unrolled: 1-line block ×8, first 2 shown]
	v_cmp_lt_i64_e64 s8, v[1:2], v[3:4]
	v_cndmask_b32_e64 v8, v26, v36, s9
	v_cndmask_b32_e64 v7, v25, v35, s9
	v_cndmask_b32_e64 v25, v31, v15, s9
	v_cndmask_b32_e64 v26, v32, v16, s9
	v_cndmask_b32_e64 v16, v36, v16, s9
	v_cndmask_b32_e64 v15, v35, v15, s9
	v_cmp_lt_i64_e64 s9, v[5:6], v[13:14]
	s_wait_alu 0xf1ff
	v_cndmask_b32_e64 v4, v27, v4, s8
	v_cndmask_b32_e64 v3, v28, v3, s8
	;; [unrolled: 1-line block ×4, first 2 shown]
	v_cmp_lt_i64_e64 s8, v[15:16], v[11:12]
	v_cndmask_b32_e64 v6, v22, v6, s9
	v_cndmask_b32_e64 v5, v21, v5, s9
	;; [unrolled: 1-line block ×4, first 2 shown]
	s_wait_alu 0xf1ff
	v_cndmask_b32_e64 v16, v18, v16, s8
	v_cndmask_b32_e64 v15, v17, v15, s8
	;; [unrolled: 1-line block ×4, first 2 shown]
	ds_store_2addr_b64 v45, v[9:10], v[1:2] offset1:1
	ds_store_2addr_b64 v45, v[3:4], v[5:6] offset0:2 offset1:3
	ds_store_2addr_b64 v45, v[13:14], v[15:16] offset0:4 offset1:5
	ds_store_2addr_b64 v45, v[11:12], v[7:8] offset0:6 offset1:7
	v_mov_b32_e32 v5, v43
	s_wait_loadcnt_dscnt 0x0
	s_barrier_signal -1
	s_barrier_wait -1
	global_inv scope:SCOPE_SE
	s_and_saveexec_b32 s9, vcc_lo
	s_cbranch_execz .LBB158_6
; %bb.3:                                ;   in Loop: Header=BB158_2 Depth=1
	v_mov_b32_e32 v5, v43
	v_mov_b32_e32 v1, v44
	s_mov_b32 s10, 0
.LBB158_4:                              ;   Parent Loop BB158_2 Depth=1
                                        ; =>  This Inner Loop Header: Depth=2
	s_delay_alu instid0(VALU_DEP_1) | instskip(NEXT) | instid1(VALU_DEP_1)
	v_sub_nc_u32_e32 v2, v1, v5
	v_lshrrev_b32_e32 v2, 1, v2
	s_delay_alu instid0(VALU_DEP_1) | instskip(NEXT) | instid1(VALU_DEP_1)
	v_add_nc_u32_e32 v4, v2, v5
	v_not_b32_e32 v2, v4
	v_lshl_add_u32 v3, v4, 3, v47
	s_delay_alu instid0(VALU_DEP_2)
	v_lshl_add_u32 v6, v2, 3, v97
	ds_load_b64 v[2:3], v3
	ds_load_b64 v[6:7], v6
	s_wait_dscnt 0x0
	v_cmp_lt_i64_e64 s8, v[6:7], v[2:3]
	v_add_nc_u32_e32 v2, 1, v4
	s_wait_alu 0xf1ff
	s_delay_alu instid0(VALU_DEP_2) | instskip(NEXT) | instid1(VALU_DEP_2)
	v_cndmask_b32_e64 v1, v1, v4, s8
	v_cndmask_b32_e64 v5, v2, v5, s8
	s_delay_alu instid0(VALU_DEP_1)
	v_cmp_ge_i32_e64 s8, v5, v1
	s_wait_alu 0xfffe
	s_or_b32 s10, s8, s10
	s_wait_alu 0xfffe
	s_and_not1_b32 exec_lo, exec_lo, s10
	s_cbranch_execnz .LBB158_4
; %bb.5:                                ;   in Loop: Header=BB158_2 Depth=1
	s_or_b32 exec_lo, exec_lo, s10
.LBB158_6:                              ;   in Loop: Header=BB158_2 Depth=1
	s_wait_alu 0xfffe
	s_or_b32 exec_lo, exec_lo, s9
	v_sub_nc_u32_e32 v9, v52, v5
	v_lshl_add_u32 v7, v5, 3, v47
	v_add_nc_u32_e32 v10, v5, v37
                                        ; implicit-def: $vgpr5_vgpr6
	s_delay_alu instid0(VALU_DEP_3) | instskip(SKIP_1) | instid1(VALU_DEP_3)
	v_lshlrev_b32_e32 v11, 3, v9
	v_cmp_gt_i32_e64 s10, v39, v9
	v_cmp_le_i32_e64 s9, v38, v10
	ds_load_b64 v[1:2], v7
	ds_load_b64 v[3:4], v11
	s_wait_dscnt 0x0
	v_cmp_lt_i64_e64 s8, v[3:4], v[1:2]
	s_or_b32 s8, s9, s8
	s_wait_alu 0xfffe
	s_and_b32 s8, s10, s8
	s_wait_alu 0xfffe
	s_xor_b32 s9, s8, -1
	s_wait_alu 0xfffe
	s_and_saveexec_b32 s10, s9
	s_wait_alu 0xfffe
	s_xor_b32 s9, exec_lo, s10
; %bb.7:                                ;   in Loop: Header=BB158_2 Depth=1
	ds_load_b64 v[5:6], v7 offset:8
                                        ; implicit-def: $vgpr11
; %bb.8:                                ;   in Loop: Header=BB158_2 Depth=1
	s_wait_alu 0xfffe
	s_or_saveexec_b32 s9, s9
	v_dual_mov_b32 v8, v4 :: v_dual_mov_b32 v7, v3
	s_wait_alu 0xfffe
	s_xor_b32 exec_lo, exec_lo, s9
	s_cbranch_execz .LBB158_10
; %bb.9:                                ;   in Loop: Header=BB158_2 Depth=1
	ds_load_b64 v[7:8], v11 offset:8
	s_wait_dscnt 0x1
	v_dual_mov_b32 v6, v2 :: v_dual_mov_b32 v5, v1
.LBB158_10:                             ;   in Loop: Header=BB158_2 Depth=1
	s_or_b32 exec_lo, exec_lo, s9
	v_add_nc_u32_e32 v11, 1, v10
	v_add_nc_u32_e32 v12, 1, v9
	s_wait_dscnt 0x0
	v_cmp_lt_i64_e64 s9, v[7:8], v[5:6]
	s_delay_alu instid0(VALU_DEP_3) | instskip(NEXT) | instid1(VALU_DEP_3)
	v_cndmask_b32_e64 v14, v11, v10, s8
	v_cndmask_b32_e64 v13, v9, v12, s8
                                        ; implicit-def: $vgpr9_vgpr10
	s_delay_alu instid0(VALU_DEP_2) | instskip(NEXT) | instid1(VALU_DEP_2)
	v_cmp_ge_i32_e64 s10, v14, v38
	v_cmp_lt_i32_e64 s11, v13, v39
	s_or_b32 s9, s10, s9
	s_wait_alu 0xfffe
	s_and_b32 s9, s11, s9
	s_wait_alu 0xfffe
	s_xor_b32 s10, s9, -1
	s_wait_alu 0xfffe
	s_and_saveexec_b32 s11, s10
	s_wait_alu 0xfffe
	s_xor_b32 s10, exec_lo, s11
; %bb.11:                               ;   in Loop: Header=BB158_2 Depth=1
	v_lshlrev_b32_e32 v9, 3, v14
	ds_load_b64 v[9:10], v9 offset:8
; %bb.12:                               ;   in Loop: Header=BB158_2 Depth=1
	s_wait_alu 0xfffe
	s_or_saveexec_b32 s10, s10
	v_dual_mov_b32 v12, v8 :: v_dual_mov_b32 v11, v7
	s_wait_alu 0xfffe
	s_xor_b32 exec_lo, exec_lo, s10
	s_cbranch_execz .LBB158_14
; %bb.13:                               ;   in Loop: Header=BB158_2 Depth=1
	s_wait_dscnt 0x0
	v_lshlrev_b32_e32 v9, 3, v13
	ds_load_b64 v[11:12], v9 offset:8
	v_dual_mov_b32 v10, v6 :: v_dual_mov_b32 v9, v5
.LBB158_14:                             ;   in Loop: Header=BB158_2 Depth=1
	s_or_b32 exec_lo, exec_lo, s10
	v_add_nc_u32_e32 v15, 1, v14
	v_add_nc_u32_e32 v16, 1, v13
	s_wait_dscnt 0x0
	v_cmp_lt_i64_e64 s10, v[11:12], v[9:10]
	s_delay_alu instid0(VALU_DEP_3) | instskip(NEXT) | instid1(VALU_DEP_3)
	v_cndmask_b32_e64 v18, v15, v14, s9
	v_cndmask_b32_e64 v17, v13, v16, s9
                                        ; implicit-def: $vgpr13_vgpr14
	s_delay_alu instid0(VALU_DEP_2) | instskip(NEXT) | instid1(VALU_DEP_2)
	v_cmp_ge_i32_e64 s11, v18, v38
	v_cmp_lt_i32_e64 s12, v17, v39
	s_or_b32 s10, s11, s10
	s_wait_alu 0xfffe
	s_and_b32 s10, s12, s10
	s_wait_alu 0xfffe
	s_xor_b32 s11, s10, -1
	s_wait_alu 0xfffe
	s_and_saveexec_b32 s12, s11
	s_wait_alu 0xfffe
	s_xor_b32 s11, exec_lo, s12
; %bb.15:                               ;   in Loop: Header=BB158_2 Depth=1
	v_lshlrev_b32_e32 v13, 3, v18
	ds_load_b64 v[13:14], v13 offset:8
; %bb.16:                               ;   in Loop: Header=BB158_2 Depth=1
	s_wait_alu 0xfffe
	s_or_saveexec_b32 s11, s11
	v_dual_mov_b32 v16, v12 :: v_dual_mov_b32 v15, v11
	s_wait_alu 0xfffe
	s_xor_b32 exec_lo, exec_lo, s11
	s_cbranch_execz .LBB158_18
; %bb.17:                               ;   in Loop: Header=BB158_2 Depth=1
	s_wait_dscnt 0x0
	v_lshlrev_b32_e32 v13, 3, v17
	ds_load_b64 v[15:16], v13 offset:8
	v_dual_mov_b32 v14, v10 :: v_dual_mov_b32 v13, v9
.LBB158_18:                             ;   in Loop: Header=BB158_2 Depth=1
	s_or_b32 exec_lo, exec_lo, s11
	v_add_nc_u32_e32 v19, 1, v18
	v_add_nc_u32_e32 v20, 1, v17
	s_wait_dscnt 0x0
	v_cmp_lt_i64_e64 s11, v[15:16], v[13:14]
	s_delay_alu instid0(VALU_DEP_3) | instskip(NEXT) | instid1(VALU_DEP_3)
	v_cndmask_b32_e64 v22, v19, v18, s10
	v_cndmask_b32_e64 v21, v17, v20, s10
                                        ; implicit-def: $vgpr17_vgpr18
	s_delay_alu instid0(VALU_DEP_2) | instskip(NEXT) | instid1(VALU_DEP_2)
	v_cmp_ge_i32_e64 s12, v22, v38
	v_cmp_lt_i32_e64 s13, v21, v39
	s_or_b32 s11, s12, s11
	s_wait_alu 0xfffe
	s_and_b32 s11, s13, s11
	s_wait_alu 0xfffe
	s_xor_b32 s12, s11, -1
	s_wait_alu 0xfffe
	s_and_saveexec_b32 s13, s12
	s_wait_alu 0xfffe
	s_xor_b32 s12, exec_lo, s13
; %bb.19:                               ;   in Loop: Header=BB158_2 Depth=1
	v_lshlrev_b32_e32 v17, 3, v22
	ds_load_b64 v[17:18], v17 offset:8
; %bb.20:                               ;   in Loop: Header=BB158_2 Depth=1
	s_wait_alu 0xfffe
	s_or_saveexec_b32 s12, s12
	v_dual_mov_b32 v20, v16 :: v_dual_mov_b32 v19, v15
	s_wait_alu 0xfffe
	s_xor_b32 exec_lo, exec_lo, s12
	s_cbranch_execz .LBB158_22
; %bb.21:                               ;   in Loop: Header=BB158_2 Depth=1
	s_wait_dscnt 0x0
	v_lshlrev_b32_e32 v17, 3, v21
	ds_load_b64 v[19:20], v17 offset:8
	v_dual_mov_b32 v18, v14 :: v_dual_mov_b32 v17, v13
.LBB158_22:                             ;   in Loop: Header=BB158_2 Depth=1
	s_or_b32 exec_lo, exec_lo, s12
	v_add_nc_u32_e32 v23, 1, v22
	v_add_nc_u32_e32 v24, 1, v21
	s_wait_dscnt 0x0
	v_cmp_lt_i64_e64 s12, v[19:20], v[17:18]
	s_delay_alu instid0(VALU_DEP_3) | instskip(NEXT) | instid1(VALU_DEP_3)
	v_cndmask_b32_e64 v26, v23, v22, s11
	v_cndmask_b32_e64 v25, v21, v24, s11
                                        ; implicit-def: $vgpr21_vgpr22
	s_delay_alu instid0(VALU_DEP_2) | instskip(NEXT) | instid1(VALU_DEP_2)
	v_cmp_ge_i32_e64 s13, v26, v38
	v_cmp_lt_i32_e64 s14, v25, v39
	s_or_b32 s12, s13, s12
	s_wait_alu 0xfffe
	s_and_b32 s12, s14, s12
	s_wait_alu 0xfffe
	s_xor_b32 s13, s12, -1
	s_wait_alu 0xfffe
	s_and_saveexec_b32 s14, s13
	s_wait_alu 0xfffe
	s_xor_b32 s13, exec_lo, s14
; %bb.23:                               ;   in Loop: Header=BB158_2 Depth=1
	v_lshlrev_b32_e32 v21, 3, v26
	ds_load_b64 v[21:22], v21 offset:8
; %bb.24:                               ;   in Loop: Header=BB158_2 Depth=1
	s_wait_alu 0xfffe
	s_or_saveexec_b32 s13, s13
	v_dual_mov_b32 v24, v20 :: v_dual_mov_b32 v23, v19
	s_wait_alu 0xfffe
	s_xor_b32 exec_lo, exec_lo, s13
	s_cbranch_execz .LBB158_26
; %bb.25:                               ;   in Loop: Header=BB158_2 Depth=1
	s_wait_dscnt 0x0
	v_lshlrev_b32_e32 v21, 3, v25
	ds_load_b64 v[23:24], v21 offset:8
	v_dual_mov_b32 v22, v18 :: v_dual_mov_b32 v21, v17
.LBB158_26:                             ;   in Loop: Header=BB158_2 Depth=1
	s_or_b32 exec_lo, exec_lo, s13
	v_add_nc_u32_e32 v27, 1, v26
	v_add_nc_u32_e32 v28, 1, v25
	s_wait_dscnt 0x0
	v_cmp_lt_i64_e64 s13, v[23:24], v[21:22]
	s_delay_alu instid0(VALU_DEP_3) | instskip(NEXT) | instid1(VALU_DEP_3)
	v_cndmask_b32_e64 v30, v27, v26, s12
	v_cndmask_b32_e64 v29, v25, v28, s12
                                        ; implicit-def: $vgpr25_vgpr26
	s_delay_alu instid0(VALU_DEP_2) | instskip(NEXT) | instid1(VALU_DEP_2)
	v_cmp_ge_i32_e64 s14, v30, v38
	v_cmp_lt_i32_e64 s15, v29, v39
	s_or_b32 s13, s14, s13
	s_wait_alu 0xfffe
	s_and_b32 s13, s15, s13
	s_wait_alu 0xfffe
	s_xor_b32 s14, s13, -1
	s_wait_alu 0xfffe
	s_and_saveexec_b32 s15, s14
	s_wait_alu 0xfffe
	s_xor_b32 s14, exec_lo, s15
; %bb.27:                               ;   in Loop: Header=BB158_2 Depth=1
	v_lshlrev_b32_e32 v25, 3, v30
	ds_load_b64 v[25:26], v25 offset:8
; %bb.28:                               ;   in Loop: Header=BB158_2 Depth=1
	s_wait_alu 0xfffe
	s_or_saveexec_b32 s14, s14
	v_dual_mov_b32 v28, v24 :: v_dual_mov_b32 v27, v23
	s_wait_alu 0xfffe
	s_xor_b32 exec_lo, exec_lo, s14
	s_cbranch_execz .LBB158_30
; %bb.29:                               ;   in Loop: Header=BB158_2 Depth=1
	s_wait_dscnt 0x0
	v_lshlrev_b32_e32 v25, 3, v29
	ds_load_b64 v[27:28], v25 offset:8
	v_dual_mov_b32 v26, v22 :: v_dual_mov_b32 v25, v21
.LBB158_30:                             ;   in Loop: Header=BB158_2 Depth=1
	s_or_b32 exec_lo, exec_lo, s14
	v_add_nc_u32_e32 v31, 1, v30
	v_add_nc_u32_e32 v32, 1, v29
	s_wait_dscnt 0x0
	v_cmp_lt_i64_e64 s14, v[27:28], v[25:26]
	s_delay_alu instid0(VALU_DEP_3) | instskip(NEXT) | instid1(VALU_DEP_3)
	v_cndmask_b32_e64 v33, v31, v30, s13
	v_cndmask_b32_e64 v34, v29, v32, s13
                                        ; implicit-def: $vgpr29_vgpr30
	s_delay_alu instid0(VALU_DEP_2) | instskip(NEXT) | instid1(VALU_DEP_2)
	v_cmp_ge_i32_e64 s15, v33, v38
	v_cmp_lt_i32_e64 s16, v34, v39
	s_or_b32 s14, s15, s14
	s_wait_alu 0xfffe
	s_and_b32 s14, s16, s14
	s_wait_alu 0xfffe
	s_xor_b32 s15, s14, -1
	s_wait_alu 0xfffe
	s_and_saveexec_b32 s16, s15
	s_delay_alu instid0(SALU_CYCLE_1)
	s_xor_b32 s15, exec_lo, s16
; %bb.31:                               ;   in Loop: Header=BB158_2 Depth=1
	v_lshlrev_b32_e32 v29, 3, v33
	ds_load_b64 v[29:30], v29 offset:8
; %bb.32:                               ;   in Loop: Header=BB158_2 Depth=1
	s_wait_alu 0xfffe
	s_or_saveexec_b32 s15, s15
	v_dual_mov_b32 v32, v28 :: v_dual_mov_b32 v31, v27
	s_wait_alu 0xfffe
	s_xor_b32 exec_lo, exec_lo, s15
	s_cbranch_execz .LBB158_34
; %bb.33:                               ;   in Loop: Header=BB158_2 Depth=1
	s_wait_dscnt 0x0
	v_lshlrev_b32_e32 v29, 3, v34
	ds_load_b64 v[31:32], v29 offset:8
	v_dual_mov_b32 v30, v26 :: v_dual_mov_b32 v29, v25
.LBB158_34:                             ;   in Loop: Header=BB158_2 Depth=1
	s_or_b32 exec_lo, exec_lo, s15
	v_add_nc_u32_e32 v36, 1, v33
	v_add_nc_u32_e32 v35, 1, v34
	v_cndmask_b32_e64 v26, v26, v28, s14
	v_cndmask_b32_e64 v25, v25, v27, s14
	v_cndmask_b32_e64 v10, v10, v12, s10
	v_cndmask_b32_e64 v28, v36, v33, s14
	v_cndmask_b32_e64 v27, v34, v35, s14
	v_cndmask_b32_e64 v9, v9, v11, s10
	s_wait_dscnt 0x0
	v_cmp_lt_i64_e64 s10, v[31:32], v[29:30]
	v_cndmask_b32_e64 v14, v14, v16, s11
	v_cndmask_b32_e64 v13, v13, v15, s11
	v_cmp_ge_i32_e64 s11, v28, v38
	v_cndmask_b32_e64 v18, v18, v20, s12
	v_cndmask_b32_e64 v17, v17, v19, s12
	v_cmp_lt_i32_e64 s12, v27, v39
	v_cndmask_b32_e64 v6, v6, v8, s9
	v_cndmask_b32_e64 v5, v5, v7, s9
	s_or_b32 s9, s11, s10
	v_cndmask_b32_e64 v2, v2, v4, s8
	v_cndmask_b32_e64 v1, v1, v3, s8
	s_wait_alu 0xfffe
	s_and_b32 s8, s12, s9
	v_cndmask_b32_e64 v22, v22, v24, s13
	v_cndmask_b32_e64 v21, v21, v23, s13
	s_wait_alu 0xfffe
	v_cndmask_b32_e64 v4, v30, v32, s8
	v_cndmask_b32_e64 v3, v29, v31, s8
	s_wait_loadcnt 0x0
	s_barrier_signal -1
	s_barrier_wait -1
	global_inv scope:SCOPE_SE
	ds_store_2addr_b64 v45, v[1:2], v[5:6] offset1:1
	ds_store_2addr_b64 v45, v[9:10], v[13:14] offset0:2 offset1:3
	ds_store_2addr_b64 v45, v[17:18], v[21:22] offset0:4 offset1:5
	;; [unrolled: 1-line block ×3, first 2 shown]
	v_mov_b32_e32 v5, v50
	s_wait_loadcnt_dscnt 0x0
	s_barrier_signal -1
	s_barrier_wait -1
	global_inv scope:SCOPE_SE
	s_and_saveexec_b32 s9, s0
	s_cbranch_execz .LBB158_38
; %bb.35:                               ;   in Loop: Header=BB158_2 Depth=1
	v_mov_b32_e32 v5, v50
	v_mov_b32_e32 v1, v51
	s_mov_b32 s10, 0
.LBB158_36:                             ;   Parent Loop BB158_2 Depth=1
                                        ; =>  This Inner Loop Header: Depth=2
	s_delay_alu instid0(VALU_DEP_1) | instskip(NEXT) | instid1(VALU_DEP_1)
	v_sub_nc_u32_e32 v2, v1, v5
	v_lshrrev_b32_e32 v2, 1, v2
	s_delay_alu instid0(VALU_DEP_1) | instskip(NEXT) | instid1(VALU_DEP_1)
	v_add_nc_u32_e32 v4, v2, v5
	v_not_b32_e32 v2, v4
	v_lshl_add_u32 v3, v4, 3, v54
	s_delay_alu instid0(VALU_DEP_2)
	v_lshl_add_u32 v6, v2, 3, v98
	ds_load_b64 v[2:3], v3
	ds_load_b64 v[6:7], v6
	s_wait_dscnt 0x0
	v_cmp_lt_i64_e64 s8, v[6:7], v[2:3]
	v_add_nc_u32_e32 v2, 1, v4
	s_wait_alu 0xf1ff
	s_delay_alu instid0(VALU_DEP_2) | instskip(NEXT) | instid1(VALU_DEP_2)
	v_cndmask_b32_e64 v1, v1, v4, s8
	v_cndmask_b32_e64 v5, v2, v5, s8
	s_delay_alu instid0(VALU_DEP_1)
	v_cmp_ge_i32_e64 s8, v5, v1
	s_wait_alu 0xfffe
	s_or_b32 s10, s8, s10
	s_wait_alu 0xfffe
	s_and_not1_b32 exec_lo, exec_lo, s10
	s_cbranch_execnz .LBB158_36
; %bb.37:                               ;   in Loop: Header=BB158_2 Depth=1
	s_or_b32 exec_lo, exec_lo, s10
.LBB158_38:                             ;   in Loop: Header=BB158_2 Depth=1
	s_wait_alu 0xfffe
	s_or_b32 exec_lo, exec_lo, s9
	v_sub_nc_u32_e32 v9, v59, v5
	v_lshl_add_u32 v7, v5, 3, v54
	v_add_nc_u32_e32 v10, v5, v40
                                        ; implicit-def: $vgpr5_vgpr6
	s_delay_alu instid0(VALU_DEP_3) | instskip(SKIP_1) | instid1(VALU_DEP_3)
	v_lshlrev_b32_e32 v11, 3, v9
	v_cmp_gt_i32_e64 s10, v42, v9
	v_cmp_le_i32_e64 s9, v41, v10
	ds_load_b64 v[1:2], v7
	ds_load_b64 v[3:4], v11
	s_wait_dscnt 0x0
	v_cmp_lt_i64_e64 s8, v[3:4], v[1:2]
	s_or_b32 s8, s9, s8
	s_wait_alu 0xfffe
	s_and_b32 s8, s10, s8
	s_wait_alu 0xfffe
	s_xor_b32 s9, s8, -1
	s_wait_alu 0xfffe
	s_and_saveexec_b32 s10, s9
	s_wait_alu 0xfffe
	s_xor_b32 s9, exec_lo, s10
; %bb.39:                               ;   in Loop: Header=BB158_2 Depth=1
	ds_load_b64 v[5:6], v7 offset:8
                                        ; implicit-def: $vgpr11
; %bb.40:                               ;   in Loop: Header=BB158_2 Depth=1
	s_wait_alu 0xfffe
	s_or_saveexec_b32 s9, s9
	v_dual_mov_b32 v8, v4 :: v_dual_mov_b32 v7, v3
	s_wait_alu 0xfffe
	s_xor_b32 exec_lo, exec_lo, s9
	s_cbranch_execz .LBB158_42
; %bb.41:                               ;   in Loop: Header=BB158_2 Depth=1
	ds_load_b64 v[7:8], v11 offset:8
	s_wait_dscnt 0x1
	v_dual_mov_b32 v6, v2 :: v_dual_mov_b32 v5, v1
.LBB158_42:                             ;   in Loop: Header=BB158_2 Depth=1
	s_or_b32 exec_lo, exec_lo, s9
	v_add_nc_u32_e32 v11, 1, v10
	v_add_nc_u32_e32 v12, 1, v9
	s_wait_dscnt 0x0
	v_cmp_lt_i64_e64 s9, v[7:8], v[5:6]
	s_delay_alu instid0(VALU_DEP_3) | instskip(NEXT) | instid1(VALU_DEP_3)
	v_cndmask_b32_e64 v14, v11, v10, s8
	v_cndmask_b32_e64 v13, v9, v12, s8
                                        ; implicit-def: $vgpr9_vgpr10
	s_delay_alu instid0(VALU_DEP_2) | instskip(NEXT) | instid1(VALU_DEP_2)
	v_cmp_ge_i32_e64 s10, v14, v41
	v_cmp_lt_i32_e64 s11, v13, v42
	s_or_b32 s9, s10, s9
	s_wait_alu 0xfffe
	s_and_b32 s9, s11, s9
	s_wait_alu 0xfffe
	s_xor_b32 s10, s9, -1
	s_wait_alu 0xfffe
	s_and_saveexec_b32 s11, s10
	s_wait_alu 0xfffe
	s_xor_b32 s10, exec_lo, s11
; %bb.43:                               ;   in Loop: Header=BB158_2 Depth=1
	v_lshlrev_b32_e32 v9, 3, v14
	ds_load_b64 v[9:10], v9 offset:8
; %bb.44:                               ;   in Loop: Header=BB158_2 Depth=1
	s_wait_alu 0xfffe
	s_or_saveexec_b32 s10, s10
	v_dual_mov_b32 v12, v8 :: v_dual_mov_b32 v11, v7
	s_wait_alu 0xfffe
	s_xor_b32 exec_lo, exec_lo, s10
	s_cbranch_execz .LBB158_46
; %bb.45:                               ;   in Loop: Header=BB158_2 Depth=1
	s_wait_dscnt 0x0
	v_lshlrev_b32_e32 v9, 3, v13
	ds_load_b64 v[11:12], v9 offset:8
	v_dual_mov_b32 v10, v6 :: v_dual_mov_b32 v9, v5
.LBB158_46:                             ;   in Loop: Header=BB158_2 Depth=1
	s_or_b32 exec_lo, exec_lo, s10
	v_add_nc_u32_e32 v15, 1, v14
	v_add_nc_u32_e32 v16, 1, v13
	s_wait_dscnt 0x0
	v_cmp_lt_i64_e64 s10, v[11:12], v[9:10]
	s_delay_alu instid0(VALU_DEP_3) | instskip(NEXT) | instid1(VALU_DEP_3)
	v_cndmask_b32_e64 v18, v15, v14, s9
	v_cndmask_b32_e64 v17, v13, v16, s9
                                        ; implicit-def: $vgpr13_vgpr14
	s_delay_alu instid0(VALU_DEP_2) | instskip(NEXT) | instid1(VALU_DEP_2)
	v_cmp_ge_i32_e64 s11, v18, v41
	v_cmp_lt_i32_e64 s12, v17, v42
	s_or_b32 s10, s11, s10
	s_wait_alu 0xfffe
	s_and_b32 s10, s12, s10
	s_wait_alu 0xfffe
	s_xor_b32 s11, s10, -1
	s_wait_alu 0xfffe
	s_and_saveexec_b32 s12, s11
	s_wait_alu 0xfffe
	s_xor_b32 s11, exec_lo, s12
; %bb.47:                               ;   in Loop: Header=BB158_2 Depth=1
	v_lshlrev_b32_e32 v13, 3, v18
	ds_load_b64 v[13:14], v13 offset:8
; %bb.48:                               ;   in Loop: Header=BB158_2 Depth=1
	s_wait_alu 0xfffe
	s_or_saveexec_b32 s11, s11
	v_dual_mov_b32 v16, v12 :: v_dual_mov_b32 v15, v11
	s_wait_alu 0xfffe
	s_xor_b32 exec_lo, exec_lo, s11
	s_cbranch_execz .LBB158_50
; %bb.49:                               ;   in Loop: Header=BB158_2 Depth=1
	s_wait_dscnt 0x0
	v_lshlrev_b32_e32 v13, 3, v17
	ds_load_b64 v[15:16], v13 offset:8
	v_dual_mov_b32 v14, v10 :: v_dual_mov_b32 v13, v9
.LBB158_50:                             ;   in Loop: Header=BB158_2 Depth=1
	s_or_b32 exec_lo, exec_lo, s11
	v_add_nc_u32_e32 v19, 1, v18
	v_add_nc_u32_e32 v20, 1, v17
	s_wait_dscnt 0x0
	v_cmp_lt_i64_e64 s11, v[15:16], v[13:14]
	s_delay_alu instid0(VALU_DEP_3) | instskip(NEXT) | instid1(VALU_DEP_3)
	v_cndmask_b32_e64 v22, v19, v18, s10
	v_cndmask_b32_e64 v21, v17, v20, s10
                                        ; implicit-def: $vgpr17_vgpr18
	s_delay_alu instid0(VALU_DEP_2) | instskip(NEXT) | instid1(VALU_DEP_2)
	v_cmp_ge_i32_e64 s12, v22, v41
	v_cmp_lt_i32_e64 s13, v21, v42
	s_or_b32 s11, s12, s11
	s_wait_alu 0xfffe
	s_and_b32 s11, s13, s11
	s_wait_alu 0xfffe
	s_xor_b32 s12, s11, -1
	s_wait_alu 0xfffe
	s_and_saveexec_b32 s13, s12
	s_wait_alu 0xfffe
	s_xor_b32 s12, exec_lo, s13
; %bb.51:                               ;   in Loop: Header=BB158_2 Depth=1
	v_lshlrev_b32_e32 v17, 3, v22
	ds_load_b64 v[17:18], v17 offset:8
; %bb.52:                               ;   in Loop: Header=BB158_2 Depth=1
	s_wait_alu 0xfffe
	s_or_saveexec_b32 s12, s12
	v_dual_mov_b32 v20, v16 :: v_dual_mov_b32 v19, v15
	s_wait_alu 0xfffe
	s_xor_b32 exec_lo, exec_lo, s12
	s_cbranch_execz .LBB158_54
; %bb.53:                               ;   in Loop: Header=BB158_2 Depth=1
	s_wait_dscnt 0x0
	v_lshlrev_b32_e32 v17, 3, v21
	ds_load_b64 v[19:20], v17 offset:8
	v_dual_mov_b32 v18, v14 :: v_dual_mov_b32 v17, v13
.LBB158_54:                             ;   in Loop: Header=BB158_2 Depth=1
	s_or_b32 exec_lo, exec_lo, s12
	v_add_nc_u32_e32 v23, 1, v22
	v_add_nc_u32_e32 v24, 1, v21
	s_wait_dscnt 0x0
	v_cmp_lt_i64_e64 s12, v[19:20], v[17:18]
	s_delay_alu instid0(VALU_DEP_3) | instskip(NEXT) | instid1(VALU_DEP_3)
	v_cndmask_b32_e64 v26, v23, v22, s11
	v_cndmask_b32_e64 v25, v21, v24, s11
                                        ; implicit-def: $vgpr21_vgpr22
	s_delay_alu instid0(VALU_DEP_2) | instskip(NEXT) | instid1(VALU_DEP_2)
	v_cmp_ge_i32_e64 s13, v26, v41
	v_cmp_lt_i32_e64 s14, v25, v42
	s_or_b32 s12, s13, s12
	s_wait_alu 0xfffe
	s_and_b32 s12, s14, s12
	s_wait_alu 0xfffe
	s_xor_b32 s13, s12, -1
	s_wait_alu 0xfffe
	s_and_saveexec_b32 s14, s13
	s_wait_alu 0xfffe
	s_xor_b32 s13, exec_lo, s14
; %bb.55:                               ;   in Loop: Header=BB158_2 Depth=1
	v_lshlrev_b32_e32 v21, 3, v26
	ds_load_b64 v[21:22], v21 offset:8
; %bb.56:                               ;   in Loop: Header=BB158_2 Depth=1
	s_wait_alu 0xfffe
	s_or_saveexec_b32 s13, s13
	v_dual_mov_b32 v24, v20 :: v_dual_mov_b32 v23, v19
	s_wait_alu 0xfffe
	s_xor_b32 exec_lo, exec_lo, s13
	s_cbranch_execz .LBB158_58
; %bb.57:                               ;   in Loop: Header=BB158_2 Depth=1
	s_wait_dscnt 0x0
	v_lshlrev_b32_e32 v21, 3, v25
	ds_load_b64 v[23:24], v21 offset:8
	v_dual_mov_b32 v22, v18 :: v_dual_mov_b32 v21, v17
.LBB158_58:                             ;   in Loop: Header=BB158_2 Depth=1
	s_or_b32 exec_lo, exec_lo, s13
	v_add_nc_u32_e32 v27, 1, v26
	v_add_nc_u32_e32 v28, 1, v25
	s_wait_dscnt 0x0
	v_cmp_lt_i64_e64 s13, v[23:24], v[21:22]
	s_delay_alu instid0(VALU_DEP_3) | instskip(NEXT) | instid1(VALU_DEP_3)
	v_cndmask_b32_e64 v30, v27, v26, s12
	v_cndmask_b32_e64 v29, v25, v28, s12
                                        ; implicit-def: $vgpr25_vgpr26
	s_delay_alu instid0(VALU_DEP_2) | instskip(NEXT) | instid1(VALU_DEP_2)
	v_cmp_ge_i32_e64 s14, v30, v41
	v_cmp_lt_i32_e64 s15, v29, v42
	s_or_b32 s13, s14, s13
	s_wait_alu 0xfffe
	s_and_b32 s13, s15, s13
	s_wait_alu 0xfffe
	s_xor_b32 s14, s13, -1
	s_wait_alu 0xfffe
	s_and_saveexec_b32 s15, s14
	s_wait_alu 0xfffe
	s_xor_b32 s14, exec_lo, s15
; %bb.59:                               ;   in Loop: Header=BB158_2 Depth=1
	v_lshlrev_b32_e32 v25, 3, v30
	ds_load_b64 v[25:26], v25 offset:8
; %bb.60:                               ;   in Loop: Header=BB158_2 Depth=1
	s_wait_alu 0xfffe
	s_or_saveexec_b32 s14, s14
	v_dual_mov_b32 v28, v24 :: v_dual_mov_b32 v27, v23
	s_wait_alu 0xfffe
	s_xor_b32 exec_lo, exec_lo, s14
	s_cbranch_execz .LBB158_62
; %bb.61:                               ;   in Loop: Header=BB158_2 Depth=1
	s_wait_dscnt 0x0
	v_lshlrev_b32_e32 v25, 3, v29
	ds_load_b64 v[27:28], v25 offset:8
	v_dual_mov_b32 v26, v22 :: v_dual_mov_b32 v25, v21
.LBB158_62:                             ;   in Loop: Header=BB158_2 Depth=1
	s_or_b32 exec_lo, exec_lo, s14
	v_add_nc_u32_e32 v31, 1, v30
	v_add_nc_u32_e32 v32, 1, v29
	s_wait_dscnt 0x0
	v_cmp_lt_i64_e64 s14, v[27:28], v[25:26]
	s_delay_alu instid0(VALU_DEP_3) | instskip(NEXT) | instid1(VALU_DEP_3)
	v_cndmask_b32_e64 v33, v31, v30, s13
	v_cndmask_b32_e64 v34, v29, v32, s13
                                        ; implicit-def: $vgpr29_vgpr30
	s_delay_alu instid0(VALU_DEP_2) | instskip(NEXT) | instid1(VALU_DEP_2)
	v_cmp_ge_i32_e64 s15, v33, v41
	v_cmp_lt_i32_e64 s16, v34, v42
	s_or_b32 s14, s15, s14
	s_wait_alu 0xfffe
	s_and_b32 s14, s16, s14
	s_wait_alu 0xfffe
	s_xor_b32 s15, s14, -1
	s_wait_alu 0xfffe
	s_and_saveexec_b32 s16, s15
	s_delay_alu instid0(SALU_CYCLE_1)
	s_xor_b32 s15, exec_lo, s16
; %bb.63:                               ;   in Loop: Header=BB158_2 Depth=1
	v_lshlrev_b32_e32 v29, 3, v33
	ds_load_b64 v[29:30], v29 offset:8
; %bb.64:                               ;   in Loop: Header=BB158_2 Depth=1
	s_wait_alu 0xfffe
	s_or_saveexec_b32 s15, s15
	v_dual_mov_b32 v32, v28 :: v_dual_mov_b32 v31, v27
	s_wait_alu 0xfffe
	s_xor_b32 exec_lo, exec_lo, s15
	s_cbranch_execz .LBB158_66
; %bb.65:                               ;   in Loop: Header=BB158_2 Depth=1
	s_wait_dscnt 0x0
	v_lshlrev_b32_e32 v29, 3, v34
	ds_load_b64 v[31:32], v29 offset:8
	v_dual_mov_b32 v30, v26 :: v_dual_mov_b32 v29, v25
.LBB158_66:                             ;   in Loop: Header=BB158_2 Depth=1
	s_or_b32 exec_lo, exec_lo, s15
	v_add_nc_u32_e32 v36, 1, v33
	v_add_nc_u32_e32 v35, 1, v34
	v_cndmask_b32_e64 v26, v26, v28, s14
	v_cndmask_b32_e64 v25, v25, v27, s14
	;; [unrolled: 1-line block ×6, first 2 shown]
	s_wait_dscnt 0x0
	v_cmp_lt_i64_e64 s10, v[31:32], v[29:30]
	v_cndmask_b32_e64 v14, v14, v16, s11
	v_cndmask_b32_e64 v13, v13, v15, s11
	v_cmp_ge_i32_e64 s11, v28, v41
	v_cndmask_b32_e64 v18, v18, v20, s12
	v_cndmask_b32_e64 v17, v17, v19, s12
	v_cmp_lt_i32_e64 s12, v27, v42
	v_cndmask_b32_e64 v6, v6, v8, s9
	v_cndmask_b32_e64 v5, v5, v7, s9
	s_or_b32 s9, s11, s10
	v_cndmask_b32_e64 v2, v2, v4, s8
	v_cndmask_b32_e64 v1, v1, v3, s8
	s_wait_alu 0xfffe
	s_and_b32 s8, s12, s9
	v_cndmask_b32_e64 v22, v22, v24, s13
	v_cndmask_b32_e64 v21, v21, v23, s13
	s_wait_alu 0xfffe
	v_cndmask_b32_e64 v4, v30, v32, s8
	v_cndmask_b32_e64 v3, v29, v31, s8
	s_wait_loadcnt 0x0
	s_barrier_signal -1
	s_barrier_wait -1
	global_inv scope:SCOPE_SE
	ds_store_2addr_b64 v45, v[1:2], v[5:6] offset1:1
	ds_store_2addr_b64 v45, v[9:10], v[13:14] offset0:2 offset1:3
	ds_store_2addr_b64 v45, v[17:18], v[21:22] offset0:4 offset1:5
	;; [unrolled: 1-line block ×3, first 2 shown]
	v_mov_b32_e32 v5, v57
	s_wait_loadcnt_dscnt 0x0
	s_barrier_signal -1
	s_barrier_wait -1
	global_inv scope:SCOPE_SE
	s_and_saveexec_b32 s9, s1
	s_cbranch_execz .LBB158_70
; %bb.67:                               ;   in Loop: Header=BB158_2 Depth=1
	v_mov_b32_e32 v5, v57
	v_mov_b32_e32 v1, v58
	s_mov_b32 s10, 0
.LBB158_68:                             ;   Parent Loop BB158_2 Depth=1
                                        ; =>  This Inner Loop Header: Depth=2
	s_delay_alu instid0(VALU_DEP_1) | instskip(NEXT) | instid1(VALU_DEP_1)
	v_sub_nc_u32_e32 v2, v1, v5
	v_lshrrev_b32_e32 v2, 1, v2
	s_delay_alu instid0(VALU_DEP_1) | instskip(NEXT) | instid1(VALU_DEP_1)
	v_add_nc_u32_e32 v4, v2, v5
	v_not_b32_e32 v2, v4
	v_lshl_add_u32 v3, v4, 3, v61
	s_delay_alu instid0(VALU_DEP_2)
	v_lshl_add_u32 v6, v2, 3, v99
	ds_load_b64 v[2:3], v3
	ds_load_b64 v[6:7], v6
	s_wait_dscnt 0x0
	v_cmp_lt_i64_e64 s8, v[6:7], v[2:3]
	v_add_nc_u32_e32 v2, 1, v4
	s_wait_alu 0xf1ff
	s_delay_alu instid0(VALU_DEP_2) | instskip(NEXT) | instid1(VALU_DEP_2)
	v_cndmask_b32_e64 v1, v1, v4, s8
	v_cndmask_b32_e64 v5, v2, v5, s8
	s_delay_alu instid0(VALU_DEP_1)
	v_cmp_ge_i32_e64 s8, v5, v1
	s_wait_alu 0xfffe
	s_or_b32 s10, s8, s10
	s_wait_alu 0xfffe
	s_and_not1_b32 exec_lo, exec_lo, s10
	s_cbranch_execnz .LBB158_68
; %bb.69:                               ;   in Loop: Header=BB158_2 Depth=1
	s_or_b32 exec_lo, exec_lo, s10
.LBB158_70:                             ;   in Loop: Header=BB158_2 Depth=1
	s_wait_alu 0xfffe
	s_or_b32 exec_lo, exec_lo, s9
	v_sub_nc_u32_e32 v9, v66, v5
	v_lshl_add_u32 v7, v5, 3, v61
	v_add_nc_u32_e32 v10, v5, v46
                                        ; implicit-def: $vgpr5_vgpr6
	s_delay_alu instid0(VALU_DEP_3) | instskip(SKIP_1) | instid1(VALU_DEP_3)
	v_lshlrev_b32_e32 v11, 3, v9
	v_cmp_gt_i32_e64 s10, v49, v9
	v_cmp_le_i32_e64 s9, v48, v10
	ds_load_b64 v[1:2], v7
	ds_load_b64 v[3:4], v11
	s_wait_dscnt 0x0
	v_cmp_lt_i64_e64 s8, v[3:4], v[1:2]
	s_or_b32 s8, s9, s8
	s_wait_alu 0xfffe
	s_and_b32 s8, s10, s8
	s_wait_alu 0xfffe
	s_xor_b32 s9, s8, -1
	s_wait_alu 0xfffe
	s_and_saveexec_b32 s10, s9
	s_wait_alu 0xfffe
	s_xor_b32 s9, exec_lo, s10
; %bb.71:                               ;   in Loop: Header=BB158_2 Depth=1
	ds_load_b64 v[5:6], v7 offset:8
                                        ; implicit-def: $vgpr11
; %bb.72:                               ;   in Loop: Header=BB158_2 Depth=1
	s_wait_alu 0xfffe
	s_or_saveexec_b32 s9, s9
	v_dual_mov_b32 v8, v4 :: v_dual_mov_b32 v7, v3
	s_wait_alu 0xfffe
	s_xor_b32 exec_lo, exec_lo, s9
	s_cbranch_execz .LBB158_74
; %bb.73:                               ;   in Loop: Header=BB158_2 Depth=1
	ds_load_b64 v[7:8], v11 offset:8
	s_wait_dscnt 0x1
	v_dual_mov_b32 v6, v2 :: v_dual_mov_b32 v5, v1
.LBB158_74:                             ;   in Loop: Header=BB158_2 Depth=1
	s_or_b32 exec_lo, exec_lo, s9
	v_add_nc_u32_e32 v11, 1, v10
	v_add_nc_u32_e32 v12, 1, v9
	s_wait_dscnt 0x0
	v_cmp_lt_i64_e64 s9, v[7:8], v[5:6]
	s_delay_alu instid0(VALU_DEP_3) | instskip(NEXT) | instid1(VALU_DEP_3)
	v_cndmask_b32_e64 v14, v11, v10, s8
	v_cndmask_b32_e64 v13, v9, v12, s8
                                        ; implicit-def: $vgpr9_vgpr10
	s_delay_alu instid0(VALU_DEP_2) | instskip(NEXT) | instid1(VALU_DEP_2)
	v_cmp_ge_i32_e64 s10, v14, v48
	v_cmp_lt_i32_e64 s11, v13, v49
	s_or_b32 s9, s10, s9
	s_wait_alu 0xfffe
	s_and_b32 s9, s11, s9
	s_wait_alu 0xfffe
	s_xor_b32 s10, s9, -1
	s_wait_alu 0xfffe
	s_and_saveexec_b32 s11, s10
	s_wait_alu 0xfffe
	s_xor_b32 s10, exec_lo, s11
; %bb.75:                               ;   in Loop: Header=BB158_2 Depth=1
	v_lshlrev_b32_e32 v9, 3, v14
	ds_load_b64 v[9:10], v9 offset:8
; %bb.76:                               ;   in Loop: Header=BB158_2 Depth=1
	s_wait_alu 0xfffe
	s_or_saveexec_b32 s10, s10
	v_dual_mov_b32 v12, v8 :: v_dual_mov_b32 v11, v7
	s_wait_alu 0xfffe
	s_xor_b32 exec_lo, exec_lo, s10
	s_cbranch_execz .LBB158_78
; %bb.77:                               ;   in Loop: Header=BB158_2 Depth=1
	s_wait_dscnt 0x0
	v_lshlrev_b32_e32 v9, 3, v13
	ds_load_b64 v[11:12], v9 offset:8
	v_dual_mov_b32 v10, v6 :: v_dual_mov_b32 v9, v5
.LBB158_78:                             ;   in Loop: Header=BB158_2 Depth=1
	s_or_b32 exec_lo, exec_lo, s10
	v_add_nc_u32_e32 v15, 1, v14
	v_add_nc_u32_e32 v16, 1, v13
	s_wait_dscnt 0x0
	v_cmp_lt_i64_e64 s10, v[11:12], v[9:10]
	s_delay_alu instid0(VALU_DEP_3) | instskip(NEXT) | instid1(VALU_DEP_3)
	v_cndmask_b32_e64 v18, v15, v14, s9
	v_cndmask_b32_e64 v17, v13, v16, s9
                                        ; implicit-def: $vgpr13_vgpr14
	s_delay_alu instid0(VALU_DEP_2) | instskip(NEXT) | instid1(VALU_DEP_2)
	v_cmp_ge_i32_e64 s11, v18, v48
	v_cmp_lt_i32_e64 s12, v17, v49
	s_or_b32 s10, s11, s10
	s_wait_alu 0xfffe
	s_and_b32 s10, s12, s10
	s_wait_alu 0xfffe
	s_xor_b32 s11, s10, -1
	s_wait_alu 0xfffe
	s_and_saveexec_b32 s12, s11
	s_wait_alu 0xfffe
	s_xor_b32 s11, exec_lo, s12
; %bb.79:                               ;   in Loop: Header=BB158_2 Depth=1
	v_lshlrev_b32_e32 v13, 3, v18
	ds_load_b64 v[13:14], v13 offset:8
; %bb.80:                               ;   in Loop: Header=BB158_2 Depth=1
	s_wait_alu 0xfffe
	s_or_saveexec_b32 s11, s11
	v_dual_mov_b32 v16, v12 :: v_dual_mov_b32 v15, v11
	s_wait_alu 0xfffe
	s_xor_b32 exec_lo, exec_lo, s11
	s_cbranch_execz .LBB158_82
; %bb.81:                               ;   in Loop: Header=BB158_2 Depth=1
	s_wait_dscnt 0x0
	v_lshlrev_b32_e32 v13, 3, v17
	ds_load_b64 v[15:16], v13 offset:8
	v_dual_mov_b32 v14, v10 :: v_dual_mov_b32 v13, v9
.LBB158_82:                             ;   in Loop: Header=BB158_2 Depth=1
	s_or_b32 exec_lo, exec_lo, s11
	v_add_nc_u32_e32 v19, 1, v18
	v_add_nc_u32_e32 v20, 1, v17
	s_wait_dscnt 0x0
	v_cmp_lt_i64_e64 s11, v[15:16], v[13:14]
	s_delay_alu instid0(VALU_DEP_3) | instskip(NEXT) | instid1(VALU_DEP_3)
	v_cndmask_b32_e64 v22, v19, v18, s10
	v_cndmask_b32_e64 v21, v17, v20, s10
                                        ; implicit-def: $vgpr17_vgpr18
	s_delay_alu instid0(VALU_DEP_2) | instskip(NEXT) | instid1(VALU_DEP_2)
	v_cmp_ge_i32_e64 s12, v22, v48
	v_cmp_lt_i32_e64 s13, v21, v49
	s_or_b32 s11, s12, s11
	s_wait_alu 0xfffe
	s_and_b32 s11, s13, s11
	s_wait_alu 0xfffe
	s_xor_b32 s12, s11, -1
	s_wait_alu 0xfffe
	s_and_saveexec_b32 s13, s12
	s_wait_alu 0xfffe
	s_xor_b32 s12, exec_lo, s13
; %bb.83:                               ;   in Loop: Header=BB158_2 Depth=1
	v_lshlrev_b32_e32 v17, 3, v22
	ds_load_b64 v[17:18], v17 offset:8
; %bb.84:                               ;   in Loop: Header=BB158_2 Depth=1
	s_wait_alu 0xfffe
	s_or_saveexec_b32 s12, s12
	v_dual_mov_b32 v20, v16 :: v_dual_mov_b32 v19, v15
	s_wait_alu 0xfffe
	s_xor_b32 exec_lo, exec_lo, s12
	s_cbranch_execz .LBB158_86
; %bb.85:                               ;   in Loop: Header=BB158_2 Depth=1
	s_wait_dscnt 0x0
	v_lshlrev_b32_e32 v17, 3, v21
	ds_load_b64 v[19:20], v17 offset:8
	v_dual_mov_b32 v18, v14 :: v_dual_mov_b32 v17, v13
.LBB158_86:                             ;   in Loop: Header=BB158_2 Depth=1
	s_or_b32 exec_lo, exec_lo, s12
	v_add_nc_u32_e32 v23, 1, v22
	v_add_nc_u32_e32 v24, 1, v21
	s_wait_dscnt 0x0
	v_cmp_lt_i64_e64 s12, v[19:20], v[17:18]
	s_delay_alu instid0(VALU_DEP_3) | instskip(NEXT) | instid1(VALU_DEP_3)
	v_cndmask_b32_e64 v26, v23, v22, s11
	v_cndmask_b32_e64 v25, v21, v24, s11
                                        ; implicit-def: $vgpr21_vgpr22
	s_delay_alu instid0(VALU_DEP_2) | instskip(NEXT) | instid1(VALU_DEP_2)
	v_cmp_ge_i32_e64 s13, v26, v48
	v_cmp_lt_i32_e64 s14, v25, v49
	s_or_b32 s12, s13, s12
	s_wait_alu 0xfffe
	s_and_b32 s12, s14, s12
	s_wait_alu 0xfffe
	s_xor_b32 s13, s12, -1
	s_wait_alu 0xfffe
	s_and_saveexec_b32 s14, s13
	s_wait_alu 0xfffe
	s_xor_b32 s13, exec_lo, s14
; %bb.87:                               ;   in Loop: Header=BB158_2 Depth=1
	v_lshlrev_b32_e32 v21, 3, v26
	ds_load_b64 v[21:22], v21 offset:8
; %bb.88:                               ;   in Loop: Header=BB158_2 Depth=1
	s_wait_alu 0xfffe
	s_or_saveexec_b32 s13, s13
	v_dual_mov_b32 v24, v20 :: v_dual_mov_b32 v23, v19
	s_wait_alu 0xfffe
	s_xor_b32 exec_lo, exec_lo, s13
	s_cbranch_execz .LBB158_90
; %bb.89:                               ;   in Loop: Header=BB158_2 Depth=1
	s_wait_dscnt 0x0
	v_lshlrev_b32_e32 v21, 3, v25
	ds_load_b64 v[23:24], v21 offset:8
	v_dual_mov_b32 v22, v18 :: v_dual_mov_b32 v21, v17
.LBB158_90:                             ;   in Loop: Header=BB158_2 Depth=1
	s_or_b32 exec_lo, exec_lo, s13
	v_add_nc_u32_e32 v27, 1, v26
	v_add_nc_u32_e32 v28, 1, v25
	s_wait_dscnt 0x0
	v_cmp_lt_i64_e64 s13, v[23:24], v[21:22]
	s_delay_alu instid0(VALU_DEP_3) | instskip(NEXT) | instid1(VALU_DEP_3)
	v_cndmask_b32_e64 v30, v27, v26, s12
	v_cndmask_b32_e64 v29, v25, v28, s12
                                        ; implicit-def: $vgpr25_vgpr26
	s_delay_alu instid0(VALU_DEP_2) | instskip(NEXT) | instid1(VALU_DEP_2)
	v_cmp_ge_i32_e64 s14, v30, v48
	v_cmp_lt_i32_e64 s15, v29, v49
	s_or_b32 s13, s14, s13
	s_wait_alu 0xfffe
	s_and_b32 s13, s15, s13
	s_wait_alu 0xfffe
	s_xor_b32 s14, s13, -1
	s_wait_alu 0xfffe
	s_and_saveexec_b32 s15, s14
	s_wait_alu 0xfffe
	s_xor_b32 s14, exec_lo, s15
; %bb.91:                               ;   in Loop: Header=BB158_2 Depth=1
	v_lshlrev_b32_e32 v25, 3, v30
	ds_load_b64 v[25:26], v25 offset:8
; %bb.92:                               ;   in Loop: Header=BB158_2 Depth=1
	s_wait_alu 0xfffe
	s_or_saveexec_b32 s14, s14
	v_dual_mov_b32 v28, v24 :: v_dual_mov_b32 v27, v23
	s_wait_alu 0xfffe
	s_xor_b32 exec_lo, exec_lo, s14
	s_cbranch_execz .LBB158_94
; %bb.93:                               ;   in Loop: Header=BB158_2 Depth=1
	s_wait_dscnt 0x0
	v_lshlrev_b32_e32 v25, 3, v29
	ds_load_b64 v[27:28], v25 offset:8
	v_dual_mov_b32 v26, v22 :: v_dual_mov_b32 v25, v21
.LBB158_94:                             ;   in Loop: Header=BB158_2 Depth=1
	s_or_b32 exec_lo, exec_lo, s14
	v_add_nc_u32_e32 v31, 1, v30
	v_add_nc_u32_e32 v32, 1, v29
	s_wait_dscnt 0x0
	v_cmp_lt_i64_e64 s14, v[27:28], v[25:26]
	s_delay_alu instid0(VALU_DEP_3) | instskip(NEXT) | instid1(VALU_DEP_3)
	v_cndmask_b32_e64 v33, v31, v30, s13
	v_cndmask_b32_e64 v34, v29, v32, s13
                                        ; implicit-def: $vgpr29_vgpr30
	s_delay_alu instid0(VALU_DEP_2) | instskip(NEXT) | instid1(VALU_DEP_2)
	v_cmp_ge_i32_e64 s15, v33, v48
	v_cmp_lt_i32_e64 s16, v34, v49
	s_or_b32 s14, s15, s14
	s_wait_alu 0xfffe
	s_and_b32 s14, s16, s14
	s_wait_alu 0xfffe
	s_xor_b32 s15, s14, -1
	s_wait_alu 0xfffe
	s_and_saveexec_b32 s16, s15
	s_delay_alu instid0(SALU_CYCLE_1)
	s_xor_b32 s15, exec_lo, s16
; %bb.95:                               ;   in Loop: Header=BB158_2 Depth=1
	v_lshlrev_b32_e32 v29, 3, v33
	ds_load_b64 v[29:30], v29 offset:8
; %bb.96:                               ;   in Loop: Header=BB158_2 Depth=1
	s_wait_alu 0xfffe
	s_or_saveexec_b32 s15, s15
	v_dual_mov_b32 v32, v28 :: v_dual_mov_b32 v31, v27
	s_wait_alu 0xfffe
	s_xor_b32 exec_lo, exec_lo, s15
	s_cbranch_execz .LBB158_98
; %bb.97:                               ;   in Loop: Header=BB158_2 Depth=1
	s_wait_dscnt 0x0
	v_lshlrev_b32_e32 v29, 3, v34
	ds_load_b64 v[31:32], v29 offset:8
	v_dual_mov_b32 v30, v26 :: v_dual_mov_b32 v29, v25
.LBB158_98:                             ;   in Loop: Header=BB158_2 Depth=1
	s_or_b32 exec_lo, exec_lo, s15
	v_add_nc_u32_e32 v36, 1, v33
	v_add_nc_u32_e32 v35, 1, v34
	v_cndmask_b32_e64 v26, v26, v28, s14
	v_cndmask_b32_e64 v25, v25, v27, s14
	;; [unrolled: 1-line block ×6, first 2 shown]
	s_wait_dscnt 0x0
	v_cmp_lt_i64_e64 s10, v[31:32], v[29:30]
	v_cndmask_b32_e64 v14, v14, v16, s11
	v_cndmask_b32_e64 v13, v13, v15, s11
	v_cmp_ge_i32_e64 s11, v28, v48
	v_cndmask_b32_e64 v18, v18, v20, s12
	v_cndmask_b32_e64 v17, v17, v19, s12
	v_cmp_lt_i32_e64 s12, v27, v49
	v_cndmask_b32_e64 v6, v6, v8, s9
	v_cndmask_b32_e64 v5, v5, v7, s9
	s_or_b32 s9, s11, s10
	v_cndmask_b32_e64 v2, v2, v4, s8
	v_cndmask_b32_e64 v1, v1, v3, s8
	s_wait_alu 0xfffe
	s_and_b32 s8, s12, s9
	v_cndmask_b32_e64 v22, v22, v24, s13
	v_cndmask_b32_e64 v21, v21, v23, s13
	s_wait_alu 0xfffe
	v_cndmask_b32_e64 v4, v30, v32, s8
	v_cndmask_b32_e64 v3, v29, v31, s8
	s_wait_loadcnt 0x0
	s_barrier_signal -1
	s_barrier_wait -1
	global_inv scope:SCOPE_SE
	ds_store_2addr_b64 v45, v[1:2], v[5:6] offset1:1
	ds_store_2addr_b64 v45, v[9:10], v[13:14] offset0:2 offset1:3
	ds_store_2addr_b64 v45, v[17:18], v[21:22] offset0:4 offset1:5
	;; [unrolled: 1-line block ×3, first 2 shown]
	v_mov_b32_e32 v5, v64
	s_wait_loadcnt_dscnt 0x0
	s_barrier_signal -1
	s_barrier_wait -1
	global_inv scope:SCOPE_SE
	s_and_saveexec_b32 s9, s2
	s_cbranch_execz .LBB158_102
; %bb.99:                               ;   in Loop: Header=BB158_2 Depth=1
	v_mov_b32_e32 v5, v64
	v_mov_b32_e32 v1, v65
	s_mov_b32 s10, 0
.LBB158_100:                            ;   Parent Loop BB158_2 Depth=1
                                        ; =>  This Inner Loop Header: Depth=2
	s_delay_alu instid0(VALU_DEP_1) | instskip(NEXT) | instid1(VALU_DEP_1)
	v_sub_nc_u32_e32 v2, v1, v5
	v_lshrrev_b32_e32 v2, 1, v2
	s_delay_alu instid0(VALU_DEP_1) | instskip(NEXT) | instid1(VALU_DEP_1)
	v_add_nc_u32_e32 v4, v2, v5
	v_not_b32_e32 v2, v4
	v_lshl_add_u32 v3, v4, 3, v68
	s_delay_alu instid0(VALU_DEP_2)
	v_lshl_add_u32 v6, v2, 3, v100
	ds_load_b64 v[2:3], v3
	ds_load_b64 v[6:7], v6
	s_wait_dscnt 0x0
	v_cmp_lt_i64_e64 s8, v[6:7], v[2:3]
	v_add_nc_u32_e32 v2, 1, v4
	s_wait_alu 0xf1ff
	s_delay_alu instid0(VALU_DEP_2) | instskip(NEXT) | instid1(VALU_DEP_2)
	v_cndmask_b32_e64 v1, v1, v4, s8
	v_cndmask_b32_e64 v5, v2, v5, s8
	s_delay_alu instid0(VALU_DEP_1)
	v_cmp_ge_i32_e64 s8, v5, v1
	s_wait_alu 0xfffe
	s_or_b32 s10, s8, s10
	s_wait_alu 0xfffe
	s_and_not1_b32 exec_lo, exec_lo, s10
	s_cbranch_execnz .LBB158_100
; %bb.101:                              ;   in Loop: Header=BB158_2 Depth=1
	s_or_b32 exec_lo, exec_lo, s10
.LBB158_102:                            ;   in Loop: Header=BB158_2 Depth=1
	s_wait_alu 0xfffe
	s_or_b32 exec_lo, exec_lo, s9
	v_sub_nc_u32_e32 v9, v73, v5
	v_lshl_add_u32 v7, v5, 3, v68
	v_add_nc_u32_e32 v10, v5, v53
                                        ; implicit-def: $vgpr5_vgpr6
	s_delay_alu instid0(VALU_DEP_3) | instskip(SKIP_1) | instid1(VALU_DEP_3)
	v_lshlrev_b32_e32 v11, 3, v9
	v_cmp_gt_i32_e64 s10, v56, v9
	v_cmp_le_i32_e64 s9, v55, v10
	ds_load_b64 v[1:2], v7
	ds_load_b64 v[3:4], v11
	s_wait_dscnt 0x0
	v_cmp_lt_i64_e64 s8, v[3:4], v[1:2]
	s_or_b32 s8, s9, s8
	s_wait_alu 0xfffe
	s_and_b32 s8, s10, s8
	s_wait_alu 0xfffe
	s_xor_b32 s9, s8, -1
	s_wait_alu 0xfffe
	s_and_saveexec_b32 s10, s9
	s_wait_alu 0xfffe
	s_xor_b32 s9, exec_lo, s10
; %bb.103:                              ;   in Loop: Header=BB158_2 Depth=1
	ds_load_b64 v[5:6], v7 offset:8
                                        ; implicit-def: $vgpr11
; %bb.104:                              ;   in Loop: Header=BB158_2 Depth=1
	s_wait_alu 0xfffe
	s_or_saveexec_b32 s9, s9
	v_dual_mov_b32 v8, v4 :: v_dual_mov_b32 v7, v3
	s_wait_alu 0xfffe
	s_xor_b32 exec_lo, exec_lo, s9
	s_cbranch_execz .LBB158_106
; %bb.105:                              ;   in Loop: Header=BB158_2 Depth=1
	ds_load_b64 v[7:8], v11 offset:8
	s_wait_dscnt 0x1
	v_dual_mov_b32 v6, v2 :: v_dual_mov_b32 v5, v1
.LBB158_106:                            ;   in Loop: Header=BB158_2 Depth=1
	s_or_b32 exec_lo, exec_lo, s9
	v_add_nc_u32_e32 v11, 1, v10
	v_add_nc_u32_e32 v12, 1, v9
	s_wait_dscnt 0x0
	v_cmp_lt_i64_e64 s9, v[7:8], v[5:6]
	s_delay_alu instid0(VALU_DEP_3) | instskip(NEXT) | instid1(VALU_DEP_3)
	v_cndmask_b32_e64 v14, v11, v10, s8
	v_cndmask_b32_e64 v13, v9, v12, s8
                                        ; implicit-def: $vgpr9_vgpr10
	s_delay_alu instid0(VALU_DEP_2) | instskip(NEXT) | instid1(VALU_DEP_2)
	v_cmp_ge_i32_e64 s10, v14, v55
	v_cmp_lt_i32_e64 s11, v13, v56
	s_or_b32 s9, s10, s9
	s_wait_alu 0xfffe
	s_and_b32 s9, s11, s9
	s_wait_alu 0xfffe
	s_xor_b32 s10, s9, -1
	s_wait_alu 0xfffe
	s_and_saveexec_b32 s11, s10
	s_wait_alu 0xfffe
	s_xor_b32 s10, exec_lo, s11
; %bb.107:                              ;   in Loop: Header=BB158_2 Depth=1
	v_lshlrev_b32_e32 v9, 3, v14
	ds_load_b64 v[9:10], v9 offset:8
; %bb.108:                              ;   in Loop: Header=BB158_2 Depth=1
	s_wait_alu 0xfffe
	s_or_saveexec_b32 s10, s10
	v_dual_mov_b32 v12, v8 :: v_dual_mov_b32 v11, v7
	s_wait_alu 0xfffe
	s_xor_b32 exec_lo, exec_lo, s10
	s_cbranch_execz .LBB158_110
; %bb.109:                              ;   in Loop: Header=BB158_2 Depth=1
	s_wait_dscnt 0x0
	v_lshlrev_b32_e32 v9, 3, v13
	ds_load_b64 v[11:12], v9 offset:8
	v_dual_mov_b32 v10, v6 :: v_dual_mov_b32 v9, v5
.LBB158_110:                            ;   in Loop: Header=BB158_2 Depth=1
	s_or_b32 exec_lo, exec_lo, s10
	v_add_nc_u32_e32 v15, 1, v14
	v_add_nc_u32_e32 v16, 1, v13
	s_wait_dscnt 0x0
	v_cmp_lt_i64_e64 s10, v[11:12], v[9:10]
	s_delay_alu instid0(VALU_DEP_3) | instskip(NEXT) | instid1(VALU_DEP_3)
	v_cndmask_b32_e64 v18, v15, v14, s9
	v_cndmask_b32_e64 v17, v13, v16, s9
                                        ; implicit-def: $vgpr13_vgpr14
	s_delay_alu instid0(VALU_DEP_2) | instskip(NEXT) | instid1(VALU_DEP_2)
	v_cmp_ge_i32_e64 s11, v18, v55
	v_cmp_lt_i32_e64 s12, v17, v56
	s_or_b32 s10, s11, s10
	s_wait_alu 0xfffe
	s_and_b32 s10, s12, s10
	s_wait_alu 0xfffe
	s_xor_b32 s11, s10, -1
	s_wait_alu 0xfffe
	s_and_saveexec_b32 s12, s11
	s_wait_alu 0xfffe
	s_xor_b32 s11, exec_lo, s12
; %bb.111:                              ;   in Loop: Header=BB158_2 Depth=1
	v_lshlrev_b32_e32 v13, 3, v18
	ds_load_b64 v[13:14], v13 offset:8
; %bb.112:                              ;   in Loop: Header=BB158_2 Depth=1
	s_wait_alu 0xfffe
	s_or_saveexec_b32 s11, s11
	v_dual_mov_b32 v16, v12 :: v_dual_mov_b32 v15, v11
	s_wait_alu 0xfffe
	s_xor_b32 exec_lo, exec_lo, s11
	s_cbranch_execz .LBB158_114
; %bb.113:                              ;   in Loop: Header=BB158_2 Depth=1
	s_wait_dscnt 0x0
	v_lshlrev_b32_e32 v13, 3, v17
	ds_load_b64 v[15:16], v13 offset:8
	v_dual_mov_b32 v14, v10 :: v_dual_mov_b32 v13, v9
.LBB158_114:                            ;   in Loop: Header=BB158_2 Depth=1
	s_or_b32 exec_lo, exec_lo, s11
	v_add_nc_u32_e32 v19, 1, v18
	v_add_nc_u32_e32 v20, 1, v17
	s_wait_dscnt 0x0
	v_cmp_lt_i64_e64 s11, v[15:16], v[13:14]
	s_delay_alu instid0(VALU_DEP_3) | instskip(NEXT) | instid1(VALU_DEP_3)
	v_cndmask_b32_e64 v22, v19, v18, s10
	v_cndmask_b32_e64 v21, v17, v20, s10
                                        ; implicit-def: $vgpr17_vgpr18
	s_delay_alu instid0(VALU_DEP_2) | instskip(NEXT) | instid1(VALU_DEP_2)
	v_cmp_ge_i32_e64 s12, v22, v55
	v_cmp_lt_i32_e64 s13, v21, v56
	s_or_b32 s11, s12, s11
	s_wait_alu 0xfffe
	s_and_b32 s11, s13, s11
	s_wait_alu 0xfffe
	s_xor_b32 s12, s11, -1
	s_wait_alu 0xfffe
	s_and_saveexec_b32 s13, s12
	s_wait_alu 0xfffe
	s_xor_b32 s12, exec_lo, s13
; %bb.115:                              ;   in Loop: Header=BB158_2 Depth=1
	v_lshlrev_b32_e32 v17, 3, v22
	ds_load_b64 v[17:18], v17 offset:8
; %bb.116:                              ;   in Loop: Header=BB158_2 Depth=1
	s_wait_alu 0xfffe
	s_or_saveexec_b32 s12, s12
	v_dual_mov_b32 v20, v16 :: v_dual_mov_b32 v19, v15
	s_wait_alu 0xfffe
	s_xor_b32 exec_lo, exec_lo, s12
	s_cbranch_execz .LBB158_118
; %bb.117:                              ;   in Loop: Header=BB158_2 Depth=1
	s_wait_dscnt 0x0
	v_lshlrev_b32_e32 v17, 3, v21
	ds_load_b64 v[19:20], v17 offset:8
	v_dual_mov_b32 v18, v14 :: v_dual_mov_b32 v17, v13
.LBB158_118:                            ;   in Loop: Header=BB158_2 Depth=1
	s_or_b32 exec_lo, exec_lo, s12
	v_add_nc_u32_e32 v23, 1, v22
	v_add_nc_u32_e32 v24, 1, v21
	s_wait_dscnt 0x0
	v_cmp_lt_i64_e64 s12, v[19:20], v[17:18]
	s_delay_alu instid0(VALU_DEP_3) | instskip(NEXT) | instid1(VALU_DEP_3)
	v_cndmask_b32_e64 v26, v23, v22, s11
	v_cndmask_b32_e64 v25, v21, v24, s11
                                        ; implicit-def: $vgpr21_vgpr22
	s_delay_alu instid0(VALU_DEP_2) | instskip(NEXT) | instid1(VALU_DEP_2)
	v_cmp_ge_i32_e64 s13, v26, v55
	v_cmp_lt_i32_e64 s14, v25, v56
	s_or_b32 s12, s13, s12
	s_wait_alu 0xfffe
	s_and_b32 s12, s14, s12
	s_wait_alu 0xfffe
	s_xor_b32 s13, s12, -1
	s_wait_alu 0xfffe
	s_and_saveexec_b32 s14, s13
	s_wait_alu 0xfffe
	s_xor_b32 s13, exec_lo, s14
; %bb.119:                              ;   in Loop: Header=BB158_2 Depth=1
	v_lshlrev_b32_e32 v21, 3, v26
	ds_load_b64 v[21:22], v21 offset:8
; %bb.120:                              ;   in Loop: Header=BB158_2 Depth=1
	s_wait_alu 0xfffe
	s_or_saveexec_b32 s13, s13
	v_dual_mov_b32 v24, v20 :: v_dual_mov_b32 v23, v19
	s_wait_alu 0xfffe
	s_xor_b32 exec_lo, exec_lo, s13
	s_cbranch_execz .LBB158_122
; %bb.121:                              ;   in Loop: Header=BB158_2 Depth=1
	s_wait_dscnt 0x0
	v_lshlrev_b32_e32 v21, 3, v25
	ds_load_b64 v[23:24], v21 offset:8
	v_dual_mov_b32 v22, v18 :: v_dual_mov_b32 v21, v17
.LBB158_122:                            ;   in Loop: Header=BB158_2 Depth=1
	s_or_b32 exec_lo, exec_lo, s13
	v_add_nc_u32_e32 v27, 1, v26
	v_add_nc_u32_e32 v28, 1, v25
	s_wait_dscnt 0x0
	v_cmp_lt_i64_e64 s13, v[23:24], v[21:22]
	s_delay_alu instid0(VALU_DEP_3) | instskip(NEXT) | instid1(VALU_DEP_3)
	v_cndmask_b32_e64 v30, v27, v26, s12
	v_cndmask_b32_e64 v29, v25, v28, s12
                                        ; implicit-def: $vgpr25_vgpr26
	s_delay_alu instid0(VALU_DEP_2) | instskip(NEXT) | instid1(VALU_DEP_2)
	v_cmp_ge_i32_e64 s14, v30, v55
	v_cmp_lt_i32_e64 s15, v29, v56
	s_or_b32 s13, s14, s13
	s_wait_alu 0xfffe
	s_and_b32 s13, s15, s13
	s_wait_alu 0xfffe
	s_xor_b32 s14, s13, -1
	s_wait_alu 0xfffe
	s_and_saveexec_b32 s15, s14
	s_wait_alu 0xfffe
	s_xor_b32 s14, exec_lo, s15
; %bb.123:                              ;   in Loop: Header=BB158_2 Depth=1
	v_lshlrev_b32_e32 v25, 3, v30
	ds_load_b64 v[25:26], v25 offset:8
; %bb.124:                              ;   in Loop: Header=BB158_2 Depth=1
	s_wait_alu 0xfffe
	s_or_saveexec_b32 s14, s14
	v_dual_mov_b32 v28, v24 :: v_dual_mov_b32 v27, v23
	s_wait_alu 0xfffe
	s_xor_b32 exec_lo, exec_lo, s14
	s_cbranch_execz .LBB158_126
; %bb.125:                              ;   in Loop: Header=BB158_2 Depth=1
	s_wait_dscnt 0x0
	v_lshlrev_b32_e32 v25, 3, v29
	ds_load_b64 v[27:28], v25 offset:8
	v_dual_mov_b32 v26, v22 :: v_dual_mov_b32 v25, v21
.LBB158_126:                            ;   in Loop: Header=BB158_2 Depth=1
	s_or_b32 exec_lo, exec_lo, s14
	v_add_nc_u32_e32 v31, 1, v30
	v_add_nc_u32_e32 v32, 1, v29
	s_wait_dscnt 0x0
	v_cmp_lt_i64_e64 s14, v[27:28], v[25:26]
	s_delay_alu instid0(VALU_DEP_3) | instskip(NEXT) | instid1(VALU_DEP_3)
	v_cndmask_b32_e64 v33, v31, v30, s13
	v_cndmask_b32_e64 v34, v29, v32, s13
                                        ; implicit-def: $vgpr29_vgpr30
	s_delay_alu instid0(VALU_DEP_2) | instskip(NEXT) | instid1(VALU_DEP_2)
	v_cmp_ge_i32_e64 s15, v33, v55
	v_cmp_lt_i32_e64 s16, v34, v56
	s_or_b32 s14, s15, s14
	s_wait_alu 0xfffe
	s_and_b32 s14, s16, s14
	s_wait_alu 0xfffe
	s_xor_b32 s15, s14, -1
	s_wait_alu 0xfffe
	s_and_saveexec_b32 s16, s15
	s_delay_alu instid0(SALU_CYCLE_1)
	s_xor_b32 s15, exec_lo, s16
; %bb.127:                              ;   in Loop: Header=BB158_2 Depth=1
	v_lshlrev_b32_e32 v29, 3, v33
	ds_load_b64 v[29:30], v29 offset:8
; %bb.128:                              ;   in Loop: Header=BB158_2 Depth=1
	s_wait_alu 0xfffe
	s_or_saveexec_b32 s15, s15
	v_dual_mov_b32 v32, v28 :: v_dual_mov_b32 v31, v27
	s_wait_alu 0xfffe
	s_xor_b32 exec_lo, exec_lo, s15
	s_cbranch_execz .LBB158_130
; %bb.129:                              ;   in Loop: Header=BB158_2 Depth=1
	s_wait_dscnt 0x0
	v_lshlrev_b32_e32 v29, 3, v34
	ds_load_b64 v[31:32], v29 offset:8
	v_dual_mov_b32 v30, v26 :: v_dual_mov_b32 v29, v25
.LBB158_130:                            ;   in Loop: Header=BB158_2 Depth=1
	s_or_b32 exec_lo, exec_lo, s15
	v_add_nc_u32_e32 v36, 1, v33
	v_add_nc_u32_e32 v35, 1, v34
	v_cndmask_b32_e64 v26, v26, v28, s14
	v_cndmask_b32_e64 v25, v25, v27, s14
	;; [unrolled: 1-line block ×6, first 2 shown]
	s_wait_dscnt 0x0
	v_cmp_lt_i64_e64 s10, v[31:32], v[29:30]
	v_cndmask_b32_e64 v14, v14, v16, s11
	v_cndmask_b32_e64 v13, v13, v15, s11
	v_cmp_ge_i32_e64 s11, v28, v55
	v_cndmask_b32_e64 v18, v18, v20, s12
	v_cndmask_b32_e64 v17, v17, v19, s12
	v_cmp_lt_i32_e64 s12, v27, v56
	v_cndmask_b32_e64 v6, v6, v8, s9
	v_cndmask_b32_e64 v5, v5, v7, s9
	s_or_b32 s9, s11, s10
	v_cndmask_b32_e64 v2, v2, v4, s8
	v_cndmask_b32_e64 v1, v1, v3, s8
	s_wait_alu 0xfffe
	s_and_b32 s8, s12, s9
	v_cndmask_b32_e64 v22, v22, v24, s13
	v_cndmask_b32_e64 v21, v21, v23, s13
	s_wait_alu 0xfffe
	v_cndmask_b32_e64 v4, v30, v32, s8
	v_cndmask_b32_e64 v3, v29, v31, s8
	s_wait_loadcnt 0x0
	s_barrier_signal -1
	s_barrier_wait -1
	global_inv scope:SCOPE_SE
	ds_store_2addr_b64 v45, v[1:2], v[5:6] offset1:1
	ds_store_2addr_b64 v45, v[9:10], v[13:14] offset0:2 offset1:3
	ds_store_2addr_b64 v45, v[17:18], v[21:22] offset0:4 offset1:5
	;; [unrolled: 1-line block ×3, first 2 shown]
	v_mov_b32_e32 v5, v71
	s_wait_loadcnt_dscnt 0x0
	s_barrier_signal -1
	s_barrier_wait -1
	global_inv scope:SCOPE_SE
	s_and_saveexec_b32 s9, s3
	s_cbranch_execz .LBB158_134
; %bb.131:                              ;   in Loop: Header=BB158_2 Depth=1
	v_mov_b32_e32 v5, v71
	v_mov_b32_e32 v1, v72
	s_mov_b32 s10, 0
.LBB158_132:                            ;   Parent Loop BB158_2 Depth=1
                                        ; =>  This Inner Loop Header: Depth=2
	s_delay_alu instid0(VALU_DEP_1) | instskip(NEXT) | instid1(VALU_DEP_1)
	v_sub_nc_u32_e32 v2, v1, v5
	v_lshrrev_b32_e32 v2, 1, v2
	s_delay_alu instid0(VALU_DEP_1) | instskip(NEXT) | instid1(VALU_DEP_1)
	v_add_nc_u32_e32 v4, v2, v5
	v_not_b32_e32 v2, v4
	v_lshl_add_u32 v3, v4, 3, v74
	s_delay_alu instid0(VALU_DEP_2)
	v_lshl_add_u32 v6, v2, 3, v101
	ds_load_b64 v[2:3], v3
	ds_load_b64 v[6:7], v6
	s_wait_dscnt 0x0
	v_cmp_lt_i64_e64 s8, v[6:7], v[2:3]
	v_add_nc_u32_e32 v2, 1, v4
	s_wait_alu 0xf1ff
	s_delay_alu instid0(VALU_DEP_2) | instskip(NEXT) | instid1(VALU_DEP_2)
	v_cndmask_b32_e64 v1, v1, v4, s8
	v_cndmask_b32_e64 v5, v2, v5, s8
	s_delay_alu instid0(VALU_DEP_1)
	v_cmp_ge_i32_e64 s8, v5, v1
	s_wait_alu 0xfffe
	s_or_b32 s10, s8, s10
	s_wait_alu 0xfffe
	s_and_not1_b32 exec_lo, exec_lo, s10
	s_cbranch_execnz .LBB158_132
; %bb.133:                              ;   in Loop: Header=BB158_2 Depth=1
	s_or_b32 exec_lo, exec_lo, s10
.LBB158_134:                            ;   in Loop: Header=BB158_2 Depth=1
	s_wait_alu 0xfffe
	s_or_b32 exec_lo, exec_lo, s9
	v_sub_nc_u32_e32 v9, v75, v5
	v_lshl_add_u32 v7, v5, 3, v74
	v_add_nc_u32_e32 v10, v5, v60
                                        ; implicit-def: $vgpr5_vgpr6
	s_delay_alu instid0(VALU_DEP_3) | instskip(SKIP_1) | instid1(VALU_DEP_3)
	v_lshlrev_b32_e32 v11, 3, v9
	v_cmp_gt_i32_e64 s10, v63, v9
	v_cmp_le_i32_e64 s9, v62, v10
	ds_load_b64 v[1:2], v7
	ds_load_b64 v[3:4], v11
	s_wait_dscnt 0x0
	v_cmp_lt_i64_e64 s8, v[3:4], v[1:2]
	s_or_b32 s8, s9, s8
	s_wait_alu 0xfffe
	s_and_b32 s8, s10, s8
	s_wait_alu 0xfffe
	s_xor_b32 s9, s8, -1
	s_wait_alu 0xfffe
	s_and_saveexec_b32 s10, s9
	s_wait_alu 0xfffe
	s_xor_b32 s9, exec_lo, s10
; %bb.135:                              ;   in Loop: Header=BB158_2 Depth=1
	ds_load_b64 v[5:6], v7 offset:8
                                        ; implicit-def: $vgpr11
; %bb.136:                              ;   in Loop: Header=BB158_2 Depth=1
	s_wait_alu 0xfffe
	s_or_saveexec_b32 s9, s9
	v_dual_mov_b32 v8, v4 :: v_dual_mov_b32 v7, v3
	s_wait_alu 0xfffe
	s_xor_b32 exec_lo, exec_lo, s9
	s_cbranch_execz .LBB158_138
; %bb.137:                              ;   in Loop: Header=BB158_2 Depth=1
	ds_load_b64 v[7:8], v11 offset:8
	s_wait_dscnt 0x1
	v_dual_mov_b32 v6, v2 :: v_dual_mov_b32 v5, v1
.LBB158_138:                            ;   in Loop: Header=BB158_2 Depth=1
	s_or_b32 exec_lo, exec_lo, s9
	v_add_nc_u32_e32 v11, 1, v10
	v_add_nc_u32_e32 v12, 1, v9
	s_wait_dscnt 0x0
	v_cmp_lt_i64_e64 s9, v[7:8], v[5:6]
	s_delay_alu instid0(VALU_DEP_3) | instskip(NEXT) | instid1(VALU_DEP_3)
	v_cndmask_b32_e64 v14, v11, v10, s8
	v_cndmask_b32_e64 v13, v9, v12, s8
                                        ; implicit-def: $vgpr9_vgpr10
	s_delay_alu instid0(VALU_DEP_2) | instskip(NEXT) | instid1(VALU_DEP_2)
	v_cmp_ge_i32_e64 s10, v14, v62
	v_cmp_lt_i32_e64 s11, v13, v63
	s_or_b32 s9, s10, s9
	s_wait_alu 0xfffe
	s_and_b32 s9, s11, s9
	s_wait_alu 0xfffe
	s_xor_b32 s10, s9, -1
	s_wait_alu 0xfffe
	s_and_saveexec_b32 s11, s10
	s_wait_alu 0xfffe
	s_xor_b32 s10, exec_lo, s11
; %bb.139:                              ;   in Loop: Header=BB158_2 Depth=1
	v_lshlrev_b32_e32 v9, 3, v14
	ds_load_b64 v[9:10], v9 offset:8
; %bb.140:                              ;   in Loop: Header=BB158_2 Depth=1
	s_wait_alu 0xfffe
	s_or_saveexec_b32 s10, s10
	v_dual_mov_b32 v12, v8 :: v_dual_mov_b32 v11, v7
	s_wait_alu 0xfffe
	s_xor_b32 exec_lo, exec_lo, s10
	s_cbranch_execz .LBB158_142
; %bb.141:                              ;   in Loop: Header=BB158_2 Depth=1
	s_wait_dscnt 0x0
	v_lshlrev_b32_e32 v9, 3, v13
	ds_load_b64 v[11:12], v9 offset:8
	v_dual_mov_b32 v10, v6 :: v_dual_mov_b32 v9, v5
.LBB158_142:                            ;   in Loop: Header=BB158_2 Depth=1
	s_or_b32 exec_lo, exec_lo, s10
	v_add_nc_u32_e32 v15, 1, v14
	v_add_nc_u32_e32 v16, 1, v13
	s_wait_dscnt 0x0
	v_cmp_lt_i64_e64 s10, v[11:12], v[9:10]
	s_delay_alu instid0(VALU_DEP_3) | instskip(NEXT) | instid1(VALU_DEP_3)
	v_cndmask_b32_e64 v18, v15, v14, s9
	v_cndmask_b32_e64 v17, v13, v16, s9
                                        ; implicit-def: $vgpr13_vgpr14
	s_delay_alu instid0(VALU_DEP_2) | instskip(NEXT) | instid1(VALU_DEP_2)
	v_cmp_ge_i32_e64 s11, v18, v62
	v_cmp_lt_i32_e64 s12, v17, v63
	s_or_b32 s10, s11, s10
	s_wait_alu 0xfffe
	s_and_b32 s10, s12, s10
	s_wait_alu 0xfffe
	s_xor_b32 s11, s10, -1
	s_wait_alu 0xfffe
	s_and_saveexec_b32 s12, s11
	s_wait_alu 0xfffe
	s_xor_b32 s11, exec_lo, s12
; %bb.143:                              ;   in Loop: Header=BB158_2 Depth=1
	v_lshlrev_b32_e32 v13, 3, v18
	ds_load_b64 v[13:14], v13 offset:8
; %bb.144:                              ;   in Loop: Header=BB158_2 Depth=1
	s_wait_alu 0xfffe
	s_or_saveexec_b32 s11, s11
	v_dual_mov_b32 v16, v12 :: v_dual_mov_b32 v15, v11
	s_wait_alu 0xfffe
	s_xor_b32 exec_lo, exec_lo, s11
	s_cbranch_execz .LBB158_146
; %bb.145:                              ;   in Loop: Header=BB158_2 Depth=1
	s_wait_dscnt 0x0
	v_lshlrev_b32_e32 v13, 3, v17
	ds_load_b64 v[15:16], v13 offset:8
	v_dual_mov_b32 v14, v10 :: v_dual_mov_b32 v13, v9
.LBB158_146:                            ;   in Loop: Header=BB158_2 Depth=1
	s_or_b32 exec_lo, exec_lo, s11
	v_add_nc_u32_e32 v19, 1, v18
	v_add_nc_u32_e32 v20, 1, v17
	s_wait_dscnt 0x0
	v_cmp_lt_i64_e64 s11, v[15:16], v[13:14]
	s_delay_alu instid0(VALU_DEP_3) | instskip(NEXT) | instid1(VALU_DEP_3)
	v_cndmask_b32_e64 v22, v19, v18, s10
	v_cndmask_b32_e64 v21, v17, v20, s10
                                        ; implicit-def: $vgpr17_vgpr18
	s_delay_alu instid0(VALU_DEP_2) | instskip(NEXT) | instid1(VALU_DEP_2)
	v_cmp_ge_i32_e64 s12, v22, v62
	v_cmp_lt_i32_e64 s13, v21, v63
	s_or_b32 s11, s12, s11
	s_wait_alu 0xfffe
	s_and_b32 s11, s13, s11
	s_wait_alu 0xfffe
	s_xor_b32 s12, s11, -1
	s_wait_alu 0xfffe
	s_and_saveexec_b32 s13, s12
	s_wait_alu 0xfffe
	s_xor_b32 s12, exec_lo, s13
; %bb.147:                              ;   in Loop: Header=BB158_2 Depth=1
	v_lshlrev_b32_e32 v17, 3, v22
	ds_load_b64 v[17:18], v17 offset:8
; %bb.148:                              ;   in Loop: Header=BB158_2 Depth=1
	s_wait_alu 0xfffe
	s_or_saveexec_b32 s12, s12
	v_dual_mov_b32 v20, v16 :: v_dual_mov_b32 v19, v15
	s_wait_alu 0xfffe
	s_xor_b32 exec_lo, exec_lo, s12
	s_cbranch_execz .LBB158_150
; %bb.149:                              ;   in Loop: Header=BB158_2 Depth=1
	s_wait_dscnt 0x0
	v_lshlrev_b32_e32 v17, 3, v21
	ds_load_b64 v[19:20], v17 offset:8
	v_dual_mov_b32 v18, v14 :: v_dual_mov_b32 v17, v13
.LBB158_150:                            ;   in Loop: Header=BB158_2 Depth=1
	s_or_b32 exec_lo, exec_lo, s12
	v_add_nc_u32_e32 v23, 1, v22
	v_add_nc_u32_e32 v24, 1, v21
	s_wait_dscnt 0x0
	v_cmp_lt_i64_e64 s12, v[19:20], v[17:18]
	s_delay_alu instid0(VALU_DEP_3) | instskip(NEXT) | instid1(VALU_DEP_3)
	v_cndmask_b32_e64 v26, v23, v22, s11
	v_cndmask_b32_e64 v25, v21, v24, s11
                                        ; implicit-def: $vgpr21_vgpr22
	s_delay_alu instid0(VALU_DEP_2) | instskip(NEXT) | instid1(VALU_DEP_2)
	v_cmp_ge_i32_e64 s13, v26, v62
	v_cmp_lt_i32_e64 s14, v25, v63
	s_or_b32 s12, s13, s12
	s_wait_alu 0xfffe
	s_and_b32 s12, s14, s12
	s_wait_alu 0xfffe
	s_xor_b32 s13, s12, -1
	s_wait_alu 0xfffe
	s_and_saveexec_b32 s14, s13
	s_wait_alu 0xfffe
	s_xor_b32 s13, exec_lo, s14
; %bb.151:                              ;   in Loop: Header=BB158_2 Depth=1
	v_lshlrev_b32_e32 v21, 3, v26
	ds_load_b64 v[21:22], v21 offset:8
; %bb.152:                              ;   in Loop: Header=BB158_2 Depth=1
	s_wait_alu 0xfffe
	s_or_saveexec_b32 s13, s13
	v_dual_mov_b32 v24, v20 :: v_dual_mov_b32 v23, v19
	s_wait_alu 0xfffe
	s_xor_b32 exec_lo, exec_lo, s13
	s_cbranch_execz .LBB158_154
; %bb.153:                              ;   in Loop: Header=BB158_2 Depth=1
	s_wait_dscnt 0x0
	v_lshlrev_b32_e32 v21, 3, v25
	ds_load_b64 v[23:24], v21 offset:8
	v_dual_mov_b32 v22, v18 :: v_dual_mov_b32 v21, v17
.LBB158_154:                            ;   in Loop: Header=BB158_2 Depth=1
	s_or_b32 exec_lo, exec_lo, s13
	v_add_nc_u32_e32 v27, 1, v26
	v_add_nc_u32_e32 v28, 1, v25
	s_wait_dscnt 0x0
	v_cmp_lt_i64_e64 s13, v[23:24], v[21:22]
	s_delay_alu instid0(VALU_DEP_3) | instskip(NEXT) | instid1(VALU_DEP_3)
	v_cndmask_b32_e64 v30, v27, v26, s12
	v_cndmask_b32_e64 v29, v25, v28, s12
                                        ; implicit-def: $vgpr25_vgpr26
	s_delay_alu instid0(VALU_DEP_2) | instskip(NEXT) | instid1(VALU_DEP_2)
	v_cmp_ge_i32_e64 s14, v30, v62
	v_cmp_lt_i32_e64 s15, v29, v63
	s_or_b32 s13, s14, s13
	s_wait_alu 0xfffe
	s_and_b32 s13, s15, s13
	s_wait_alu 0xfffe
	s_xor_b32 s14, s13, -1
	s_wait_alu 0xfffe
	s_and_saveexec_b32 s15, s14
	s_wait_alu 0xfffe
	s_xor_b32 s14, exec_lo, s15
; %bb.155:                              ;   in Loop: Header=BB158_2 Depth=1
	v_lshlrev_b32_e32 v25, 3, v30
	ds_load_b64 v[25:26], v25 offset:8
; %bb.156:                              ;   in Loop: Header=BB158_2 Depth=1
	s_wait_alu 0xfffe
	s_or_saveexec_b32 s14, s14
	v_dual_mov_b32 v28, v24 :: v_dual_mov_b32 v27, v23
	s_wait_alu 0xfffe
	s_xor_b32 exec_lo, exec_lo, s14
	s_cbranch_execz .LBB158_158
; %bb.157:                              ;   in Loop: Header=BB158_2 Depth=1
	s_wait_dscnt 0x0
	v_lshlrev_b32_e32 v25, 3, v29
	ds_load_b64 v[27:28], v25 offset:8
	v_dual_mov_b32 v26, v22 :: v_dual_mov_b32 v25, v21
.LBB158_158:                            ;   in Loop: Header=BB158_2 Depth=1
	s_or_b32 exec_lo, exec_lo, s14
	v_add_nc_u32_e32 v31, 1, v30
	v_add_nc_u32_e32 v32, 1, v29
	s_wait_dscnt 0x0
	v_cmp_lt_i64_e64 s14, v[27:28], v[25:26]
	s_delay_alu instid0(VALU_DEP_3) | instskip(NEXT) | instid1(VALU_DEP_3)
	v_cndmask_b32_e64 v33, v31, v30, s13
	v_cndmask_b32_e64 v34, v29, v32, s13
                                        ; implicit-def: $vgpr29_vgpr30
	s_delay_alu instid0(VALU_DEP_2) | instskip(NEXT) | instid1(VALU_DEP_2)
	v_cmp_ge_i32_e64 s15, v33, v62
	v_cmp_lt_i32_e64 s16, v34, v63
	s_or_b32 s14, s15, s14
	s_wait_alu 0xfffe
	s_and_b32 s14, s16, s14
	s_wait_alu 0xfffe
	s_xor_b32 s15, s14, -1
	s_wait_alu 0xfffe
	s_and_saveexec_b32 s16, s15
	s_delay_alu instid0(SALU_CYCLE_1)
	s_xor_b32 s15, exec_lo, s16
; %bb.159:                              ;   in Loop: Header=BB158_2 Depth=1
	v_lshlrev_b32_e32 v29, 3, v33
	ds_load_b64 v[29:30], v29 offset:8
; %bb.160:                              ;   in Loop: Header=BB158_2 Depth=1
	s_wait_alu 0xfffe
	s_or_saveexec_b32 s15, s15
	v_dual_mov_b32 v32, v28 :: v_dual_mov_b32 v31, v27
	s_wait_alu 0xfffe
	s_xor_b32 exec_lo, exec_lo, s15
	s_cbranch_execz .LBB158_162
; %bb.161:                              ;   in Loop: Header=BB158_2 Depth=1
	s_wait_dscnt 0x0
	v_lshlrev_b32_e32 v29, 3, v34
	ds_load_b64 v[31:32], v29 offset:8
	v_dual_mov_b32 v30, v26 :: v_dual_mov_b32 v29, v25
.LBB158_162:                            ;   in Loop: Header=BB158_2 Depth=1
	s_or_b32 exec_lo, exec_lo, s15
	v_add_nc_u32_e32 v36, 1, v33
	v_add_nc_u32_e32 v35, 1, v34
	v_cndmask_b32_e64 v26, v26, v28, s14
	v_cndmask_b32_e64 v25, v25, v27, s14
	;; [unrolled: 1-line block ×6, first 2 shown]
	s_wait_dscnt 0x0
	v_cmp_lt_i64_e64 s10, v[31:32], v[29:30]
	v_cndmask_b32_e64 v14, v14, v16, s11
	v_cndmask_b32_e64 v13, v13, v15, s11
	v_cmp_ge_i32_e64 s11, v28, v62
	v_cndmask_b32_e64 v18, v18, v20, s12
	v_cndmask_b32_e64 v17, v17, v19, s12
	v_cmp_lt_i32_e64 s12, v27, v63
	v_cndmask_b32_e64 v6, v6, v8, s9
	v_cndmask_b32_e64 v5, v5, v7, s9
	s_or_b32 s9, s11, s10
	v_cndmask_b32_e64 v2, v2, v4, s8
	v_cndmask_b32_e64 v1, v1, v3, s8
	s_wait_alu 0xfffe
	s_and_b32 s8, s12, s9
	v_cndmask_b32_e64 v22, v22, v24, s13
	v_cndmask_b32_e64 v21, v21, v23, s13
	s_wait_alu 0xfffe
	v_cndmask_b32_e64 v4, v30, v32, s8
	v_cndmask_b32_e64 v3, v29, v31, s8
	s_wait_loadcnt 0x0
	s_barrier_signal -1
	s_barrier_wait -1
	global_inv scope:SCOPE_SE
	ds_store_2addr_b64 v45, v[1:2], v[5:6] offset1:1
	ds_store_2addr_b64 v45, v[9:10], v[13:14] offset0:2 offset1:3
	ds_store_2addr_b64 v45, v[17:18], v[21:22] offset0:4 offset1:5
	;; [unrolled: 1-line block ×3, first 2 shown]
	v_mov_b32_e32 v5, v79
	s_wait_loadcnt_dscnt 0x0
	s_barrier_signal -1
	s_barrier_wait -1
	global_inv scope:SCOPE_SE
	s_and_saveexec_b32 s9, s4
	s_cbranch_execz .LBB158_166
; %bb.163:                              ;   in Loop: Header=BB158_2 Depth=1
	v_mov_b32_e32 v5, v79
	v_mov_b32_e32 v1, v82
	s_mov_b32 s10, 0
.LBB158_164:                            ;   Parent Loop BB158_2 Depth=1
                                        ; =>  This Inner Loop Header: Depth=2
	s_delay_alu instid0(VALU_DEP_1) | instskip(NEXT) | instid1(VALU_DEP_1)
	v_sub_nc_u32_e32 v2, v1, v5
	v_lshrrev_b32_e32 v2, 1, v2
	s_delay_alu instid0(VALU_DEP_1) | instskip(NEXT) | instid1(VALU_DEP_1)
	v_add_nc_u32_e32 v4, v2, v5
	v_not_b32_e32 v2, v4
	v_lshl_add_u32 v3, v4, 3, v77
	s_delay_alu instid0(VALU_DEP_2)
	v_lshl_add_u32 v6, v2, 3, v102
	ds_load_b64 v[2:3], v3
	ds_load_b64 v[6:7], v6
	s_wait_dscnt 0x0
	v_cmp_lt_i64_e64 s8, v[6:7], v[2:3]
	v_add_nc_u32_e32 v2, 1, v4
	s_wait_alu 0xf1ff
	s_delay_alu instid0(VALU_DEP_2) | instskip(NEXT) | instid1(VALU_DEP_2)
	v_cndmask_b32_e64 v1, v1, v4, s8
	v_cndmask_b32_e64 v5, v2, v5, s8
	s_delay_alu instid0(VALU_DEP_1)
	v_cmp_ge_i32_e64 s8, v5, v1
	s_wait_alu 0xfffe
	s_or_b32 s10, s8, s10
	s_wait_alu 0xfffe
	s_and_not1_b32 exec_lo, exec_lo, s10
	s_cbranch_execnz .LBB158_164
; %bb.165:                              ;   in Loop: Header=BB158_2 Depth=1
	s_or_b32 exec_lo, exec_lo, s10
.LBB158_166:                            ;   in Loop: Header=BB158_2 Depth=1
	s_wait_alu 0xfffe
	s_or_b32 exec_lo, exec_lo, s9
	v_sub_nc_u32_e32 v9, v85, v5
	v_lshl_add_u32 v7, v5, 3, v77
	v_add_nc_u32_e32 v10, v5, v67
                                        ; implicit-def: $vgpr5_vgpr6
	s_delay_alu instid0(VALU_DEP_3) | instskip(SKIP_1) | instid1(VALU_DEP_3)
	v_lshlrev_b32_e32 v11, 3, v9
	v_cmp_gt_i32_e64 s10, v70, v9
	v_cmp_le_i32_e64 s9, v69, v10
	ds_load_b64 v[1:2], v7
	ds_load_b64 v[3:4], v11
	s_wait_dscnt 0x0
	v_cmp_lt_i64_e64 s8, v[3:4], v[1:2]
	s_or_b32 s8, s9, s8
	s_wait_alu 0xfffe
	s_and_b32 s8, s10, s8
	s_wait_alu 0xfffe
	s_xor_b32 s9, s8, -1
	s_wait_alu 0xfffe
	s_and_saveexec_b32 s10, s9
	s_wait_alu 0xfffe
	s_xor_b32 s9, exec_lo, s10
; %bb.167:                              ;   in Loop: Header=BB158_2 Depth=1
	ds_load_b64 v[5:6], v7 offset:8
                                        ; implicit-def: $vgpr11
; %bb.168:                              ;   in Loop: Header=BB158_2 Depth=1
	s_wait_alu 0xfffe
	s_or_saveexec_b32 s9, s9
	v_dual_mov_b32 v8, v4 :: v_dual_mov_b32 v7, v3
	s_wait_alu 0xfffe
	s_xor_b32 exec_lo, exec_lo, s9
	s_cbranch_execz .LBB158_170
; %bb.169:                              ;   in Loop: Header=BB158_2 Depth=1
	ds_load_b64 v[7:8], v11 offset:8
	s_wait_dscnt 0x1
	v_dual_mov_b32 v6, v2 :: v_dual_mov_b32 v5, v1
.LBB158_170:                            ;   in Loop: Header=BB158_2 Depth=1
	s_or_b32 exec_lo, exec_lo, s9
	v_add_nc_u32_e32 v11, 1, v10
	v_add_nc_u32_e32 v12, 1, v9
	s_wait_dscnt 0x0
	v_cmp_lt_i64_e64 s9, v[7:8], v[5:6]
	s_delay_alu instid0(VALU_DEP_3) | instskip(NEXT) | instid1(VALU_DEP_3)
	v_cndmask_b32_e64 v14, v11, v10, s8
	v_cndmask_b32_e64 v13, v9, v12, s8
                                        ; implicit-def: $vgpr9_vgpr10
	s_delay_alu instid0(VALU_DEP_2) | instskip(NEXT) | instid1(VALU_DEP_2)
	v_cmp_ge_i32_e64 s10, v14, v69
	v_cmp_lt_i32_e64 s11, v13, v70
	s_or_b32 s9, s10, s9
	s_wait_alu 0xfffe
	s_and_b32 s9, s11, s9
	s_wait_alu 0xfffe
	s_xor_b32 s10, s9, -1
	s_wait_alu 0xfffe
	s_and_saveexec_b32 s11, s10
	s_wait_alu 0xfffe
	s_xor_b32 s10, exec_lo, s11
; %bb.171:                              ;   in Loop: Header=BB158_2 Depth=1
	v_lshlrev_b32_e32 v9, 3, v14
	ds_load_b64 v[9:10], v9 offset:8
; %bb.172:                              ;   in Loop: Header=BB158_2 Depth=1
	s_wait_alu 0xfffe
	s_or_saveexec_b32 s10, s10
	v_dual_mov_b32 v12, v8 :: v_dual_mov_b32 v11, v7
	s_wait_alu 0xfffe
	s_xor_b32 exec_lo, exec_lo, s10
	s_cbranch_execz .LBB158_174
; %bb.173:                              ;   in Loop: Header=BB158_2 Depth=1
	s_wait_dscnt 0x0
	v_lshlrev_b32_e32 v9, 3, v13
	ds_load_b64 v[11:12], v9 offset:8
	v_dual_mov_b32 v10, v6 :: v_dual_mov_b32 v9, v5
.LBB158_174:                            ;   in Loop: Header=BB158_2 Depth=1
	s_or_b32 exec_lo, exec_lo, s10
	v_add_nc_u32_e32 v15, 1, v14
	v_add_nc_u32_e32 v16, 1, v13
	s_wait_dscnt 0x0
	v_cmp_lt_i64_e64 s10, v[11:12], v[9:10]
	s_delay_alu instid0(VALU_DEP_3) | instskip(NEXT) | instid1(VALU_DEP_3)
	v_cndmask_b32_e64 v18, v15, v14, s9
	v_cndmask_b32_e64 v17, v13, v16, s9
                                        ; implicit-def: $vgpr13_vgpr14
	s_delay_alu instid0(VALU_DEP_2) | instskip(NEXT) | instid1(VALU_DEP_2)
	v_cmp_ge_i32_e64 s11, v18, v69
	v_cmp_lt_i32_e64 s12, v17, v70
	s_or_b32 s10, s11, s10
	s_wait_alu 0xfffe
	s_and_b32 s10, s12, s10
	s_wait_alu 0xfffe
	s_xor_b32 s11, s10, -1
	s_wait_alu 0xfffe
	s_and_saveexec_b32 s12, s11
	s_wait_alu 0xfffe
	s_xor_b32 s11, exec_lo, s12
; %bb.175:                              ;   in Loop: Header=BB158_2 Depth=1
	v_lshlrev_b32_e32 v13, 3, v18
	ds_load_b64 v[13:14], v13 offset:8
; %bb.176:                              ;   in Loop: Header=BB158_2 Depth=1
	s_wait_alu 0xfffe
	s_or_saveexec_b32 s11, s11
	v_dual_mov_b32 v16, v12 :: v_dual_mov_b32 v15, v11
	s_wait_alu 0xfffe
	s_xor_b32 exec_lo, exec_lo, s11
	s_cbranch_execz .LBB158_178
; %bb.177:                              ;   in Loop: Header=BB158_2 Depth=1
	s_wait_dscnt 0x0
	v_lshlrev_b32_e32 v13, 3, v17
	ds_load_b64 v[15:16], v13 offset:8
	v_dual_mov_b32 v14, v10 :: v_dual_mov_b32 v13, v9
.LBB158_178:                            ;   in Loop: Header=BB158_2 Depth=1
	s_or_b32 exec_lo, exec_lo, s11
	v_add_nc_u32_e32 v19, 1, v18
	v_add_nc_u32_e32 v20, 1, v17
	s_wait_dscnt 0x0
	v_cmp_lt_i64_e64 s11, v[15:16], v[13:14]
	s_delay_alu instid0(VALU_DEP_3) | instskip(NEXT) | instid1(VALU_DEP_3)
	v_cndmask_b32_e64 v22, v19, v18, s10
	v_cndmask_b32_e64 v21, v17, v20, s10
                                        ; implicit-def: $vgpr17_vgpr18
	s_delay_alu instid0(VALU_DEP_2) | instskip(NEXT) | instid1(VALU_DEP_2)
	v_cmp_ge_i32_e64 s12, v22, v69
	v_cmp_lt_i32_e64 s13, v21, v70
	s_or_b32 s11, s12, s11
	s_wait_alu 0xfffe
	s_and_b32 s11, s13, s11
	s_wait_alu 0xfffe
	s_xor_b32 s12, s11, -1
	s_wait_alu 0xfffe
	s_and_saveexec_b32 s13, s12
	s_wait_alu 0xfffe
	s_xor_b32 s12, exec_lo, s13
; %bb.179:                              ;   in Loop: Header=BB158_2 Depth=1
	v_lshlrev_b32_e32 v17, 3, v22
	ds_load_b64 v[17:18], v17 offset:8
; %bb.180:                              ;   in Loop: Header=BB158_2 Depth=1
	s_wait_alu 0xfffe
	s_or_saveexec_b32 s12, s12
	v_dual_mov_b32 v20, v16 :: v_dual_mov_b32 v19, v15
	s_wait_alu 0xfffe
	s_xor_b32 exec_lo, exec_lo, s12
	s_cbranch_execz .LBB158_182
; %bb.181:                              ;   in Loop: Header=BB158_2 Depth=1
	s_wait_dscnt 0x0
	v_lshlrev_b32_e32 v17, 3, v21
	ds_load_b64 v[19:20], v17 offset:8
	v_dual_mov_b32 v18, v14 :: v_dual_mov_b32 v17, v13
.LBB158_182:                            ;   in Loop: Header=BB158_2 Depth=1
	s_or_b32 exec_lo, exec_lo, s12
	v_add_nc_u32_e32 v23, 1, v22
	v_add_nc_u32_e32 v24, 1, v21
	s_wait_dscnt 0x0
	v_cmp_lt_i64_e64 s12, v[19:20], v[17:18]
	s_delay_alu instid0(VALU_DEP_3) | instskip(NEXT) | instid1(VALU_DEP_3)
	v_cndmask_b32_e64 v26, v23, v22, s11
	v_cndmask_b32_e64 v25, v21, v24, s11
                                        ; implicit-def: $vgpr21_vgpr22
	s_delay_alu instid0(VALU_DEP_2) | instskip(NEXT) | instid1(VALU_DEP_2)
	v_cmp_ge_i32_e64 s13, v26, v69
	v_cmp_lt_i32_e64 s14, v25, v70
	s_or_b32 s12, s13, s12
	s_wait_alu 0xfffe
	s_and_b32 s12, s14, s12
	s_wait_alu 0xfffe
	s_xor_b32 s13, s12, -1
	s_wait_alu 0xfffe
	s_and_saveexec_b32 s14, s13
	s_wait_alu 0xfffe
	s_xor_b32 s13, exec_lo, s14
; %bb.183:                              ;   in Loop: Header=BB158_2 Depth=1
	v_lshlrev_b32_e32 v21, 3, v26
	ds_load_b64 v[21:22], v21 offset:8
; %bb.184:                              ;   in Loop: Header=BB158_2 Depth=1
	s_wait_alu 0xfffe
	s_or_saveexec_b32 s13, s13
	v_dual_mov_b32 v24, v20 :: v_dual_mov_b32 v23, v19
	s_wait_alu 0xfffe
	s_xor_b32 exec_lo, exec_lo, s13
	s_cbranch_execz .LBB158_186
; %bb.185:                              ;   in Loop: Header=BB158_2 Depth=1
	s_wait_dscnt 0x0
	v_lshlrev_b32_e32 v21, 3, v25
	ds_load_b64 v[23:24], v21 offset:8
	v_dual_mov_b32 v22, v18 :: v_dual_mov_b32 v21, v17
.LBB158_186:                            ;   in Loop: Header=BB158_2 Depth=1
	s_or_b32 exec_lo, exec_lo, s13
	v_add_nc_u32_e32 v27, 1, v26
	v_add_nc_u32_e32 v28, 1, v25
	s_wait_dscnt 0x0
	v_cmp_lt_i64_e64 s13, v[23:24], v[21:22]
	s_delay_alu instid0(VALU_DEP_3) | instskip(NEXT) | instid1(VALU_DEP_3)
	v_cndmask_b32_e64 v30, v27, v26, s12
	v_cndmask_b32_e64 v29, v25, v28, s12
                                        ; implicit-def: $vgpr25_vgpr26
	s_delay_alu instid0(VALU_DEP_2) | instskip(NEXT) | instid1(VALU_DEP_2)
	v_cmp_ge_i32_e64 s14, v30, v69
	v_cmp_lt_i32_e64 s15, v29, v70
	s_or_b32 s13, s14, s13
	s_wait_alu 0xfffe
	s_and_b32 s13, s15, s13
	s_wait_alu 0xfffe
	s_xor_b32 s14, s13, -1
	s_wait_alu 0xfffe
	s_and_saveexec_b32 s15, s14
	s_wait_alu 0xfffe
	s_xor_b32 s14, exec_lo, s15
; %bb.187:                              ;   in Loop: Header=BB158_2 Depth=1
	v_lshlrev_b32_e32 v25, 3, v30
	ds_load_b64 v[25:26], v25 offset:8
; %bb.188:                              ;   in Loop: Header=BB158_2 Depth=1
	s_wait_alu 0xfffe
	s_or_saveexec_b32 s14, s14
	v_dual_mov_b32 v28, v24 :: v_dual_mov_b32 v27, v23
	s_wait_alu 0xfffe
	s_xor_b32 exec_lo, exec_lo, s14
	s_cbranch_execz .LBB158_190
; %bb.189:                              ;   in Loop: Header=BB158_2 Depth=1
	s_wait_dscnt 0x0
	v_lshlrev_b32_e32 v25, 3, v29
	ds_load_b64 v[27:28], v25 offset:8
	v_dual_mov_b32 v26, v22 :: v_dual_mov_b32 v25, v21
.LBB158_190:                            ;   in Loop: Header=BB158_2 Depth=1
	s_or_b32 exec_lo, exec_lo, s14
	v_add_nc_u32_e32 v31, 1, v30
	v_add_nc_u32_e32 v32, 1, v29
	s_wait_dscnt 0x0
	v_cmp_lt_i64_e64 s14, v[27:28], v[25:26]
	s_delay_alu instid0(VALU_DEP_3) | instskip(NEXT) | instid1(VALU_DEP_3)
	v_cndmask_b32_e64 v33, v31, v30, s13
	v_cndmask_b32_e64 v34, v29, v32, s13
                                        ; implicit-def: $vgpr29_vgpr30
	s_delay_alu instid0(VALU_DEP_2) | instskip(NEXT) | instid1(VALU_DEP_2)
	v_cmp_ge_i32_e64 s15, v33, v69
	v_cmp_lt_i32_e64 s16, v34, v70
	s_or_b32 s14, s15, s14
	s_wait_alu 0xfffe
	s_and_b32 s14, s16, s14
	s_wait_alu 0xfffe
	s_xor_b32 s15, s14, -1
	s_wait_alu 0xfffe
	s_and_saveexec_b32 s16, s15
	s_delay_alu instid0(SALU_CYCLE_1)
	s_xor_b32 s15, exec_lo, s16
; %bb.191:                              ;   in Loop: Header=BB158_2 Depth=1
	v_lshlrev_b32_e32 v29, 3, v33
	ds_load_b64 v[29:30], v29 offset:8
; %bb.192:                              ;   in Loop: Header=BB158_2 Depth=1
	s_wait_alu 0xfffe
	s_or_saveexec_b32 s15, s15
	v_dual_mov_b32 v32, v28 :: v_dual_mov_b32 v31, v27
	s_wait_alu 0xfffe
	s_xor_b32 exec_lo, exec_lo, s15
	s_cbranch_execz .LBB158_194
; %bb.193:                              ;   in Loop: Header=BB158_2 Depth=1
	s_wait_dscnt 0x0
	v_lshlrev_b32_e32 v29, 3, v34
	ds_load_b64 v[31:32], v29 offset:8
	v_dual_mov_b32 v30, v26 :: v_dual_mov_b32 v29, v25
.LBB158_194:                            ;   in Loop: Header=BB158_2 Depth=1
	s_or_b32 exec_lo, exec_lo, s15
	v_add_nc_u32_e32 v36, 1, v33
	v_add_nc_u32_e32 v35, 1, v34
	v_cndmask_b32_e64 v26, v26, v28, s14
	v_cndmask_b32_e64 v25, v25, v27, s14
	v_cndmask_b32_e64 v10, v10, v12, s10
	v_cndmask_b32_e64 v28, v36, v33, s14
	v_cndmask_b32_e64 v27, v34, v35, s14
	v_cndmask_b32_e64 v9, v9, v11, s10
	s_wait_dscnt 0x0
	v_cmp_lt_i64_e64 s10, v[31:32], v[29:30]
	v_cndmask_b32_e64 v14, v14, v16, s11
	v_cndmask_b32_e64 v13, v13, v15, s11
	v_cmp_ge_i32_e64 s11, v28, v69
	v_cndmask_b32_e64 v18, v18, v20, s12
	v_cndmask_b32_e64 v17, v17, v19, s12
	v_cmp_lt_i32_e64 s12, v27, v70
	v_cndmask_b32_e64 v6, v6, v8, s9
	v_cndmask_b32_e64 v5, v5, v7, s9
	s_or_b32 s9, s11, s10
	v_cndmask_b32_e64 v2, v2, v4, s8
	v_cndmask_b32_e64 v1, v1, v3, s8
	s_wait_alu 0xfffe
	s_and_b32 s8, s12, s9
	v_cndmask_b32_e64 v22, v22, v24, s13
	v_cndmask_b32_e64 v21, v21, v23, s13
	s_wait_alu 0xfffe
	v_cndmask_b32_e64 v4, v30, v32, s8
	v_cndmask_b32_e64 v3, v29, v31, s8
	s_wait_loadcnt 0x0
	s_barrier_signal -1
	s_barrier_wait -1
	global_inv scope:SCOPE_SE
	ds_store_2addr_b64 v45, v[1:2], v[5:6] offset1:1
	ds_store_2addr_b64 v45, v[9:10], v[13:14] offset0:2 offset1:3
	ds_store_2addr_b64 v45, v[17:18], v[21:22] offset0:4 offset1:5
	;; [unrolled: 1-line block ×3, first 2 shown]
	v_mov_b32_e32 v5, v86
	s_wait_loadcnt_dscnt 0x0
	s_barrier_signal -1
	s_barrier_wait -1
	global_inv scope:SCOPE_SE
	s_and_saveexec_b32 s9, s5
	s_cbranch_execz .LBB158_198
; %bb.195:                              ;   in Loop: Header=BB158_2 Depth=1
	v_mov_b32_e32 v5, v86
	v_mov_b32_e32 v1, v87
	s_mov_b32 s10, 0
.LBB158_196:                            ;   Parent Loop BB158_2 Depth=1
                                        ; =>  This Inner Loop Header: Depth=2
	s_delay_alu instid0(VALU_DEP_1) | instskip(NEXT) | instid1(VALU_DEP_1)
	v_sub_nc_u32_e32 v2, v1, v5
	v_lshrrev_b32_e32 v2, 1, v2
	s_delay_alu instid0(VALU_DEP_1) | instskip(NEXT) | instid1(VALU_DEP_1)
	v_add_nc_u32_e32 v4, v2, v5
	v_not_b32_e32 v2, v4
	v_lshl_add_u32 v3, v4, 3, v90
	s_delay_alu instid0(VALU_DEP_2)
	v_lshl_add_u32 v6, v2, 3, v103
	ds_load_b64 v[2:3], v3
	ds_load_b64 v[6:7], v6
	s_wait_dscnt 0x0
	v_cmp_lt_i64_e64 s8, v[6:7], v[2:3]
	v_add_nc_u32_e32 v2, 1, v4
	s_wait_alu 0xf1ff
	s_delay_alu instid0(VALU_DEP_2) | instskip(NEXT) | instid1(VALU_DEP_2)
	v_cndmask_b32_e64 v1, v1, v4, s8
	v_cndmask_b32_e64 v5, v2, v5, s8
	s_delay_alu instid0(VALU_DEP_1)
	v_cmp_ge_i32_e64 s8, v5, v1
	s_wait_alu 0xfffe
	s_or_b32 s10, s8, s10
	s_wait_alu 0xfffe
	s_and_not1_b32 exec_lo, exec_lo, s10
	s_cbranch_execnz .LBB158_196
; %bb.197:                              ;   in Loop: Header=BB158_2 Depth=1
	s_or_b32 exec_lo, exec_lo, s10
.LBB158_198:                            ;   in Loop: Header=BB158_2 Depth=1
	s_wait_alu 0xfffe
	s_or_b32 exec_lo, exec_lo, s9
	v_sub_nc_u32_e32 v9, v91, v5
	v_lshl_add_u32 v7, v5, 3, v90
	v_add_nc_u32_e32 v10, v5, v76
                                        ; implicit-def: $vgpr5_vgpr6
	s_delay_alu instid0(VALU_DEP_3) | instskip(SKIP_1) | instid1(VALU_DEP_3)
	v_lshlrev_b32_e32 v11, 3, v9
	v_cmp_gt_i32_e64 s10, v81, v9
	v_cmp_le_i32_e64 s9, v80, v10
	ds_load_b64 v[1:2], v7
	ds_load_b64 v[3:4], v11
	s_wait_dscnt 0x0
	v_cmp_lt_i64_e64 s8, v[3:4], v[1:2]
	s_or_b32 s8, s9, s8
	s_wait_alu 0xfffe
	s_and_b32 s8, s10, s8
	s_wait_alu 0xfffe
	s_xor_b32 s9, s8, -1
	s_wait_alu 0xfffe
	s_and_saveexec_b32 s10, s9
	s_wait_alu 0xfffe
	s_xor_b32 s9, exec_lo, s10
; %bb.199:                              ;   in Loop: Header=BB158_2 Depth=1
	ds_load_b64 v[5:6], v7 offset:8
                                        ; implicit-def: $vgpr11
; %bb.200:                              ;   in Loop: Header=BB158_2 Depth=1
	s_wait_alu 0xfffe
	s_or_saveexec_b32 s9, s9
	v_dual_mov_b32 v8, v4 :: v_dual_mov_b32 v7, v3
	s_wait_alu 0xfffe
	s_xor_b32 exec_lo, exec_lo, s9
	s_cbranch_execz .LBB158_202
; %bb.201:                              ;   in Loop: Header=BB158_2 Depth=1
	ds_load_b64 v[7:8], v11 offset:8
	s_wait_dscnt 0x1
	v_dual_mov_b32 v6, v2 :: v_dual_mov_b32 v5, v1
.LBB158_202:                            ;   in Loop: Header=BB158_2 Depth=1
	s_or_b32 exec_lo, exec_lo, s9
	v_add_nc_u32_e32 v11, 1, v10
	v_add_nc_u32_e32 v12, 1, v9
	s_wait_dscnt 0x0
	v_cmp_lt_i64_e64 s9, v[7:8], v[5:6]
	s_delay_alu instid0(VALU_DEP_3) | instskip(NEXT) | instid1(VALU_DEP_3)
	v_cndmask_b32_e64 v14, v11, v10, s8
	v_cndmask_b32_e64 v13, v9, v12, s8
                                        ; implicit-def: $vgpr9_vgpr10
	s_delay_alu instid0(VALU_DEP_2) | instskip(NEXT) | instid1(VALU_DEP_2)
	v_cmp_ge_i32_e64 s10, v14, v80
	v_cmp_lt_i32_e64 s11, v13, v81
	s_or_b32 s9, s10, s9
	s_wait_alu 0xfffe
	s_and_b32 s9, s11, s9
	s_wait_alu 0xfffe
	s_xor_b32 s10, s9, -1
	s_wait_alu 0xfffe
	s_and_saveexec_b32 s11, s10
	s_wait_alu 0xfffe
	s_xor_b32 s10, exec_lo, s11
; %bb.203:                              ;   in Loop: Header=BB158_2 Depth=1
	v_lshlrev_b32_e32 v9, 3, v14
	ds_load_b64 v[9:10], v9 offset:8
; %bb.204:                              ;   in Loop: Header=BB158_2 Depth=1
	s_wait_alu 0xfffe
	s_or_saveexec_b32 s10, s10
	v_dual_mov_b32 v12, v8 :: v_dual_mov_b32 v11, v7
	s_wait_alu 0xfffe
	s_xor_b32 exec_lo, exec_lo, s10
	s_cbranch_execz .LBB158_206
; %bb.205:                              ;   in Loop: Header=BB158_2 Depth=1
	s_wait_dscnt 0x0
	v_lshlrev_b32_e32 v9, 3, v13
	ds_load_b64 v[11:12], v9 offset:8
	v_dual_mov_b32 v10, v6 :: v_dual_mov_b32 v9, v5
.LBB158_206:                            ;   in Loop: Header=BB158_2 Depth=1
	s_or_b32 exec_lo, exec_lo, s10
	v_add_nc_u32_e32 v15, 1, v14
	v_add_nc_u32_e32 v16, 1, v13
	s_wait_dscnt 0x0
	v_cmp_lt_i64_e64 s10, v[11:12], v[9:10]
	s_delay_alu instid0(VALU_DEP_3) | instskip(NEXT) | instid1(VALU_DEP_3)
	v_cndmask_b32_e64 v18, v15, v14, s9
	v_cndmask_b32_e64 v17, v13, v16, s9
                                        ; implicit-def: $vgpr13_vgpr14
	s_delay_alu instid0(VALU_DEP_2) | instskip(NEXT) | instid1(VALU_DEP_2)
	v_cmp_ge_i32_e64 s11, v18, v80
	v_cmp_lt_i32_e64 s12, v17, v81
	s_or_b32 s10, s11, s10
	s_wait_alu 0xfffe
	s_and_b32 s10, s12, s10
	s_wait_alu 0xfffe
	s_xor_b32 s11, s10, -1
	s_wait_alu 0xfffe
	s_and_saveexec_b32 s12, s11
	s_wait_alu 0xfffe
	s_xor_b32 s11, exec_lo, s12
; %bb.207:                              ;   in Loop: Header=BB158_2 Depth=1
	v_lshlrev_b32_e32 v13, 3, v18
	ds_load_b64 v[13:14], v13 offset:8
; %bb.208:                              ;   in Loop: Header=BB158_2 Depth=1
	s_wait_alu 0xfffe
	s_or_saveexec_b32 s11, s11
	v_dual_mov_b32 v16, v12 :: v_dual_mov_b32 v15, v11
	s_wait_alu 0xfffe
	s_xor_b32 exec_lo, exec_lo, s11
	s_cbranch_execz .LBB158_210
; %bb.209:                              ;   in Loop: Header=BB158_2 Depth=1
	s_wait_dscnt 0x0
	v_lshlrev_b32_e32 v13, 3, v17
	ds_load_b64 v[15:16], v13 offset:8
	v_dual_mov_b32 v14, v10 :: v_dual_mov_b32 v13, v9
.LBB158_210:                            ;   in Loop: Header=BB158_2 Depth=1
	s_or_b32 exec_lo, exec_lo, s11
	v_add_nc_u32_e32 v19, 1, v18
	v_add_nc_u32_e32 v20, 1, v17
	s_wait_dscnt 0x0
	v_cmp_lt_i64_e64 s11, v[15:16], v[13:14]
	s_delay_alu instid0(VALU_DEP_3) | instskip(NEXT) | instid1(VALU_DEP_3)
	v_cndmask_b32_e64 v22, v19, v18, s10
	v_cndmask_b32_e64 v21, v17, v20, s10
                                        ; implicit-def: $vgpr17_vgpr18
	s_delay_alu instid0(VALU_DEP_2) | instskip(NEXT) | instid1(VALU_DEP_2)
	v_cmp_ge_i32_e64 s12, v22, v80
	v_cmp_lt_i32_e64 s13, v21, v81
	s_or_b32 s11, s12, s11
	s_wait_alu 0xfffe
	s_and_b32 s11, s13, s11
	s_wait_alu 0xfffe
	s_xor_b32 s12, s11, -1
	s_wait_alu 0xfffe
	s_and_saveexec_b32 s13, s12
	s_wait_alu 0xfffe
	s_xor_b32 s12, exec_lo, s13
; %bb.211:                              ;   in Loop: Header=BB158_2 Depth=1
	v_lshlrev_b32_e32 v17, 3, v22
	ds_load_b64 v[17:18], v17 offset:8
; %bb.212:                              ;   in Loop: Header=BB158_2 Depth=1
	s_wait_alu 0xfffe
	s_or_saveexec_b32 s12, s12
	v_dual_mov_b32 v20, v16 :: v_dual_mov_b32 v19, v15
	s_wait_alu 0xfffe
	s_xor_b32 exec_lo, exec_lo, s12
	s_cbranch_execz .LBB158_214
; %bb.213:                              ;   in Loop: Header=BB158_2 Depth=1
	s_wait_dscnt 0x0
	v_lshlrev_b32_e32 v17, 3, v21
	ds_load_b64 v[19:20], v17 offset:8
	v_dual_mov_b32 v18, v14 :: v_dual_mov_b32 v17, v13
.LBB158_214:                            ;   in Loop: Header=BB158_2 Depth=1
	s_or_b32 exec_lo, exec_lo, s12
	v_add_nc_u32_e32 v23, 1, v22
	v_add_nc_u32_e32 v24, 1, v21
	s_wait_dscnt 0x0
	v_cmp_lt_i64_e64 s12, v[19:20], v[17:18]
	s_delay_alu instid0(VALU_DEP_3) | instskip(NEXT) | instid1(VALU_DEP_3)
	v_cndmask_b32_e64 v26, v23, v22, s11
	v_cndmask_b32_e64 v25, v21, v24, s11
                                        ; implicit-def: $vgpr21_vgpr22
	s_delay_alu instid0(VALU_DEP_2) | instskip(NEXT) | instid1(VALU_DEP_2)
	v_cmp_ge_i32_e64 s13, v26, v80
	v_cmp_lt_i32_e64 s14, v25, v81
	s_or_b32 s12, s13, s12
	s_wait_alu 0xfffe
	s_and_b32 s12, s14, s12
	s_wait_alu 0xfffe
	s_xor_b32 s13, s12, -1
	s_wait_alu 0xfffe
	s_and_saveexec_b32 s14, s13
	s_wait_alu 0xfffe
	s_xor_b32 s13, exec_lo, s14
; %bb.215:                              ;   in Loop: Header=BB158_2 Depth=1
	v_lshlrev_b32_e32 v21, 3, v26
	ds_load_b64 v[21:22], v21 offset:8
; %bb.216:                              ;   in Loop: Header=BB158_2 Depth=1
	s_wait_alu 0xfffe
	s_or_saveexec_b32 s13, s13
	v_dual_mov_b32 v24, v20 :: v_dual_mov_b32 v23, v19
	s_wait_alu 0xfffe
	s_xor_b32 exec_lo, exec_lo, s13
	s_cbranch_execz .LBB158_218
; %bb.217:                              ;   in Loop: Header=BB158_2 Depth=1
	s_wait_dscnt 0x0
	v_lshlrev_b32_e32 v21, 3, v25
	ds_load_b64 v[23:24], v21 offset:8
	v_dual_mov_b32 v22, v18 :: v_dual_mov_b32 v21, v17
.LBB158_218:                            ;   in Loop: Header=BB158_2 Depth=1
	s_or_b32 exec_lo, exec_lo, s13
	v_add_nc_u32_e32 v27, 1, v26
	v_add_nc_u32_e32 v28, 1, v25
	s_wait_dscnt 0x0
	v_cmp_lt_i64_e64 s13, v[23:24], v[21:22]
	s_delay_alu instid0(VALU_DEP_3) | instskip(NEXT) | instid1(VALU_DEP_3)
	v_cndmask_b32_e64 v30, v27, v26, s12
	v_cndmask_b32_e64 v29, v25, v28, s12
                                        ; implicit-def: $vgpr25_vgpr26
	s_delay_alu instid0(VALU_DEP_2) | instskip(NEXT) | instid1(VALU_DEP_2)
	v_cmp_ge_i32_e64 s14, v30, v80
	v_cmp_lt_i32_e64 s15, v29, v81
	s_or_b32 s13, s14, s13
	s_wait_alu 0xfffe
	s_and_b32 s13, s15, s13
	s_wait_alu 0xfffe
	s_xor_b32 s14, s13, -1
	s_wait_alu 0xfffe
	s_and_saveexec_b32 s15, s14
	s_wait_alu 0xfffe
	s_xor_b32 s14, exec_lo, s15
; %bb.219:                              ;   in Loop: Header=BB158_2 Depth=1
	v_lshlrev_b32_e32 v25, 3, v30
	ds_load_b64 v[25:26], v25 offset:8
; %bb.220:                              ;   in Loop: Header=BB158_2 Depth=1
	s_wait_alu 0xfffe
	s_or_saveexec_b32 s14, s14
	v_dual_mov_b32 v28, v24 :: v_dual_mov_b32 v27, v23
	s_wait_alu 0xfffe
	s_xor_b32 exec_lo, exec_lo, s14
	s_cbranch_execz .LBB158_222
; %bb.221:                              ;   in Loop: Header=BB158_2 Depth=1
	s_wait_dscnt 0x0
	v_lshlrev_b32_e32 v25, 3, v29
	ds_load_b64 v[27:28], v25 offset:8
	v_dual_mov_b32 v26, v22 :: v_dual_mov_b32 v25, v21
.LBB158_222:                            ;   in Loop: Header=BB158_2 Depth=1
	s_or_b32 exec_lo, exec_lo, s14
	v_add_nc_u32_e32 v31, 1, v30
	v_add_nc_u32_e32 v32, 1, v29
	s_wait_dscnt 0x0
	v_cmp_lt_i64_e64 s14, v[27:28], v[25:26]
	s_delay_alu instid0(VALU_DEP_3) | instskip(NEXT) | instid1(VALU_DEP_3)
	v_cndmask_b32_e64 v33, v31, v30, s13
	v_cndmask_b32_e64 v34, v29, v32, s13
                                        ; implicit-def: $vgpr29_vgpr30
	s_delay_alu instid0(VALU_DEP_2) | instskip(NEXT) | instid1(VALU_DEP_2)
	v_cmp_ge_i32_e64 s15, v33, v80
	v_cmp_lt_i32_e64 s16, v34, v81
	s_or_b32 s14, s15, s14
	s_wait_alu 0xfffe
	s_and_b32 s14, s16, s14
	s_wait_alu 0xfffe
	s_xor_b32 s15, s14, -1
	s_wait_alu 0xfffe
	s_and_saveexec_b32 s16, s15
	s_delay_alu instid0(SALU_CYCLE_1)
	s_xor_b32 s15, exec_lo, s16
; %bb.223:                              ;   in Loop: Header=BB158_2 Depth=1
	v_lshlrev_b32_e32 v29, 3, v33
	ds_load_b64 v[29:30], v29 offset:8
; %bb.224:                              ;   in Loop: Header=BB158_2 Depth=1
	s_wait_alu 0xfffe
	s_or_saveexec_b32 s15, s15
	v_dual_mov_b32 v32, v28 :: v_dual_mov_b32 v31, v27
	s_wait_alu 0xfffe
	s_xor_b32 exec_lo, exec_lo, s15
	s_cbranch_execz .LBB158_226
; %bb.225:                              ;   in Loop: Header=BB158_2 Depth=1
	s_wait_dscnt 0x0
	v_lshlrev_b32_e32 v29, 3, v34
	ds_load_b64 v[31:32], v29 offset:8
	v_dual_mov_b32 v30, v26 :: v_dual_mov_b32 v29, v25
.LBB158_226:                            ;   in Loop: Header=BB158_2 Depth=1
	s_or_b32 exec_lo, exec_lo, s15
	v_add_nc_u32_e32 v36, 1, v33
	v_add_nc_u32_e32 v35, 1, v34
	v_cndmask_b32_e64 v26, v26, v28, s14
	v_cndmask_b32_e64 v25, v25, v27, s14
	v_cndmask_b32_e64 v10, v10, v12, s10
	v_cndmask_b32_e64 v28, v36, v33, s14
	v_cndmask_b32_e64 v27, v34, v35, s14
	v_cndmask_b32_e64 v9, v9, v11, s10
	s_wait_dscnt 0x0
	v_cmp_lt_i64_e64 s10, v[31:32], v[29:30]
	v_cndmask_b32_e64 v14, v14, v16, s11
	v_cndmask_b32_e64 v13, v13, v15, s11
	v_cmp_ge_i32_e64 s11, v28, v80
	v_cndmask_b32_e64 v18, v18, v20, s12
	v_cndmask_b32_e64 v17, v17, v19, s12
	v_cmp_lt_i32_e64 s12, v27, v81
	v_cndmask_b32_e64 v6, v6, v8, s9
	v_cndmask_b32_e64 v5, v5, v7, s9
	s_or_b32 s9, s11, s10
	v_cndmask_b32_e64 v2, v2, v4, s8
	v_cndmask_b32_e64 v1, v1, v3, s8
	s_wait_alu 0xfffe
	s_and_b32 s8, s12, s9
	v_cndmask_b32_e64 v22, v22, v24, s13
	v_cndmask_b32_e64 v21, v21, v23, s13
	s_wait_alu 0xfffe
	v_cndmask_b32_e64 v4, v30, v32, s8
	v_cndmask_b32_e64 v3, v29, v31, s8
	s_wait_loadcnt 0x0
	s_barrier_signal -1
	s_barrier_wait -1
	global_inv scope:SCOPE_SE
	ds_store_2addr_b64 v45, v[1:2], v[5:6] offset1:1
	ds_store_2addr_b64 v45, v[9:10], v[13:14] offset0:2 offset1:3
	ds_store_2addr_b64 v45, v[17:18], v[21:22] offset0:4 offset1:5
	;; [unrolled: 1-line block ×3, first 2 shown]
	v_mov_b32_e32 v5, v88
	s_wait_loadcnt_dscnt 0x0
	s_barrier_signal -1
	s_barrier_wait -1
	global_inv scope:SCOPE_SE
	s_and_saveexec_b32 s9, s6
	s_cbranch_execz .LBB158_230
; %bb.227:                              ;   in Loop: Header=BB158_2 Depth=1
	v_mov_b32_e32 v5, v88
	v_mov_b32_e32 v1, v89
	s_mov_b32 s10, 0
.LBB158_228:                            ;   Parent Loop BB158_2 Depth=1
                                        ; =>  This Inner Loop Header: Depth=2
	s_delay_alu instid0(VALU_DEP_1) | instskip(NEXT) | instid1(VALU_DEP_1)
	v_sub_nc_u32_e32 v2, v1, v5
	v_lshrrev_b32_e32 v2, 1, v2
	s_delay_alu instid0(VALU_DEP_1) | instskip(NEXT) | instid1(VALU_DEP_1)
	v_add_nc_u32_e32 v4, v2, v5
	v_not_b32_e32 v2, v4
	v_lshl_add_u32 v3, v4, 3, v92
	s_delay_alu instid0(VALU_DEP_2)
	v_lshl_add_u32 v6, v2, 3, v104
	ds_load_b64 v[2:3], v3
	ds_load_b64 v[6:7], v6
	s_wait_dscnt 0x0
	v_cmp_lt_i64_e64 s8, v[6:7], v[2:3]
	v_add_nc_u32_e32 v2, 1, v4
	s_wait_alu 0xf1ff
	s_delay_alu instid0(VALU_DEP_2) | instskip(NEXT) | instid1(VALU_DEP_2)
	v_cndmask_b32_e64 v1, v1, v4, s8
	v_cndmask_b32_e64 v5, v2, v5, s8
	s_delay_alu instid0(VALU_DEP_1)
	v_cmp_ge_i32_e64 s8, v5, v1
	s_wait_alu 0xfffe
	s_or_b32 s10, s8, s10
	s_wait_alu 0xfffe
	s_and_not1_b32 exec_lo, exec_lo, s10
	s_cbranch_execnz .LBB158_228
; %bb.229:                              ;   in Loop: Header=BB158_2 Depth=1
	s_or_b32 exec_lo, exec_lo, s10
.LBB158_230:                            ;   in Loop: Header=BB158_2 Depth=1
	s_wait_alu 0xfffe
	s_or_b32 exec_lo, exec_lo, s9
	v_sub_nc_u32_e32 v9, v95, v5
	v_lshl_add_u32 v7, v5, 3, v92
	v_add_nc_u32_e32 v10, v5, v78
                                        ; implicit-def: $vgpr5_vgpr6
	s_delay_alu instid0(VALU_DEP_3) | instskip(SKIP_1) | instid1(VALU_DEP_3)
	v_lshlrev_b32_e32 v11, 3, v9
	v_cmp_gt_i32_e64 s10, v84, v9
	v_cmp_le_i32_e64 s9, v83, v10
	ds_load_b64 v[1:2], v7
	ds_load_b64 v[3:4], v11
	s_wait_dscnt 0x0
	v_cmp_lt_i64_e64 s8, v[3:4], v[1:2]
	s_or_b32 s8, s9, s8
	s_wait_alu 0xfffe
	s_and_b32 s8, s10, s8
	s_wait_alu 0xfffe
	s_xor_b32 s9, s8, -1
	s_wait_alu 0xfffe
	s_and_saveexec_b32 s10, s9
	s_wait_alu 0xfffe
	s_xor_b32 s9, exec_lo, s10
; %bb.231:                              ;   in Loop: Header=BB158_2 Depth=1
	ds_load_b64 v[5:6], v7 offset:8
                                        ; implicit-def: $vgpr11
; %bb.232:                              ;   in Loop: Header=BB158_2 Depth=1
	s_wait_alu 0xfffe
	s_or_saveexec_b32 s9, s9
	v_dual_mov_b32 v8, v4 :: v_dual_mov_b32 v7, v3
	s_wait_alu 0xfffe
	s_xor_b32 exec_lo, exec_lo, s9
	s_cbranch_execz .LBB158_234
; %bb.233:                              ;   in Loop: Header=BB158_2 Depth=1
	ds_load_b64 v[7:8], v11 offset:8
	s_wait_dscnt 0x1
	v_dual_mov_b32 v6, v2 :: v_dual_mov_b32 v5, v1
.LBB158_234:                            ;   in Loop: Header=BB158_2 Depth=1
	s_or_b32 exec_lo, exec_lo, s9
	v_add_nc_u32_e32 v11, 1, v10
	v_add_nc_u32_e32 v12, 1, v9
	s_wait_dscnt 0x0
	v_cmp_lt_i64_e64 s9, v[7:8], v[5:6]
	s_delay_alu instid0(VALU_DEP_3) | instskip(NEXT) | instid1(VALU_DEP_3)
	v_cndmask_b32_e64 v14, v11, v10, s8
	v_cndmask_b32_e64 v13, v9, v12, s8
                                        ; implicit-def: $vgpr9_vgpr10
	s_delay_alu instid0(VALU_DEP_2) | instskip(NEXT) | instid1(VALU_DEP_2)
	v_cmp_ge_i32_e64 s10, v14, v83
	v_cmp_lt_i32_e64 s11, v13, v84
	s_or_b32 s9, s10, s9
	s_wait_alu 0xfffe
	s_and_b32 s9, s11, s9
	s_wait_alu 0xfffe
	s_xor_b32 s10, s9, -1
	s_wait_alu 0xfffe
	s_and_saveexec_b32 s11, s10
	s_wait_alu 0xfffe
	s_xor_b32 s10, exec_lo, s11
; %bb.235:                              ;   in Loop: Header=BB158_2 Depth=1
	v_lshlrev_b32_e32 v9, 3, v14
	ds_load_b64 v[9:10], v9 offset:8
; %bb.236:                              ;   in Loop: Header=BB158_2 Depth=1
	s_wait_alu 0xfffe
	s_or_saveexec_b32 s10, s10
	v_dual_mov_b32 v12, v8 :: v_dual_mov_b32 v11, v7
	s_wait_alu 0xfffe
	s_xor_b32 exec_lo, exec_lo, s10
	s_cbranch_execz .LBB158_238
; %bb.237:                              ;   in Loop: Header=BB158_2 Depth=1
	s_wait_dscnt 0x0
	v_lshlrev_b32_e32 v9, 3, v13
	ds_load_b64 v[11:12], v9 offset:8
	v_dual_mov_b32 v10, v6 :: v_dual_mov_b32 v9, v5
.LBB158_238:                            ;   in Loop: Header=BB158_2 Depth=1
	s_or_b32 exec_lo, exec_lo, s10
	v_add_nc_u32_e32 v15, 1, v14
	v_add_nc_u32_e32 v16, 1, v13
	s_wait_dscnt 0x0
	v_cmp_lt_i64_e64 s10, v[11:12], v[9:10]
	s_delay_alu instid0(VALU_DEP_3) | instskip(NEXT) | instid1(VALU_DEP_3)
	v_cndmask_b32_e64 v18, v15, v14, s9
	v_cndmask_b32_e64 v17, v13, v16, s9
                                        ; implicit-def: $vgpr13_vgpr14
	s_delay_alu instid0(VALU_DEP_2) | instskip(NEXT) | instid1(VALU_DEP_2)
	v_cmp_ge_i32_e64 s11, v18, v83
	v_cmp_lt_i32_e64 s12, v17, v84
	s_or_b32 s10, s11, s10
	s_wait_alu 0xfffe
	s_and_b32 s10, s12, s10
	s_wait_alu 0xfffe
	s_xor_b32 s11, s10, -1
	s_wait_alu 0xfffe
	s_and_saveexec_b32 s12, s11
	s_wait_alu 0xfffe
	s_xor_b32 s11, exec_lo, s12
; %bb.239:                              ;   in Loop: Header=BB158_2 Depth=1
	v_lshlrev_b32_e32 v13, 3, v18
	ds_load_b64 v[13:14], v13 offset:8
; %bb.240:                              ;   in Loop: Header=BB158_2 Depth=1
	s_wait_alu 0xfffe
	s_or_saveexec_b32 s11, s11
	v_dual_mov_b32 v16, v12 :: v_dual_mov_b32 v15, v11
	s_wait_alu 0xfffe
	s_xor_b32 exec_lo, exec_lo, s11
	s_cbranch_execz .LBB158_242
; %bb.241:                              ;   in Loop: Header=BB158_2 Depth=1
	s_wait_dscnt 0x0
	v_lshlrev_b32_e32 v13, 3, v17
	ds_load_b64 v[15:16], v13 offset:8
	v_dual_mov_b32 v14, v10 :: v_dual_mov_b32 v13, v9
.LBB158_242:                            ;   in Loop: Header=BB158_2 Depth=1
	s_or_b32 exec_lo, exec_lo, s11
	v_add_nc_u32_e32 v19, 1, v18
	v_add_nc_u32_e32 v20, 1, v17
	s_wait_dscnt 0x0
	v_cmp_lt_i64_e64 s11, v[15:16], v[13:14]
	s_delay_alu instid0(VALU_DEP_3) | instskip(NEXT) | instid1(VALU_DEP_3)
	v_cndmask_b32_e64 v22, v19, v18, s10
	v_cndmask_b32_e64 v21, v17, v20, s10
                                        ; implicit-def: $vgpr17_vgpr18
	s_delay_alu instid0(VALU_DEP_2) | instskip(NEXT) | instid1(VALU_DEP_2)
	v_cmp_ge_i32_e64 s12, v22, v83
	v_cmp_lt_i32_e64 s13, v21, v84
	s_or_b32 s11, s12, s11
	s_wait_alu 0xfffe
	s_and_b32 s11, s13, s11
	s_wait_alu 0xfffe
	s_xor_b32 s12, s11, -1
	s_wait_alu 0xfffe
	s_and_saveexec_b32 s13, s12
	s_wait_alu 0xfffe
	s_xor_b32 s12, exec_lo, s13
; %bb.243:                              ;   in Loop: Header=BB158_2 Depth=1
	v_lshlrev_b32_e32 v17, 3, v22
	ds_load_b64 v[17:18], v17 offset:8
; %bb.244:                              ;   in Loop: Header=BB158_2 Depth=1
	s_wait_alu 0xfffe
	s_or_saveexec_b32 s12, s12
	v_dual_mov_b32 v20, v16 :: v_dual_mov_b32 v19, v15
	s_wait_alu 0xfffe
	s_xor_b32 exec_lo, exec_lo, s12
	s_cbranch_execz .LBB158_246
; %bb.245:                              ;   in Loop: Header=BB158_2 Depth=1
	s_wait_dscnt 0x0
	v_lshlrev_b32_e32 v17, 3, v21
	ds_load_b64 v[19:20], v17 offset:8
	v_dual_mov_b32 v18, v14 :: v_dual_mov_b32 v17, v13
.LBB158_246:                            ;   in Loop: Header=BB158_2 Depth=1
	s_or_b32 exec_lo, exec_lo, s12
	v_add_nc_u32_e32 v23, 1, v22
	v_add_nc_u32_e32 v24, 1, v21
	s_wait_dscnt 0x0
	v_cmp_lt_i64_e64 s12, v[19:20], v[17:18]
	s_delay_alu instid0(VALU_DEP_3) | instskip(NEXT) | instid1(VALU_DEP_3)
	v_cndmask_b32_e64 v26, v23, v22, s11
	v_cndmask_b32_e64 v25, v21, v24, s11
                                        ; implicit-def: $vgpr21_vgpr22
	s_delay_alu instid0(VALU_DEP_2) | instskip(NEXT) | instid1(VALU_DEP_2)
	v_cmp_ge_i32_e64 s13, v26, v83
	v_cmp_lt_i32_e64 s14, v25, v84
	s_or_b32 s12, s13, s12
	s_wait_alu 0xfffe
	s_and_b32 s12, s14, s12
	s_wait_alu 0xfffe
	s_xor_b32 s13, s12, -1
	s_wait_alu 0xfffe
	s_and_saveexec_b32 s14, s13
	s_wait_alu 0xfffe
	s_xor_b32 s13, exec_lo, s14
; %bb.247:                              ;   in Loop: Header=BB158_2 Depth=1
	v_lshlrev_b32_e32 v21, 3, v26
	ds_load_b64 v[21:22], v21 offset:8
; %bb.248:                              ;   in Loop: Header=BB158_2 Depth=1
	s_wait_alu 0xfffe
	s_or_saveexec_b32 s13, s13
	v_dual_mov_b32 v24, v20 :: v_dual_mov_b32 v23, v19
	s_wait_alu 0xfffe
	s_xor_b32 exec_lo, exec_lo, s13
	s_cbranch_execz .LBB158_250
; %bb.249:                              ;   in Loop: Header=BB158_2 Depth=1
	s_wait_dscnt 0x0
	v_lshlrev_b32_e32 v21, 3, v25
	ds_load_b64 v[23:24], v21 offset:8
	v_dual_mov_b32 v22, v18 :: v_dual_mov_b32 v21, v17
.LBB158_250:                            ;   in Loop: Header=BB158_2 Depth=1
	s_or_b32 exec_lo, exec_lo, s13
	v_add_nc_u32_e32 v27, 1, v26
	v_add_nc_u32_e32 v28, 1, v25
	s_wait_dscnt 0x0
	v_cmp_lt_i64_e64 s13, v[23:24], v[21:22]
	s_delay_alu instid0(VALU_DEP_3) | instskip(NEXT) | instid1(VALU_DEP_3)
	v_cndmask_b32_e64 v30, v27, v26, s12
	v_cndmask_b32_e64 v29, v25, v28, s12
                                        ; implicit-def: $vgpr25_vgpr26
	s_delay_alu instid0(VALU_DEP_2) | instskip(NEXT) | instid1(VALU_DEP_2)
	v_cmp_ge_i32_e64 s14, v30, v83
	v_cmp_lt_i32_e64 s15, v29, v84
	s_or_b32 s13, s14, s13
	s_wait_alu 0xfffe
	s_and_b32 s13, s15, s13
	s_wait_alu 0xfffe
	s_xor_b32 s14, s13, -1
	s_wait_alu 0xfffe
	s_and_saveexec_b32 s15, s14
	s_wait_alu 0xfffe
	s_xor_b32 s14, exec_lo, s15
; %bb.251:                              ;   in Loop: Header=BB158_2 Depth=1
	v_lshlrev_b32_e32 v25, 3, v30
	ds_load_b64 v[25:26], v25 offset:8
; %bb.252:                              ;   in Loop: Header=BB158_2 Depth=1
	s_wait_alu 0xfffe
	s_or_saveexec_b32 s14, s14
	v_dual_mov_b32 v28, v24 :: v_dual_mov_b32 v27, v23
	s_wait_alu 0xfffe
	s_xor_b32 exec_lo, exec_lo, s14
	s_cbranch_execz .LBB158_254
; %bb.253:                              ;   in Loop: Header=BB158_2 Depth=1
	s_wait_dscnt 0x0
	v_lshlrev_b32_e32 v25, 3, v29
	ds_load_b64 v[27:28], v25 offset:8
	v_dual_mov_b32 v26, v22 :: v_dual_mov_b32 v25, v21
.LBB158_254:                            ;   in Loop: Header=BB158_2 Depth=1
	s_or_b32 exec_lo, exec_lo, s14
	v_add_nc_u32_e32 v31, 1, v30
	v_add_nc_u32_e32 v32, 1, v29
	s_wait_dscnt 0x0
	v_cmp_lt_i64_e64 s14, v[27:28], v[25:26]
	s_delay_alu instid0(VALU_DEP_3) | instskip(NEXT) | instid1(VALU_DEP_3)
	v_cndmask_b32_e64 v33, v31, v30, s13
	v_cndmask_b32_e64 v34, v29, v32, s13
                                        ; implicit-def: $vgpr29_vgpr30
	s_delay_alu instid0(VALU_DEP_2) | instskip(NEXT) | instid1(VALU_DEP_2)
	v_cmp_ge_i32_e64 s15, v33, v83
	v_cmp_lt_i32_e64 s16, v34, v84
	s_or_b32 s14, s15, s14
	s_wait_alu 0xfffe
	s_and_b32 s14, s16, s14
	s_wait_alu 0xfffe
	s_xor_b32 s15, s14, -1
	s_wait_alu 0xfffe
	s_and_saveexec_b32 s16, s15
	s_delay_alu instid0(SALU_CYCLE_1)
	s_xor_b32 s15, exec_lo, s16
; %bb.255:                              ;   in Loop: Header=BB158_2 Depth=1
	v_lshlrev_b32_e32 v29, 3, v33
	ds_load_b64 v[29:30], v29 offset:8
; %bb.256:                              ;   in Loop: Header=BB158_2 Depth=1
	s_wait_alu 0xfffe
	s_or_saveexec_b32 s15, s15
	v_dual_mov_b32 v32, v28 :: v_dual_mov_b32 v31, v27
	s_wait_alu 0xfffe
	s_xor_b32 exec_lo, exec_lo, s15
	s_cbranch_execz .LBB158_258
; %bb.257:                              ;   in Loop: Header=BB158_2 Depth=1
	s_wait_dscnt 0x0
	v_lshlrev_b32_e32 v29, 3, v34
	ds_load_b64 v[31:32], v29 offset:8
	v_dual_mov_b32 v30, v26 :: v_dual_mov_b32 v29, v25
.LBB158_258:                            ;   in Loop: Header=BB158_2 Depth=1
	s_or_b32 exec_lo, exec_lo, s15
	v_add_nc_u32_e32 v36, 1, v33
	v_add_nc_u32_e32 v35, 1, v34
	v_cndmask_b32_e64 v26, v26, v28, s14
	v_cndmask_b32_e64 v25, v25, v27, s14
	;; [unrolled: 1-line block ×6, first 2 shown]
	s_wait_dscnt 0x0
	v_cmp_lt_i64_e64 s10, v[31:32], v[29:30]
	v_cndmask_b32_e64 v14, v14, v16, s11
	v_cndmask_b32_e64 v13, v13, v15, s11
	v_cmp_ge_i32_e64 s11, v28, v83
	v_cndmask_b32_e64 v18, v18, v20, s12
	v_cndmask_b32_e64 v17, v17, v19, s12
	v_cmp_lt_i32_e64 s12, v27, v84
	v_cndmask_b32_e64 v6, v6, v8, s9
	v_cndmask_b32_e64 v5, v5, v7, s9
	s_or_b32 s9, s11, s10
	v_cndmask_b32_e64 v2, v2, v4, s8
	v_cndmask_b32_e64 v1, v1, v3, s8
	s_wait_alu 0xfffe
	s_and_b32 s8, s12, s9
	v_cndmask_b32_e64 v22, v22, v24, s13
	v_cndmask_b32_e64 v21, v21, v23, s13
	s_wait_alu 0xfffe
	v_cndmask_b32_e64 v4, v30, v32, s8
	v_cndmask_b32_e64 v3, v29, v31, s8
	s_wait_loadcnt 0x0
	s_barrier_signal -1
	s_barrier_wait -1
	global_inv scope:SCOPE_SE
	ds_store_2addr_b64 v45, v[1:2], v[5:6] offset1:1
	ds_store_2addr_b64 v45, v[9:10], v[13:14] offset0:2 offset1:3
	ds_store_2addr_b64 v45, v[17:18], v[21:22] offset0:4 offset1:5
	;; [unrolled: 1-line block ×3, first 2 shown]
	v_mov_b32_e32 v9, v93
	s_wait_loadcnt_dscnt 0x0
	s_barrier_signal -1
	s_barrier_wait -1
	global_inv scope:SCOPE_SE
	s_and_saveexec_b32 s9, s7
	s_cbranch_execz .LBB158_262
; %bb.259:                              ;   in Loop: Header=BB158_2 Depth=1
	v_mov_b32_e32 v9, v93
	v_mov_b32_e32 v1, v94
	s_mov_b32 s10, 0
.LBB158_260:                            ;   Parent Loop BB158_2 Depth=1
                                        ; =>  This Inner Loop Header: Depth=2
	s_delay_alu instid0(VALU_DEP_1) | instskip(NEXT) | instid1(VALU_DEP_1)
	v_sub_nc_u32_e32 v2, v1, v9
	v_lshrrev_b32_e32 v2, 1, v2
	s_delay_alu instid0(VALU_DEP_1) | instskip(NEXT) | instid1(VALU_DEP_1)
	v_add_nc_u32_e32 v6, v2, v9
	v_not_b32_e32 v2, v6
	v_lshlrev_b32_e32 v3, 3, v6
	s_delay_alu instid0(VALU_DEP_2)
	v_lshl_add_u32 v4, v2, 3, v105
	ds_load_b64 v[2:3], v3
	ds_load_b64 v[4:5], v4
	s_wait_dscnt 0x0
	v_cmp_lt_i64_e64 s8, v[4:5], v[2:3]
	v_add_nc_u32_e32 v2, 1, v6
	s_wait_alu 0xf1ff
	s_delay_alu instid0(VALU_DEP_2) | instskip(NEXT) | instid1(VALU_DEP_2)
	v_cndmask_b32_e64 v1, v1, v6, s8
	v_cndmask_b32_e64 v9, v2, v9, s8
	s_delay_alu instid0(VALU_DEP_1)
	v_cmp_ge_i32_e64 s8, v9, v1
	s_wait_alu 0xfffe
	s_or_b32 s10, s8, s10
	s_wait_alu 0xfffe
	s_and_not1_b32 exec_lo, exec_lo, s10
	s_cbranch_execnz .LBB158_260
; %bb.261:                              ;   in Loop: Header=BB158_2 Depth=1
	s_or_b32 exec_lo, exec_lo, s10
.LBB158_262:                            ;   in Loop: Header=BB158_2 Depth=1
	s_wait_alu 0xfffe
	s_or_b32 exec_lo, exec_lo, s9
	v_sub_nc_u32_e32 v10, v96, v9
	v_lshlrev_b32_e32 v7, 3, v9
	v_cmp_le_i32_e64 s9, 0x800, v9
                                        ; implicit-def: $vgpr5_vgpr6
	s_delay_alu instid0(VALU_DEP_3)
	v_lshlrev_b32_e32 v11, 3, v10
	v_cmp_gt_i32_e64 s10, 0x1000, v10
	ds_load_b64 v[1:2], v7
	ds_load_b64 v[3:4], v11
	s_wait_dscnt 0x0
	v_cmp_lt_i64_e64 s8, v[3:4], v[1:2]
	s_or_b32 s8, s9, s8
	s_wait_alu 0xfffe
	s_and_b32 s8, s10, s8
	s_wait_alu 0xfffe
	s_xor_b32 s9, s8, -1
	s_wait_alu 0xfffe
	s_and_saveexec_b32 s10, s9
	s_wait_alu 0xfffe
	s_xor_b32 s9, exec_lo, s10
; %bb.263:                              ;   in Loop: Header=BB158_2 Depth=1
	ds_load_b64 v[5:6], v7 offset:8
                                        ; implicit-def: $vgpr11
; %bb.264:                              ;   in Loop: Header=BB158_2 Depth=1
	s_wait_alu 0xfffe
	s_or_saveexec_b32 s9, s9
	v_dual_mov_b32 v8, v4 :: v_dual_mov_b32 v7, v3
	s_wait_alu 0xfffe
	s_xor_b32 exec_lo, exec_lo, s9
	s_cbranch_execz .LBB158_266
; %bb.265:                              ;   in Loop: Header=BB158_2 Depth=1
	ds_load_b64 v[7:8], v11 offset:8
	s_wait_dscnt 0x1
	v_dual_mov_b32 v6, v2 :: v_dual_mov_b32 v5, v1
.LBB158_266:                            ;   in Loop: Header=BB158_2 Depth=1
	s_or_b32 exec_lo, exec_lo, s9
	v_add_nc_u32_e32 v11, 1, v9
	v_add_nc_u32_e32 v13, 1, v10
	s_wait_dscnt 0x0
	v_cmp_lt_i64_e64 s9, v[7:8], v[5:6]
	s_delay_alu instid0(VALU_DEP_3) | instskip(NEXT) | instid1(VALU_DEP_3)
	v_cndmask_b32_e64 v12, v11, v9, s8
	v_cndmask_b32_e64 v11, v10, v13, s8
                                        ; implicit-def: $vgpr9_vgpr10
	s_delay_alu instid0(VALU_DEP_2) | instskip(NEXT) | instid1(VALU_DEP_2)
	v_cmp_le_i32_e64 s10, 0x800, v12
	v_cmp_gt_i32_e64 s11, 0x1000, v11
	s_or_b32 s9, s10, s9
	s_wait_alu 0xfffe
	s_and_b32 s9, s11, s9
	s_wait_alu 0xfffe
	s_xor_b32 s10, s9, -1
	s_wait_alu 0xfffe
	s_and_saveexec_b32 s11, s10
	s_wait_alu 0xfffe
	s_xor_b32 s10, exec_lo, s11
; %bb.267:                              ;   in Loop: Header=BB158_2 Depth=1
	v_lshlrev_b32_e32 v9, 3, v12
	ds_load_b64 v[9:10], v9 offset:8
; %bb.268:                              ;   in Loop: Header=BB158_2 Depth=1
	s_wait_alu 0xfffe
	s_or_saveexec_b32 s10, s10
	v_dual_mov_b32 v14, v8 :: v_dual_mov_b32 v13, v7
	s_wait_alu 0xfffe
	s_xor_b32 exec_lo, exec_lo, s10
	s_cbranch_execz .LBB158_270
; %bb.269:                              ;   in Loop: Header=BB158_2 Depth=1
	s_wait_dscnt 0x0
	v_lshlrev_b32_e32 v9, 3, v11
	ds_load_b64 v[13:14], v9 offset:8
	v_dual_mov_b32 v10, v6 :: v_dual_mov_b32 v9, v5
.LBB158_270:                            ;   in Loop: Header=BB158_2 Depth=1
	s_or_b32 exec_lo, exec_lo, s10
	v_add_nc_u32_e32 v15, 1, v12
	v_add_nc_u32_e32 v16, 1, v11
	s_wait_dscnt 0x0
	v_cmp_lt_i64_e64 s10, v[13:14], v[9:10]
                                        ; implicit-def: $vgpr17_vgpr18
	s_delay_alu instid0(VALU_DEP_3) | instskip(NEXT) | instid1(VALU_DEP_3)
	v_cndmask_b32_e64 v12, v15, v12, s9
	v_cndmask_b32_e64 v11, v11, v16, s9
	s_delay_alu instid0(VALU_DEP_2) | instskip(NEXT) | instid1(VALU_DEP_2)
	v_cmp_le_i32_e64 s11, 0x800, v12
	v_cmp_gt_i32_e64 s12, 0x1000, v11
	s_or_b32 s10, s11, s10
	s_wait_alu 0xfffe
	s_and_b32 s10, s12, s10
	s_wait_alu 0xfffe
	s_xor_b32 s11, s10, -1
	s_wait_alu 0xfffe
	s_and_saveexec_b32 s12, s11
	s_wait_alu 0xfffe
	s_xor_b32 s11, exec_lo, s12
; %bb.271:                              ;   in Loop: Header=BB158_2 Depth=1
	v_lshlrev_b32_e32 v15, 3, v12
	ds_load_b64 v[17:18], v15 offset:8
; %bb.272:                              ;   in Loop: Header=BB158_2 Depth=1
	s_wait_alu 0xfffe
	s_or_saveexec_b32 s11, s11
	v_dual_mov_b32 v20, v14 :: v_dual_mov_b32 v19, v13
	s_wait_alu 0xfffe
	s_xor_b32 exec_lo, exec_lo, s11
	s_cbranch_execz .LBB158_274
; %bb.273:                              ;   in Loop: Header=BB158_2 Depth=1
	s_wait_dscnt 0x0
	v_dual_mov_b32 v18, v10 :: v_dual_lshlrev_b32 v15, 3, v11
	v_mov_b32_e32 v17, v9
	ds_load_b64 v[19:20], v15 offset:8
.LBB158_274:                            ;   in Loop: Header=BB158_2 Depth=1
	s_or_b32 exec_lo, exec_lo, s11
	v_add_nc_u32_e32 v15, 1, v12
	v_add_nc_u32_e32 v16, 1, v11
	s_wait_dscnt 0x0
	v_cmp_lt_i64_e64 s11, v[19:20], v[17:18]
                                        ; implicit-def: $vgpr21_vgpr22
	s_delay_alu instid0(VALU_DEP_3) | instskip(NEXT) | instid1(VALU_DEP_3)
	v_cndmask_b32_e64 v12, v15, v12, s10
	v_cndmask_b32_e64 v11, v11, v16, s10
	s_delay_alu instid0(VALU_DEP_2) | instskip(NEXT) | instid1(VALU_DEP_2)
	v_cmp_le_i32_e64 s12, 0x800, v12
	v_cmp_gt_i32_e64 s13, 0x1000, v11
	s_or_b32 s11, s12, s11
	s_wait_alu 0xfffe
	s_and_b32 s11, s13, s11
	s_wait_alu 0xfffe
	s_xor_b32 s12, s11, -1
	s_wait_alu 0xfffe
	s_and_saveexec_b32 s13, s12
	s_wait_alu 0xfffe
	s_xor_b32 s12, exec_lo, s13
; %bb.275:                              ;   in Loop: Header=BB158_2 Depth=1
	v_lshlrev_b32_e32 v15, 3, v12
	ds_load_b64 v[21:22], v15 offset:8
; %bb.276:                              ;   in Loop: Header=BB158_2 Depth=1
	s_wait_alu 0xfffe
	s_or_saveexec_b32 s12, s12
	v_dual_mov_b32 v24, v20 :: v_dual_mov_b32 v23, v19
	s_wait_alu 0xfffe
	s_xor_b32 exec_lo, exec_lo, s12
	s_cbranch_execz .LBB158_278
; %bb.277:                              ;   in Loop: Header=BB158_2 Depth=1
	s_wait_dscnt 0x0
	v_dual_mov_b32 v22, v18 :: v_dual_lshlrev_b32 v15, 3, v11
	v_mov_b32_e32 v21, v17
	ds_load_b64 v[23:24], v15 offset:8
.LBB158_278:                            ;   in Loop: Header=BB158_2 Depth=1
	s_or_b32 exec_lo, exec_lo, s12
	v_add_nc_u32_e32 v15, 1, v12
	v_add_nc_u32_e32 v16, 1, v11
	s_wait_dscnt 0x0
	v_cmp_lt_i64_e64 s12, v[23:24], v[21:22]
                                        ; implicit-def: $vgpr25_vgpr26
	s_delay_alu instid0(VALU_DEP_3) | instskip(NEXT) | instid1(VALU_DEP_3)
	v_cndmask_b32_e64 v12, v15, v12, s11
	v_cndmask_b32_e64 v11, v11, v16, s11
	s_delay_alu instid0(VALU_DEP_2) | instskip(NEXT) | instid1(VALU_DEP_2)
	v_cmp_le_i32_e64 s13, 0x800, v12
	v_cmp_gt_i32_e64 s14, 0x1000, v11
	s_or_b32 s12, s13, s12
	s_wait_alu 0xfffe
	s_and_b32 s12, s14, s12
	s_wait_alu 0xfffe
	s_xor_b32 s13, s12, -1
	s_wait_alu 0xfffe
	s_and_saveexec_b32 s14, s13
	s_wait_alu 0xfffe
	s_xor_b32 s13, exec_lo, s14
; %bb.279:                              ;   in Loop: Header=BB158_2 Depth=1
	v_lshlrev_b32_e32 v15, 3, v12
	ds_load_b64 v[25:26], v15 offset:8
; %bb.280:                              ;   in Loop: Header=BB158_2 Depth=1
	s_wait_alu 0xfffe
	s_or_saveexec_b32 s13, s13
	v_dual_mov_b32 v28, v24 :: v_dual_mov_b32 v27, v23
	s_wait_alu 0xfffe
	s_xor_b32 exec_lo, exec_lo, s13
	s_cbranch_execz .LBB158_282
; %bb.281:                              ;   in Loop: Header=BB158_2 Depth=1
	s_wait_dscnt 0x0
	v_dual_mov_b32 v26, v22 :: v_dual_lshlrev_b32 v15, 3, v11
	v_mov_b32_e32 v25, v21
	ds_load_b64 v[27:28], v15 offset:8
.LBB158_282:                            ;   in Loop: Header=BB158_2 Depth=1
	s_or_b32 exec_lo, exec_lo, s13
	v_add_nc_u32_e32 v15, 1, v12
	v_add_nc_u32_e32 v16, 1, v11
	s_wait_dscnt 0x0
	v_cmp_lt_i64_e64 s13, v[27:28], v[25:26]
                                        ; implicit-def: $vgpr29_vgpr30
	s_delay_alu instid0(VALU_DEP_3) | instskip(NEXT) | instid1(VALU_DEP_3)
	v_cndmask_b32_e64 v12, v15, v12, s12
	v_cndmask_b32_e64 v11, v11, v16, s12
	s_delay_alu instid0(VALU_DEP_2) | instskip(NEXT) | instid1(VALU_DEP_2)
	v_cmp_le_i32_e64 s14, 0x800, v12
	v_cmp_gt_i32_e64 s15, 0x1000, v11
	s_or_b32 s13, s14, s13
	s_wait_alu 0xfffe
	s_and_b32 s13, s15, s13
	s_wait_alu 0xfffe
	s_xor_b32 s14, s13, -1
	s_wait_alu 0xfffe
	s_and_saveexec_b32 s15, s14
	s_wait_alu 0xfffe
	s_xor_b32 s14, exec_lo, s15
; %bb.283:                              ;   in Loop: Header=BB158_2 Depth=1
	v_lshlrev_b32_e32 v15, 3, v12
	ds_load_b64 v[29:30], v15 offset:8
; %bb.284:                              ;   in Loop: Header=BB158_2 Depth=1
	s_wait_alu 0xfffe
	s_or_saveexec_b32 s14, s14
	v_dual_mov_b32 v32, v28 :: v_dual_mov_b32 v31, v27
	s_wait_alu 0xfffe
	s_xor_b32 exec_lo, exec_lo, s14
	s_cbranch_execz .LBB158_286
; %bb.285:                              ;   in Loop: Header=BB158_2 Depth=1
	s_wait_dscnt 0x0
	v_dual_mov_b32 v30, v26 :: v_dual_lshlrev_b32 v15, 3, v11
	v_mov_b32_e32 v29, v25
	ds_load_b64 v[31:32], v15 offset:8
.LBB158_286:                            ;   in Loop: Header=BB158_2 Depth=1
	s_or_b32 exec_lo, exec_lo, s14
	v_add_nc_u32_e32 v15, 1, v12
	v_add_nc_u32_e32 v16, 1, v11
	s_wait_dscnt 0x0
	v_cmp_lt_i64_e64 s14, v[31:32], v[29:30]
                                        ; implicit-def: $vgpr33_vgpr34
                                        ; implicit-def: $vgpr107
	s_delay_alu instid0(VALU_DEP_3) | instskip(NEXT) | instid1(VALU_DEP_3)
	v_cndmask_b32_e64 v12, v15, v12, s13
	v_cndmask_b32_e64 v106, v11, v16, s13
	s_delay_alu instid0(VALU_DEP_2) | instskip(NEXT) | instid1(VALU_DEP_2)
	v_cmp_le_i32_e64 s15, 0x800, v12
	v_cmp_gt_i32_e64 s16, 0x1000, v106
	s_or_b32 s14, s15, s14
	s_wait_alu 0xfffe
	s_and_b32 s14, s16, s14
	s_wait_alu 0xfffe
	s_xor_b32 s15, s14, -1
	s_wait_alu 0xfffe
	s_and_saveexec_b32 s16, s15
	s_delay_alu instid0(SALU_CYCLE_1)
	s_xor_b32 s15, exec_lo, s16
; %bb.287:                              ;   in Loop: Header=BB158_2 Depth=1
	v_lshlrev_b32_e32 v11, 3, v12
	v_add_nc_u32_e32 v107, 1, v12
                                        ; implicit-def: $vgpr12
	ds_load_b64 v[33:34], v11 offset:8
; %bb.288:                              ;   in Loop: Header=BB158_2 Depth=1
	s_wait_alu 0xfffe
	s_or_saveexec_b32 s15, s15
	v_dual_mov_b32 v36, v32 :: v_dual_mov_b32 v35, v31
	s_wait_alu 0xfffe
	s_xor_b32 exec_lo, exec_lo, s15
	s_cbranch_execz .LBB158_1
; %bb.289:                              ;   in Loop: Header=BB158_2 Depth=1
	s_wait_dscnt 0x0
	v_dual_mov_b32 v34, v30 :: v_dual_lshlrev_b32 v11, 3, v106
	v_dual_mov_b32 v107, v12 :: v_dual_add_nc_u32 v106, 1, v106
	v_mov_b32_e32 v33, v29
	ds_load_b64 v[35:36], v11 offset:8
	s_branch .LBB158_1
.LBB158_290:
	v_lshlrev_b32_e32 v0, 3, v0
	s_add_nc_u64 s[0:1], s[18:19], s[22:23]
	s_clause 0x7
	global_store_b64 v0, v[11:12], s[0:1]
	global_store_b64 v0, v[15:16], s[0:1] offset:4096
	global_store_b64 v0, v[5:6], s[0:1] offset:8192
	;; [unrolled: 1-line block ×7, first 2 shown]
	s_nop 0
	s_sendmsg sendmsg(MSG_DEALLOC_VGPRS)
	s_endpgm
	.section	.rodata,"a",@progbits
	.p2align	6, 0x0
	.amdhsa_kernel _Z16sort_keys_kernelIxLj512ELj8EN10test_utils4lessELj10EEvPKT_PS2_T2_
		.amdhsa_group_segment_fixed_size 32776
		.amdhsa_private_segment_fixed_size 0
		.amdhsa_kernarg_size 20
		.amdhsa_user_sgpr_count 2
		.amdhsa_user_sgpr_dispatch_ptr 0
		.amdhsa_user_sgpr_queue_ptr 0
		.amdhsa_user_sgpr_kernarg_segment_ptr 1
		.amdhsa_user_sgpr_dispatch_id 0
		.amdhsa_user_sgpr_private_segment_size 0
		.amdhsa_wavefront_size32 1
		.amdhsa_uses_dynamic_stack 0
		.amdhsa_enable_private_segment 0
		.amdhsa_system_sgpr_workgroup_id_x 1
		.amdhsa_system_sgpr_workgroup_id_y 0
		.amdhsa_system_sgpr_workgroup_id_z 0
		.amdhsa_system_sgpr_workgroup_info 0
		.amdhsa_system_vgpr_workitem_id 0
		.amdhsa_next_free_vgpr 108
		.amdhsa_next_free_sgpr 24
		.amdhsa_reserve_vcc 1
		.amdhsa_float_round_mode_32 0
		.amdhsa_float_round_mode_16_64 0
		.amdhsa_float_denorm_mode_32 3
		.amdhsa_float_denorm_mode_16_64 3
		.amdhsa_fp16_overflow 0
		.amdhsa_workgroup_processor_mode 1
		.amdhsa_memory_ordered 1
		.amdhsa_forward_progress 1
		.amdhsa_inst_pref_size 137
		.amdhsa_round_robin_scheduling 0
		.amdhsa_exception_fp_ieee_invalid_op 0
		.amdhsa_exception_fp_denorm_src 0
		.amdhsa_exception_fp_ieee_div_zero 0
		.amdhsa_exception_fp_ieee_overflow 0
		.amdhsa_exception_fp_ieee_underflow 0
		.amdhsa_exception_fp_ieee_inexact 0
		.amdhsa_exception_int_div_zero 0
	.end_amdhsa_kernel
	.section	.text._Z16sort_keys_kernelIxLj512ELj8EN10test_utils4lessELj10EEvPKT_PS2_T2_,"axG",@progbits,_Z16sort_keys_kernelIxLj512ELj8EN10test_utils4lessELj10EEvPKT_PS2_T2_,comdat
.Lfunc_end158:
	.size	_Z16sort_keys_kernelIxLj512ELj8EN10test_utils4lessELj10EEvPKT_PS2_T2_, .Lfunc_end158-_Z16sort_keys_kernelIxLj512ELj8EN10test_utils4lessELj10EEvPKT_PS2_T2_
                                        ; -- End function
	.set _Z16sort_keys_kernelIxLj512ELj8EN10test_utils4lessELj10EEvPKT_PS2_T2_.num_vgpr, 108
	.set _Z16sort_keys_kernelIxLj512ELj8EN10test_utils4lessELj10EEvPKT_PS2_T2_.num_agpr, 0
	.set _Z16sort_keys_kernelIxLj512ELj8EN10test_utils4lessELj10EEvPKT_PS2_T2_.numbered_sgpr, 24
	.set _Z16sort_keys_kernelIxLj512ELj8EN10test_utils4lessELj10EEvPKT_PS2_T2_.num_named_barrier, 0
	.set _Z16sort_keys_kernelIxLj512ELj8EN10test_utils4lessELj10EEvPKT_PS2_T2_.private_seg_size, 0
	.set _Z16sort_keys_kernelIxLj512ELj8EN10test_utils4lessELj10EEvPKT_PS2_T2_.uses_vcc, 1
	.set _Z16sort_keys_kernelIxLj512ELj8EN10test_utils4lessELj10EEvPKT_PS2_T2_.uses_flat_scratch, 0
	.set _Z16sort_keys_kernelIxLj512ELj8EN10test_utils4lessELj10EEvPKT_PS2_T2_.has_dyn_sized_stack, 0
	.set _Z16sort_keys_kernelIxLj512ELj8EN10test_utils4lessELj10EEvPKT_PS2_T2_.has_recursion, 0
	.set _Z16sort_keys_kernelIxLj512ELj8EN10test_utils4lessELj10EEvPKT_PS2_T2_.has_indirect_call, 0
	.section	.AMDGPU.csdata,"",@progbits
; Kernel info:
; codeLenInByte = 17460
; TotalNumSgprs: 26
; NumVgprs: 108
; ScratchSize: 0
; MemoryBound: 0
; FloatMode: 240
; IeeeMode: 1
; LDSByteSize: 32776 bytes/workgroup (compile time only)
; SGPRBlocks: 0
; VGPRBlocks: 13
; NumSGPRsForWavesPerEU: 26
; NumVGPRsForWavesPerEU: 108
; Occupancy: 12
; WaveLimiterHint : 1
; COMPUTE_PGM_RSRC2:SCRATCH_EN: 0
; COMPUTE_PGM_RSRC2:USER_SGPR: 2
; COMPUTE_PGM_RSRC2:TRAP_HANDLER: 0
; COMPUTE_PGM_RSRC2:TGID_X_EN: 1
; COMPUTE_PGM_RSRC2:TGID_Y_EN: 0
; COMPUTE_PGM_RSRC2:TGID_Z_EN: 0
; COMPUTE_PGM_RSRC2:TIDIG_COMP_CNT: 0
	.section	.text._Z17sort_pairs_kernelIxLj512ELj8EN10test_utils4lessELj10EEvPKT_PS2_T2_,"axG",@progbits,_Z17sort_pairs_kernelIxLj512ELj8EN10test_utils4lessELj10EEvPKT_PS2_T2_,comdat
	.protected	_Z17sort_pairs_kernelIxLj512ELj8EN10test_utils4lessELj10EEvPKT_PS2_T2_ ; -- Begin function _Z17sort_pairs_kernelIxLj512ELj8EN10test_utils4lessELj10EEvPKT_PS2_T2_
	.globl	_Z17sort_pairs_kernelIxLj512ELj8EN10test_utils4lessELj10EEvPKT_PS2_T2_
	.p2align	8
	.type	_Z17sort_pairs_kernelIxLj512ELj8EN10test_utils4lessELj10EEvPKT_PS2_T2_,@function
_Z17sort_pairs_kernelIxLj512ELj8EN10test_utils4lessELj10EEvPKT_PS2_T2_: ; @_Z17sort_pairs_kernelIxLj512ELj8EN10test_utils4lessELj10EEvPKT_PS2_T2_
; %bb.0:
	s_load_b128 s[44:47], s[0:1], 0x0
	s_lshl_b32 s50, ttmp9, 12
	s_mov_b32 s51, 0
	v_lshlrev_b32_e32 v1, 3, v0
	s_lshl_b64 s[48:49], s[50:51], 3
	v_lshlrev_b32_e32 v53, 6, v0
	s_delay_alu instid0(VALU_DEP_2)
	v_and_b32_e32 v54, 0xff0, v1
	v_and_b32_e32 v2, 8, v1
	;; [unrolled: 1-line block ×5, first 2 shown]
	v_or_b32_e32 v65, 8, v54
	v_add_nc_u32_e32 v66, 16, v54
	v_and_b32_e32 v4, 56, v1
	v_and_b32_e32 v57, 0xf80, v1
	;; [unrolled: 1-line block ×5, first 2 shown]
	s_wait_kmcnt 0x0
	s_add_nc_u64 s[0:1], s[44:45], s[48:49]
	v_and_b32_e32 v59, 0xe00, v1
	s_clause 0x7
	global_load_b64 v[19:20], v1, s[0:1]
	global_load_b64 v[31:32], v1, s[0:1] offset:4096
	global_load_b64 v[29:30], v1, s[0:1] offset:8192
	;; [unrolled: 1-line block ×7, first 2 shown]
	v_and_b32_e32 v7, 0x1f8, v1
	v_and_b32_e32 v60, 0xc00, v1
	;; [unrolled: 1-line block ×5, first 2 shown]
	v_subrev_nc_u32_e64 v62, 0x800, v1 clamp
	v_min_i32_e32 v63, 0x800, v1
	v_add_nc_u32_e32 v64, 0x800, v1
	v_or_b32_e32 v68, 16, v55
	v_add_nc_u32_e32 v69, 32, v55
	v_lshlrev_b32_e32 v1, 3, v2
	v_sub_nc_u32_e32 v34, v66, v65
	v_or_b32_e32 v71, 32, v56
	v_add_nc_u32_e32 v72, 64, v56
	v_lshlrev_b32_e32 v10, 3, v3
	v_sub_nc_u32_e32 v36, v69, v68
	v_lshl_add_u32 v97, v65, 3, v1
	v_sub_nc_u32_e32 v1, v2, v34
	v_cmp_ge_i32_e64 s0, v2, v34
	v_or_b32_e32 v74, 64, v57
	v_add_nc_u32_e32 v75, 0x80, v57
	v_lshlrev_b32_e32 v11, 3, v4
	v_sub_nc_u32_e32 v38, v72, v71
	v_lshl_add_u32 v98, v68, 3, v10
	v_sub_nc_u32_e32 v10, v3, v36
	v_cndmask_b32_e64 v113, 0, v1, s0
	v_cmp_ge_i32_e64 s0, v3, v36
	v_or_b32_e32 v77, 0x80, v58
	v_add_nc_u32_e32 v78, 0x100, v58
	v_lshlrev_b32_e32 v12, 3, v5
	v_sub_nc_u32_e32 v40, v75, v74
	v_lshl_add_u32 v99, v71, 3, v11
	v_sub_nc_u32_e32 v11, v4, v38
	s_wait_alu 0xf1ff
	v_cndmask_b32_e64 v114, 0, v10, s0
	v_cmp_ge_i32_e64 s0, v4, v38
	v_or_b32_e32 v80, 0x100, v59
	v_add_nc_u32_e32 v81, 0x200, v59
	v_lshlrev_b32_e32 v13, 3, v6
	v_sub_nc_u32_e32 v42, v78, v77
	v_lshl_add_u32 v100, v74, 3, v12
	v_sub_nc_u32_e32 v12, v5, v40
	s_wait_alu 0xf1ff
	;; [unrolled: 9-line block ×4, first 2 shown]
	v_cndmask_b32_e64 v117, 0, v13, s0
	v_cmp_ge_i32_e64 s0, v7, v44
	v_lshlrev_b32_e32 v16, 3, v9
	v_sub_nc_u32_e32 v48, v87, v86
	v_lshl_add_u32 v103, v83, 3, v15
	v_sub_nc_u32_e32 v15, v8, v46
	s_wait_alu 0xf1ff
	v_cndmask_b32_e64 v118, 0, v14, s0
	v_cmp_ge_i32_e64 s0, v8, v46
	v_lshl_add_u32 v104, v86, 3, v16
	v_sub_nc_u32_e32 v16, v9, v48
	v_sub_nc_u32_e32 v47, v86, v61
	;; [unrolled: 1-line block ×3, first 2 shown]
	s_wait_alu 0xf1ff
	v_cndmask_b32_e64 v119, 0, v15, s0
	v_cmp_ge_i32_e64 s0, v9, v48
	v_sub_nc_u32_e32 v39, v74, v57
	v_sub_nc_u32_e32 v45, v83, v60
	;; [unrolled: 1-line block ×4, first 2 shown]
	s_wait_alu 0xf1ff
	v_cndmask_b32_e64 v120, 0, v16, s0
	v_sub_nc_u32_e32 v37, v71, v56
	v_sub_nc_u32_e32 v41, v77, v58
	v_add_nc_u32_e32 v96, v86, v9
	v_min_i32_e32 v112, v9, v47
	v_add_nc_u32_e32 v94, v80, v7
	v_min_i32_e32 v110, v7, v43
	v_add_nc_u32_e32 v92, v74, v5
	v_add_nc_u32_e32 v95, v83, v8
	v_min_i32_e32 v108, v5, v39
	v_min_i32_e32 v111, v8, v45
	;; [unrolled: 1-line block ×6, first 2 shown]
	v_add_nc_u32_e32 v90, v68, v3
	v_add_nc_u32_e32 v93, v77, v6
	;; [unrolled: 1-line block ×3, first 2 shown]
	v_lshlrev_b32_e32 v67, 3, v54
	v_lshlrev_b32_e32 v70, 3, v55
	;; [unrolled: 1-line block ×8, first 2 shown]
	v_add_nc_u32_e32 v89, v65, v2
	v_cmp_lt_i32_e64 s0, v113, v105
	v_cmp_lt_i32_e64 s1, v114, v106
	;; [unrolled: 1-line block ×8, first 2 shown]
	v_add_nc_u32_e32 v121, 0x4000, v53
	v_cmp_lt_i32_e32 vcc_lo, v62, v63
	s_wait_loadcnt 0x7
	v_add_co_u32 v15, s8, v19, 1
	s_delay_alu instid0(VALU_DEP_1)
	v_add_co_ci_u32_e64 v16, null, 0, v20, s8
	s_wait_loadcnt 0x6
	v_add_co_u32 v13, s8, v31, 1
	s_wait_alu 0xf1ff
	v_add_co_ci_u32_e64 v14, null, 0, v32, s8
	s_wait_loadcnt 0x5
	v_add_co_u32 v11, s8, v29, 1
	s_wait_alu 0xf1ff
	v_add_co_ci_u32_e64 v12, null, 0, v30, s8
	s_wait_loadcnt 0x4
	v_add_co_u32 v9, s8, v27, 1
	s_wait_alu 0xf1ff
	v_add_co_ci_u32_e64 v10, null, 0, v28, s8
	s_wait_loadcnt 0x3
	v_add_co_u32 v7, s8, v25, 1
	s_wait_alu 0xf1ff
	v_add_co_ci_u32_e64 v8, null, 0, v26, s8
	s_wait_loadcnt 0x2
	v_add_co_u32 v5, s8, v23, 1
	s_wait_alu 0xf1ff
	v_add_co_ci_u32_e64 v6, null, 0, v24, s8
	s_wait_loadcnt 0x1
	v_add_co_u32 v3, s8, v21, 1
	s_wait_alu 0xf1ff
	v_add_co_ci_u32_e64 v4, null, 0, v22, s8
	s_wait_loadcnt 0x0
	v_add_co_u32 v1, s8, v17, 1
	s_wait_alu 0xf1ff
	v_add_co_ci_u32_e64 v2, null, 0, v18, s8
	s_branch .LBB159_2
.LBB159_1:                              ;   in Loop: Header=BB159_2 Depth=1
	s_or_b32 exec_lo, exec_lo, s15
	s_wait_dscnt 0x0
	s_delay_alu instid0(VALU_DEP_1)
	v_cmp_lt_i64_e64 s15, v[51:52], v[49:50]
	v_cmp_le_i32_e64 s16, 0x800, v132
	v_cmp_gt_i32_e64 s17, 0x1000, v131
	v_cndmask_b32_e64 v29, v29, v30, s8
	v_cndmask_b32_e64 v31, v31, v32, s9
	;; [unrolled: 1-line block ×3, first 2 shown]
	s_or_b32 s15, s16, s15
	v_cndmask_b32_e64 v124, v124, v125, s11
	s_wait_alu 0xfffe
	s_and_b32 s15, s17, s15
	v_cndmask_b32_e64 v128, v128, v129, s13
	v_cndmask_b32_e64 v126, v126, v127, s12
	s_wait_alu 0xfffe
	v_cndmask_b32_e64 v30, v132, v131, s15
	s_wait_loadcnt 0x0
	s_barrier_signal -1
	s_barrier_wait -1
	global_inv scope:SCOPE_SE
	ds_store_2addr_b64 v53, v[13:14], v[15:16] offset1:1
	ds_store_2addr_b64 v53, v[9:10], v[11:12] offset0:2 offset1:3
	ds_store_2addr_b64 v53, v[5:6], v[7:8] offset0:4 offset1:5
	;; [unrolled: 1-line block ×3, first 2 shown]
	v_lshlrev_b32_e32 v1, 3, v29
	v_lshlrev_b32_e32 v2, 3, v31
	;; [unrolled: 1-line block ×6, first 2 shown]
	s_wait_loadcnt_dscnt 0x0
	s_barrier_signal -1
	s_barrier_wait -1
	global_inv scope:SCOPE_SE
	v_lshlrev_b32_e32 v29, 3, v130
	v_lshlrev_b32_e32 v30, 3, v30
	ds_load_b64 v[15:16], v1
	ds_load_b64 v[13:14], v2
	;; [unrolled: 1-line block ×8, first 2 shown]
	v_cndmask_b32_e64 v20, v18, v20, s8
	v_cndmask_b32_e64 v18, v50, v52, s15
	;; [unrolled: 1-line block ×16, first 2 shown]
	s_add_co_i32 s51, s51, 1
	s_delay_alu instid0(SALU_CYCLE_1)
	s_cmp_eq_u32 s51, 10
	s_cbranch_scc1 .LBB159_290
.LBB159_2:                              ; =>This Loop Header: Depth=1
                                        ;     Child Loop BB159_4 Depth 2
                                        ;     Child Loop BB159_36 Depth 2
                                        ;     Child Loop BB159_68 Depth 2
                                        ;     Child Loop BB159_100 Depth 2
                                        ;     Child Loop BB159_132 Depth 2
                                        ;     Child Loop BB159_164 Depth 2
                                        ;     Child Loop BB159_196 Depth 2
                                        ;     Child Loop BB159_228 Depth 2
                                        ;     Child Loop BB159_260 Depth 2
	v_cmp_lt_i64_e64 s8, v[31:32], v[19:20]
	v_cmp_lt_i64_e64 s9, v[27:28], v[29:30]
	;; [unrolled: 1-line block ×4, first 2 shown]
	s_barrier_signal -1
	s_wait_alu 0xf1ff
	v_cndmask_b32_e64 v34, v20, v32, s8
	v_cndmask_b32_e64 v36, v28, v30, s9
	;; [unrolled: 1-line block ×16, first 2 shown]
	v_cmp_lt_i64_e64 s12, v[27:28], v[19:20]
	v_cmp_lt_i64_e64 s13, v[23:24], v[35:36]
	s_barrier_wait -1
	global_inv scope:SCOPE_SE
	v_cmp_lt_i64_e64 s14, v[17:18], v[29:30]
	s_wait_alu 0xf1ff
	v_cndmask_b32_e64 v22, v28, v20, s12
	v_cndmask_b32_e64 v21, v27, v19, s12
	;; [unrolled: 1-line block ×12, first 2 shown]
	v_cmp_lt_i64_e64 s15, v[19:20], v[33:34]
	v_cmp_lt_i64_e64 s16, v[23:24], v[21:22]
	;; [unrolled: 1-line block ×3, first 2 shown]
	s_delay_alu instid0(VALU_DEP_4) | instskip(SKIP_1) | instid1(VALU_DEP_4)
	v_cmp_lt_i64_e64 s17, v[17:18], v[27:28]
	s_wait_alu 0xf1ff
	v_cndmask_b32_e64 v30, v34, v20, s15
	v_cndmask_b32_e64 v29, v33, v19, s15
	;; [unrolled: 1-line block ×16, first 2 shown]
	v_cmp_lt_i64_e64 s19, v[21:22], v[19:20]
	v_cmp_lt_i64_e64 s20, v[17:18], v[33:34]
	s_delay_alu instid0(VALU_DEP_3) | instskip(SKIP_1) | instid1(VALU_DEP_3)
	v_cmp_lt_i64_e64 s21, v[25:26], v[23:24]
	s_wait_alu 0xf1ff
	v_cndmask_b32_e64 v32, v22, v20, s19
	v_cndmask_b32_e64 v31, v21, v19, s19
	;; [unrolled: 1-line block ×12, first 2 shown]
	v_cmp_lt_i64_e64 s22, v[19:20], v[29:30]
	v_cmp_lt_i64_e64 s23, v[17:18], v[31:32]
	;; [unrolled: 1-line block ×3, first 2 shown]
	s_delay_alu instid0(VALU_DEP_4) | instskip(SKIP_1) | instid1(VALU_DEP_4)
	v_cmp_lt_i64_e64 s24, v[23:24], v[21:22]
	s_wait_alu 0xf1ff
	v_cndmask_b32_e64 v26, v30, v20, s22
	v_cndmask_b32_e64 v25, v29, v19, s22
	;; [unrolled: 1-line block ×16, first 2 shown]
	v_cmp_lt_i64_e64 s26, v[17:18], v[19:20]
	v_cmp_lt_i64_e64 s27, v[21:22], v[29:30]
	s_delay_alu instid0(VALU_DEP_3) | instskip(SKIP_1) | instid1(VALU_DEP_3)
	v_cmp_lt_i64_e64 s28, v[27:28], v[31:32]
	s_wait_alu 0xf1ff
	v_cndmask_b32_e64 v34, v18, v20, s26
	v_cndmask_b32_e64 v33, v17, v19, s26
	;; [unrolled: 1-line block ×12, first 2 shown]
	v_cmp_lt_i64_e64 s29, v[17:18], v[25:26]
	v_cmp_lt_i64_e64 s30, v[21:22], v[33:34]
	;; [unrolled: 1-line block ×3, first 2 shown]
	s_delay_alu instid0(VALU_DEP_4) | instskip(SKIP_1) | instid1(VALU_DEP_4)
	v_cmp_lt_i64_e64 s31, v[27:28], v[19:20]
	s_wait_alu 0xf1ff
	v_cndmask_b32_e64 v32, v18, v26, s29
	v_cndmask_b32_e64 v31, v17, v25, s29
	;; [unrolled: 1-line block ×14, first 2 shown]
	v_cmp_lt_i64_e64 s35, v[21:22], v[31:32]
	v_cndmask_b32_e64 v24, v24, v30, s33
	v_cmp_lt_i64_e64 s36, v[19:20], v[25:26]
	v_cndmask_b32_e64 v23, v23, v29, s33
	v_cmp_lt_i64_e64 s34, v[27:28], v[33:34]
	s_wait_alu 0xf1ff
	v_cndmask_b32_e64 v30, v22, v32, s35
	v_cndmask_b32_e64 v29, v21, v31, s35
	v_cndmask_b32_e64 v22, v32, v22, s35
	v_cndmask_b32_e64 v21, v31, v21, s35
	v_cndmask_b32_e64 v32, v20, v26, s36
	v_cndmask_b32_e64 v31, v19, v25, s36
	v_cndmask_b32_e64 v20, v26, v20, s36
	v_cndmask_b32_e64 v19, v25, v19, s36
	v_cndmask_b32_e64 v26, v28, v34, s34
	v_cndmask_b32_e64 v25, v27, v33, s34
	v_cndmask_b32_e64 v28, v34, v28, s34
	v_cndmask_b32_e64 v27, v33, v27, s34
	ds_store_2addr_b64 v53, v[17:18], v[21:22] offset1:1
	ds_store_2addr_b64 v53, v[29:30], v[19:20] offset0:2 offset1:3
	ds_store_2addr_b64 v53, v[31:32], v[27:28] offset0:4 offset1:5
	;; [unrolled: 1-line block ×3, first 2 shown]
	v_mov_b32_e32 v21, v113
	s_wait_loadcnt_dscnt 0x0
	s_barrier_signal -1
	s_barrier_wait -1
	global_inv scope:SCOPE_SE
	s_and_saveexec_b32 s38, s0
	s_cbranch_execz .LBB159_6
; %bb.3:                                ;   in Loop: Header=BB159_2 Depth=1
	v_mov_b32_e32 v21, v113
	v_mov_b32_e32 v17, v105
	s_mov_b32 s39, 0
.LBB159_4:                              ;   Parent Loop BB159_2 Depth=1
                                        ; =>  This Inner Loop Header: Depth=2
	s_delay_alu instid0(VALU_DEP_1) | instskip(NEXT) | instid1(VALU_DEP_1)
	v_sub_nc_u32_e32 v18, v17, v21
	v_lshrrev_b32_e32 v18, 1, v18
	s_delay_alu instid0(VALU_DEP_1) | instskip(NEXT) | instid1(VALU_DEP_1)
	v_add_nc_u32_e32 v20, v18, v21
	v_not_b32_e32 v18, v20
	v_lshl_add_u32 v19, v20, 3, v67
	s_delay_alu instid0(VALU_DEP_2)
	v_lshl_add_u32 v22, v18, 3, v97
	ds_load_b64 v[18:19], v19
	ds_load_b64 v[22:23], v22
	s_wait_dscnt 0x0
	v_cmp_lt_i64_e64 s37, v[22:23], v[18:19]
	v_add_nc_u32_e32 v18, 1, v20
	s_wait_alu 0xf1ff
	s_delay_alu instid0(VALU_DEP_2) | instskip(NEXT) | instid1(VALU_DEP_2)
	v_cndmask_b32_e64 v17, v17, v20, s37
	v_cndmask_b32_e64 v21, v18, v21, s37
	s_delay_alu instid0(VALU_DEP_1)
	v_cmp_ge_i32_e64 s37, v21, v17
	s_wait_alu 0xfffe
	s_or_b32 s39, s37, s39
	s_wait_alu 0xfffe
	s_and_not1_b32 exec_lo, exec_lo, s39
	s_cbranch_execnz .LBB159_4
; %bb.5:                                ;   in Loop: Header=BB159_2 Depth=1
	s_or_b32 exec_lo, exec_lo, s39
.LBB159_6:                              ;   in Loop: Header=BB159_2 Depth=1
	s_wait_alu 0xfffe
	s_or_b32 exec_lo, exec_lo, s38
	v_sub_nc_u32_e32 v49, v89, v21
	v_lshl_add_u32 v23, v21, 3, v67
	v_add_nc_u32_e32 v50, v21, v54
                                        ; implicit-def: $vgpr21_vgpr22
	s_delay_alu instid0(VALU_DEP_3) | instskip(SKIP_1) | instid1(VALU_DEP_3)
	v_lshlrev_b32_e32 v25, 3, v49
	v_cmp_gt_i32_e64 s39, v66, v49
	v_cmp_le_i32_e64 s38, v65, v50
	ds_load_b64 v[17:18], v23
	ds_load_b64 v[19:20], v25
	s_wait_dscnt 0x0
	v_cmp_lt_i64_e64 s37, v[19:20], v[17:18]
	s_or_b32 s37, s38, s37
	s_wait_alu 0xfffe
	s_and_b32 s37, s39, s37
	s_wait_alu 0xfffe
	s_xor_b32 s38, s37, -1
	s_wait_alu 0xfffe
	s_and_saveexec_b32 s39, s38
	s_wait_alu 0xfffe
	s_xor_b32 s38, exec_lo, s39
; %bb.7:                                ;   in Loop: Header=BB159_2 Depth=1
	ds_load_b64 v[21:22], v23 offset:8
                                        ; implicit-def: $vgpr25
; %bb.8:                                ;   in Loop: Header=BB159_2 Depth=1
	s_wait_alu 0xfffe
	s_or_saveexec_b32 s38, s38
	v_dual_mov_b32 v24, v20 :: v_dual_mov_b32 v23, v19
	s_wait_alu 0xfffe
	s_xor_b32 exec_lo, exec_lo, s38
	s_cbranch_execz .LBB159_10
; %bb.9:                                ;   in Loop: Header=BB159_2 Depth=1
	ds_load_b64 v[23:24], v25 offset:8
	s_wait_dscnt 0x1
	v_dual_mov_b32 v22, v18 :: v_dual_mov_b32 v21, v17
.LBB159_10:                             ;   in Loop: Header=BB159_2 Depth=1
	s_or_b32 exec_lo, exec_lo, s38
	v_add_nc_u32_e32 v25, 1, v50
	v_add_nc_u32_e32 v26, 1, v49
	s_wait_dscnt 0x0
	v_cmp_lt_i64_e64 s38, v[23:24], v[21:22]
	s_delay_alu instid0(VALU_DEP_3) | instskip(NEXT) | instid1(VALU_DEP_3)
	v_cndmask_b32_e64 v51, v25, v50, s37
	v_cndmask_b32_e64 v52, v49, v26, s37
                                        ; implicit-def: $vgpr25_vgpr26
	s_delay_alu instid0(VALU_DEP_2) | instskip(NEXT) | instid1(VALU_DEP_2)
	v_cmp_ge_i32_e64 s39, v51, v65
	v_cmp_lt_i32_e64 s40, v52, v66
	s_or_b32 s38, s39, s38
	s_wait_alu 0xfffe
	s_and_b32 s38, s40, s38
	s_wait_alu 0xfffe
	s_xor_b32 s39, s38, -1
	s_wait_alu 0xfffe
	s_and_saveexec_b32 s40, s39
	s_wait_alu 0xfffe
	s_xor_b32 s39, exec_lo, s40
; %bb.11:                               ;   in Loop: Header=BB159_2 Depth=1
	v_lshlrev_b32_e32 v25, 3, v51
	ds_load_b64 v[25:26], v25 offset:8
; %bb.12:                               ;   in Loop: Header=BB159_2 Depth=1
	s_wait_alu 0xfffe
	s_or_saveexec_b32 s39, s39
	v_dual_mov_b32 v28, v24 :: v_dual_mov_b32 v27, v23
	s_wait_alu 0xfffe
	s_xor_b32 exec_lo, exec_lo, s39
	s_cbranch_execz .LBB159_14
; %bb.13:                               ;   in Loop: Header=BB159_2 Depth=1
	s_wait_dscnt 0x0
	v_lshlrev_b32_e32 v25, 3, v52
	ds_load_b64 v[27:28], v25 offset:8
	v_dual_mov_b32 v26, v22 :: v_dual_mov_b32 v25, v21
.LBB159_14:                             ;   in Loop: Header=BB159_2 Depth=1
	s_or_b32 exec_lo, exec_lo, s39
	v_add_nc_u32_e32 v29, 1, v51
	v_add_nc_u32_e32 v30, 1, v52
	s_wait_dscnt 0x0
	v_cmp_lt_i64_e64 s39, v[27:28], v[25:26]
                                        ; implicit-def: $vgpr33_vgpr34
	s_delay_alu instid0(VALU_DEP_3) | instskip(NEXT) | instid1(VALU_DEP_3)
	v_cndmask_b32_e64 v122, v29, v51, s38
	v_cndmask_b32_e64 v123, v52, v30, s38
	s_delay_alu instid0(VALU_DEP_2) | instskip(NEXT) | instid1(VALU_DEP_2)
	v_cmp_ge_i32_e64 s40, v122, v65
	v_cmp_lt_i32_e64 s41, v123, v66
	s_or_b32 s39, s40, s39
	s_wait_alu 0xfffe
	s_and_b32 s39, s41, s39
	s_wait_alu 0xfffe
	s_xor_b32 s40, s39, -1
	s_wait_alu 0xfffe
	s_and_saveexec_b32 s41, s40
	s_wait_alu 0xfffe
	s_xor_b32 s40, exec_lo, s41
; %bb.15:                               ;   in Loop: Header=BB159_2 Depth=1
	v_lshlrev_b32_e32 v29, 3, v122
	ds_load_b64 v[33:34], v29 offset:8
; %bb.16:                               ;   in Loop: Header=BB159_2 Depth=1
	s_wait_alu 0xfffe
	s_or_saveexec_b32 s40, s40
	v_dual_mov_b32 v36, v28 :: v_dual_mov_b32 v35, v27
	s_wait_alu 0xfffe
	s_xor_b32 exec_lo, exec_lo, s40
	s_cbranch_execz .LBB159_18
; %bb.17:                               ;   in Loop: Header=BB159_2 Depth=1
	s_wait_dscnt 0x0
	v_dual_mov_b32 v34, v26 :: v_dual_lshlrev_b32 v29, 3, v123
	v_mov_b32_e32 v33, v25
	ds_load_b64 v[35:36], v29 offset:8
.LBB159_18:                             ;   in Loop: Header=BB159_2 Depth=1
	s_or_b32 exec_lo, exec_lo, s40
	v_add_nc_u32_e32 v29, 1, v122
	v_add_nc_u32_e32 v30, 1, v123
	s_wait_dscnt 0x0
	v_cmp_lt_i64_e64 s40, v[35:36], v[33:34]
                                        ; implicit-def: $vgpr37_vgpr38
	s_delay_alu instid0(VALU_DEP_3) | instskip(NEXT) | instid1(VALU_DEP_3)
	v_cndmask_b32_e64 v124, v29, v122, s39
	v_cndmask_b32_e64 v125, v123, v30, s39
	s_delay_alu instid0(VALU_DEP_2) | instskip(NEXT) | instid1(VALU_DEP_2)
	v_cmp_ge_i32_e64 s41, v124, v65
	v_cmp_lt_i32_e64 s42, v125, v66
	s_or_b32 s40, s41, s40
	s_wait_alu 0xfffe
	s_and_b32 s40, s42, s40
	s_wait_alu 0xfffe
	s_xor_b32 s41, s40, -1
	s_wait_alu 0xfffe
	s_and_saveexec_b32 s42, s41
	s_wait_alu 0xfffe
	s_xor_b32 s41, exec_lo, s42
; %bb.19:                               ;   in Loop: Header=BB159_2 Depth=1
	v_lshlrev_b32_e32 v29, 3, v124
	ds_load_b64 v[37:38], v29 offset:8
; %bb.20:                               ;   in Loop: Header=BB159_2 Depth=1
	s_wait_alu 0xfffe
	s_or_saveexec_b32 s41, s41
	v_dual_mov_b32 v40, v36 :: v_dual_mov_b32 v39, v35
	s_wait_alu 0xfffe
	s_xor_b32 exec_lo, exec_lo, s41
	s_cbranch_execz .LBB159_22
; %bb.21:                               ;   in Loop: Header=BB159_2 Depth=1
	s_wait_dscnt 0x0
	v_dual_mov_b32 v38, v34 :: v_dual_lshlrev_b32 v29, 3, v125
	v_mov_b32_e32 v37, v33
	ds_load_b64 v[39:40], v29 offset:8
.LBB159_22:                             ;   in Loop: Header=BB159_2 Depth=1
	s_or_b32 exec_lo, exec_lo, s41
	v_add_nc_u32_e32 v29, 1, v124
	v_add_nc_u32_e32 v30, 1, v125
	s_wait_dscnt 0x0
	v_cmp_lt_i64_e64 s41, v[39:40], v[37:38]
                                        ; implicit-def: $vgpr41_vgpr42
	s_delay_alu instid0(VALU_DEP_3) | instskip(NEXT) | instid1(VALU_DEP_3)
	v_cndmask_b32_e64 v126, v29, v124, s40
	v_cndmask_b32_e64 v127, v125, v30, s40
	s_delay_alu instid0(VALU_DEP_2) | instskip(NEXT) | instid1(VALU_DEP_2)
	v_cmp_ge_i32_e64 s42, v126, v65
	v_cmp_lt_i32_e64 s43, v127, v66
	s_or_b32 s41, s42, s41
	s_wait_alu 0xfffe
	s_and_b32 s41, s43, s41
	s_wait_alu 0xfffe
	s_xor_b32 s42, s41, -1
	s_wait_alu 0xfffe
	s_and_saveexec_b32 s43, s42
	s_wait_alu 0xfffe
	s_xor_b32 s42, exec_lo, s43
; %bb.23:                               ;   in Loop: Header=BB159_2 Depth=1
	v_lshlrev_b32_e32 v29, 3, v126
	ds_load_b64 v[41:42], v29 offset:8
; %bb.24:                               ;   in Loop: Header=BB159_2 Depth=1
	s_wait_alu 0xfffe
	s_or_saveexec_b32 s42, s42
	v_dual_mov_b32 v44, v40 :: v_dual_mov_b32 v43, v39
	s_wait_alu 0xfffe
	s_xor_b32 exec_lo, exec_lo, s42
	s_cbranch_execz .LBB159_26
; %bb.25:                               ;   in Loop: Header=BB159_2 Depth=1
	s_wait_dscnt 0x0
	v_dual_mov_b32 v42, v38 :: v_dual_lshlrev_b32 v29, 3, v127
	v_mov_b32_e32 v41, v37
	ds_load_b64 v[43:44], v29 offset:8
.LBB159_26:                             ;   in Loop: Header=BB159_2 Depth=1
	s_or_b32 exec_lo, exec_lo, s42
	v_add_nc_u32_e32 v29, 1, v126
	v_add_nc_u32_e32 v30, 1, v127
	s_wait_dscnt 0x0
	v_cmp_lt_i64_e64 s42, v[43:44], v[41:42]
                                        ; implicit-def: $vgpr45_vgpr46
	s_delay_alu instid0(VALU_DEP_3) | instskip(NEXT) | instid1(VALU_DEP_3)
	v_cndmask_b32_e64 v128, v29, v126, s41
	v_cndmask_b32_e64 v129, v127, v30, s41
	s_delay_alu instid0(VALU_DEP_2) | instskip(NEXT) | instid1(VALU_DEP_2)
	v_cmp_ge_i32_e64 s43, v128, v65
	v_cmp_lt_i32_e64 s44, v129, v66
	s_or_b32 s42, s43, s42
	s_wait_alu 0xfffe
	s_and_b32 s42, s44, s42
	s_wait_alu 0xfffe
	s_xor_b32 s43, s42, -1
	s_wait_alu 0xfffe
	s_and_saveexec_b32 s44, s43
	s_delay_alu instid0(SALU_CYCLE_1)
	s_xor_b32 s43, exec_lo, s44
; %bb.27:                               ;   in Loop: Header=BB159_2 Depth=1
	v_lshlrev_b32_e32 v29, 3, v128
	ds_load_b64 v[45:46], v29 offset:8
; %bb.28:                               ;   in Loop: Header=BB159_2 Depth=1
	s_wait_alu 0xfffe
	s_or_saveexec_b32 s43, s43
	v_dual_mov_b32 v48, v44 :: v_dual_mov_b32 v47, v43
	s_wait_alu 0xfffe
	s_xor_b32 exec_lo, exec_lo, s43
	s_cbranch_execz .LBB159_30
; %bb.29:                               ;   in Loop: Header=BB159_2 Depth=1
	s_wait_dscnt 0x0
	v_dual_mov_b32 v46, v42 :: v_dual_lshlrev_b32 v29, 3, v129
	v_mov_b32_e32 v45, v41
	ds_load_b64 v[47:48], v29 offset:8
.LBB159_30:                             ;   in Loop: Header=BB159_2 Depth=1
	s_or_b32 exec_lo, exec_lo, s43
	v_add_nc_u32_e32 v29, 1, v128
	v_add_nc_u32_e32 v30, 1, v129
	s_wait_dscnt 0x0
	v_cmp_lt_i64_e64 s43, v[47:48], v[45:46]
	s_delay_alu instid0(VALU_DEP_3) | instskip(NEXT) | instid1(VALU_DEP_3)
	v_cndmask_b32_e64 v130, v29, v128, s42
	v_cndmask_b32_e64 v131, v129, v30, s42
                                        ; implicit-def: $vgpr29_vgpr30
	s_delay_alu instid0(VALU_DEP_2) | instskip(NEXT) | instid1(VALU_DEP_2)
	v_cmp_ge_i32_e64 s44, v130, v65
	v_cmp_lt_i32_e64 s45, v131, v66
	s_or_b32 s43, s44, s43
	s_wait_alu 0xfffe
	s_and_b32 s43, s45, s43
	s_wait_alu 0xfffe
	s_xor_b32 s44, s43, -1
	s_delay_alu instid0(SALU_CYCLE_1) | instskip(NEXT) | instid1(SALU_CYCLE_1)
	s_and_saveexec_b32 s45, s44
	s_xor_b32 s44, exec_lo, s45
; %bb.31:                               ;   in Loop: Header=BB159_2 Depth=1
	v_lshlrev_b32_e32 v29, 3, v130
	ds_load_b64 v[29:30], v29 offset:8
; %bb.32:                               ;   in Loop: Header=BB159_2 Depth=1
	s_or_saveexec_b32 s44, s44
	v_dual_mov_b32 v31, v47 :: v_dual_mov_b32 v32, v48
	s_xor_b32 exec_lo, exec_lo, s44
	s_cbranch_execz .LBB159_34
; %bb.33:                               ;   in Loop: Header=BB159_2 Depth=1
	s_wait_dscnt 0x0
	v_lshlrev_b32_e32 v29, 3, v131
	ds_load_b64 v[31:32], v29 offset:8
	v_dual_mov_b32 v29, v45 :: v_dual_mov_b32 v30, v46
.LBB159_34:                             ;   in Loop: Header=BB159_2 Depth=1
	s_or_b32 exec_lo, exec_lo, s44
	v_cndmask_b32_e64 v42, v42, v44, s42
	v_cndmask_b32_e64 v26, v26, v28, s39
	;; [unrolled: 1-line block ×71, first 2 shown]
	v_add_nc_u32_e32 v133, 1, v130
	v_cndmask_b32_e64 v9, v14, v49, s25
	v_cndmask_b32_e64 v10, v13, v28, s25
	;; [unrolled: 1-line block ×4, first 2 shown]
	v_add_nc_u32_e32 v132, 1, v131
	v_cndmask_b32_e64 v38, v38, v40, s41
	v_cndmask_b32_e64 v40, v51, v52, s38
	;; [unrolled: 1-line block ×26, first 2 shown]
	s_wait_dscnt 0x0
	v_cmp_lt_i64_e64 s8, v[31:32], v[29:30]
	v_cndmask_b32_e64 v34, v34, v36, s40
	v_cndmask_b32_e64 v36, v122, v123, s39
	;; [unrolled: 1-line block ×6, first 2 shown]
	v_cmp_ge_i32_e64 s9, v48, v65
	v_cndmask_b32_e64 v50, v11, v9, s33
	v_cndmask_b32_e64 v51, v12, v10, s33
	v_cmp_lt_i32_e64 s10, v47, v66
	v_cndmask_b32_e64 v6, v28, v8, s35
	v_cndmask_b32_e64 v5, v49, v7, s35
	;; [unrolled: 1-line block ×8, first 2 shown]
	s_or_b32 s8, s9, s8
	v_cndmask_b32_e64 v10, v13, v16, s36
	v_cndmask_b32_e64 v9, v14, v15, s36
	;; [unrolled: 1-line block ×8, first 2 shown]
	s_wait_alu 0xfffe
	s_and_b32 s8, s10, s8
	v_cndmask_b32_e64 v41, v41, v43, s42
	v_cndmask_b32_e64 v43, v128, v129, s42
	;; [unrolled: 1-line block ×5, first 2 shown]
	s_wait_alu 0xfffe
	v_cndmask_b32_e64 v28, v30, v32, s8
	v_cndmask_b32_e64 v30, v48, v47, s8
	s_wait_loadcnt 0x0
	s_barrier_signal -1
	s_barrier_wait -1
	global_inv scope:SCOPE_SE
	ds_store_2addr_b64 v53, v[1:2], v[7:8] offset1:1
	ds_store_2addr_b64 v53, v[5:6], v[11:12] offset0:2 offset1:3
	ds_store_2addr_b64 v53, v[9:10], v[15:16] offset0:4 offset1:5
	;; [unrolled: 1-line block ×3, first 2 shown]
	v_lshlrev_b32_e32 v1, 3, v44
	v_lshlrev_b32_e32 v2, 3, v40
	;; [unrolled: 1-line block ×6, first 2 shown]
	s_wait_loadcnt_dscnt 0x0
	s_barrier_signal -1
	s_barrier_wait -1
	global_inv scope:SCOPE_SE
	v_lshlrev_b32_e32 v32, 3, v130
	v_lshlrev_b32_e32 v30, 3, v30
	ds_load_b64 v[13:14], v1
	ds_load_b64 v[15:16], v2
	;; [unrolled: 1-line block ×8, first 2 shown]
	v_cndmask_b32_e64 v22, v22, v24, s38
	v_cndmask_b32_e64 v21, v21, v23, s38
	;; [unrolled: 1-line block ×6, first 2 shown]
	s_wait_loadcnt_dscnt 0x0
	s_barrier_signal -1
	s_barrier_wait -1
	global_inv scope:SCOPE_SE
	ds_store_2addr_b64 v53, v[17:18], v[21:22] offset1:1
	ds_store_2addr_b64 v53, v[25:26], v[33:34] offset0:2 offset1:3
	ds_store_2addr_b64 v53, v[37:38], v[41:42] offset0:4 offset1:5
	;; [unrolled: 1-line block ×3, first 2 shown]
	v_mov_b32_e32 v21, v114
	s_wait_loadcnt_dscnt 0x0
	s_barrier_signal -1
	s_barrier_wait -1
	global_inv scope:SCOPE_SE
	s_and_saveexec_b32 s9, s1
	s_cbranch_execz .LBB159_38
; %bb.35:                               ;   in Loop: Header=BB159_2 Depth=1
	v_mov_b32_e32 v21, v114
	v_mov_b32_e32 v17, v106
	s_mov_b32 s10, 0
.LBB159_36:                             ;   Parent Loop BB159_2 Depth=1
                                        ; =>  This Inner Loop Header: Depth=2
	s_delay_alu instid0(VALU_DEP_1) | instskip(NEXT) | instid1(VALU_DEP_1)
	v_sub_nc_u32_e32 v18, v17, v21
	v_lshrrev_b32_e32 v18, 1, v18
	s_delay_alu instid0(VALU_DEP_1) | instskip(NEXT) | instid1(VALU_DEP_1)
	v_add_nc_u32_e32 v20, v18, v21
	v_not_b32_e32 v18, v20
	v_lshl_add_u32 v19, v20, 3, v70
	s_delay_alu instid0(VALU_DEP_2)
	v_lshl_add_u32 v22, v18, 3, v98
	ds_load_b64 v[18:19], v19
	ds_load_b64 v[22:23], v22
	s_wait_dscnt 0x0
	v_cmp_lt_i64_e64 s8, v[22:23], v[18:19]
	v_add_nc_u32_e32 v18, 1, v20
	s_wait_alu 0xf1ff
	s_delay_alu instid0(VALU_DEP_2) | instskip(NEXT) | instid1(VALU_DEP_2)
	v_cndmask_b32_e64 v17, v17, v20, s8
	v_cndmask_b32_e64 v21, v18, v21, s8
	s_delay_alu instid0(VALU_DEP_1)
	v_cmp_ge_i32_e64 s8, v21, v17
	s_wait_alu 0xfffe
	s_or_b32 s10, s8, s10
	s_wait_alu 0xfffe
	s_and_not1_b32 exec_lo, exec_lo, s10
	s_cbranch_execnz .LBB159_36
; %bb.37:                               ;   in Loop: Header=BB159_2 Depth=1
	s_or_b32 exec_lo, exec_lo, s10
.LBB159_38:                             ;   in Loop: Header=BB159_2 Depth=1
	s_wait_alu 0xfffe
	s_or_b32 exec_lo, exec_lo, s9
	v_sub_nc_u32_e32 v49, v90, v21
	v_lshl_add_u32 v23, v21, 3, v70
	v_add_nc_u32_e32 v50, v21, v55
                                        ; implicit-def: $vgpr21_vgpr22
	s_delay_alu instid0(VALU_DEP_3) | instskip(SKIP_1) | instid1(VALU_DEP_3)
	v_lshlrev_b32_e32 v25, 3, v49
	v_cmp_gt_i32_e64 s10, v69, v49
	v_cmp_le_i32_e64 s9, v68, v50
	ds_load_b64 v[17:18], v23
	ds_load_b64 v[19:20], v25
	s_wait_dscnt 0x0
	v_cmp_lt_i64_e64 s8, v[19:20], v[17:18]
	s_or_b32 s8, s9, s8
	s_wait_alu 0xfffe
	s_and_b32 s8, s10, s8
	s_wait_alu 0xfffe
	s_xor_b32 s9, s8, -1
	s_wait_alu 0xfffe
	s_and_saveexec_b32 s10, s9
	s_wait_alu 0xfffe
	s_xor_b32 s9, exec_lo, s10
; %bb.39:                               ;   in Loop: Header=BB159_2 Depth=1
	ds_load_b64 v[21:22], v23 offset:8
                                        ; implicit-def: $vgpr25
; %bb.40:                               ;   in Loop: Header=BB159_2 Depth=1
	s_wait_alu 0xfffe
	s_or_saveexec_b32 s9, s9
	v_dual_mov_b32 v24, v20 :: v_dual_mov_b32 v23, v19
	s_wait_alu 0xfffe
	s_xor_b32 exec_lo, exec_lo, s9
	s_cbranch_execz .LBB159_42
; %bb.41:                               ;   in Loop: Header=BB159_2 Depth=1
	ds_load_b64 v[23:24], v25 offset:8
	s_wait_dscnt 0x1
	v_dual_mov_b32 v22, v18 :: v_dual_mov_b32 v21, v17
.LBB159_42:                             ;   in Loop: Header=BB159_2 Depth=1
	s_or_b32 exec_lo, exec_lo, s9
	v_add_nc_u32_e32 v25, 1, v50
	v_add_nc_u32_e32 v26, 1, v49
	s_wait_dscnt 0x0
	v_cmp_lt_i64_e64 s9, v[23:24], v[21:22]
	s_delay_alu instid0(VALU_DEP_3) | instskip(NEXT) | instid1(VALU_DEP_3)
	v_cndmask_b32_e64 v51, v25, v50, s8
	v_cndmask_b32_e64 v52, v49, v26, s8
                                        ; implicit-def: $vgpr25_vgpr26
	s_delay_alu instid0(VALU_DEP_2) | instskip(NEXT) | instid1(VALU_DEP_2)
	v_cmp_ge_i32_e64 s10, v51, v68
	v_cmp_lt_i32_e64 s11, v52, v69
	s_or_b32 s9, s10, s9
	s_wait_alu 0xfffe
	s_and_b32 s9, s11, s9
	s_wait_alu 0xfffe
	s_xor_b32 s10, s9, -1
	s_wait_alu 0xfffe
	s_and_saveexec_b32 s11, s10
	s_wait_alu 0xfffe
	s_xor_b32 s10, exec_lo, s11
; %bb.43:                               ;   in Loop: Header=BB159_2 Depth=1
	v_lshlrev_b32_e32 v25, 3, v51
	ds_load_b64 v[25:26], v25 offset:8
; %bb.44:                               ;   in Loop: Header=BB159_2 Depth=1
	s_wait_alu 0xfffe
	s_or_saveexec_b32 s10, s10
	v_dual_mov_b32 v28, v24 :: v_dual_mov_b32 v27, v23
	s_wait_alu 0xfffe
	s_xor_b32 exec_lo, exec_lo, s10
	s_cbranch_execz .LBB159_46
; %bb.45:                               ;   in Loop: Header=BB159_2 Depth=1
	s_wait_dscnt 0x0
	v_lshlrev_b32_e32 v25, 3, v52
	ds_load_b64 v[27:28], v25 offset:8
	v_dual_mov_b32 v26, v22 :: v_dual_mov_b32 v25, v21
.LBB159_46:                             ;   in Loop: Header=BB159_2 Depth=1
	s_or_b32 exec_lo, exec_lo, s10
	v_add_nc_u32_e32 v29, 1, v51
	v_add_nc_u32_e32 v30, 1, v52
	s_wait_dscnt 0x0
	v_cmp_lt_i64_e64 s10, v[27:28], v[25:26]
	s_delay_alu instid0(VALU_DEP_3) | instskip(NEXT) | instid1(VALU_DEP_3)
	v_cndmask_b32_e64 v122, v29, v51, s9
	v_cndmask_b32_e64 v123, v52, v30, s9
                                        ; implicit-def: $vgpr29_vgpr30
	s_delay_alu instid0(VALU_DEP_2) | instskip(NEXT) | instid1(VALU_DEP_2)
	v_cmp_ge_i32_e64 s11, v122, v68
	v_cmp_lt_i32_e64 s12, v123, v69
	s_or_b32 s10, s11, s10
	s_wait_alu 0xfffe
	s_and_b32 s10, s12, s10
	s_wait_alu 0xfffe
	s_xor_b32 s11, s10, -1
	s_wait_alu 0xfffe
	s_and_saveexec_b32 s12, s11
	s_wait_alu 0xfffe
	s_xor_b32 s11, exec_lo, s12
; %bb.47:                               ;   in Loop: Header=BB159_2 Depth=1
	v_lshlrev_b32_e32 v29, 3, v122
	ds_load_b64 v[29:30], v29 offset:8
; %bb.48:                               ;   in Loop: Header=BB159_2 Depth=1
	s_wait_alu 0xfffe
	s_or_saveexec_b32 s11, s11
	v_dual_mov_b32 v32, v28 :: v_dual_mov_b32 v31, v27
	s_wait_alu 0xfffe
	s_xor_b32 exec_lo, exec_lo, s11
	s_cbranch_execz .LBB159_50
; %bb.49:                               ;   in Loop: Header=BB159_2 Depth=1
	s_wait_dscnt 0x0
	v_lshlrev_b32_e32 v29, 3, v123
	ds_load_b64 v[31:32], v29 offset:8
	v_dual_mov_b32 v30, v26 :: v_dual_mov_b32 v29, v25
.LBB159_50:                             ;   in Loop: Header=BB159_2 Depth=1
	s_or_b32 exec_lo, exec_lo, s11
	v_add_nc_u32_e32 v33, 1, v122
	v_add_nc_u32_e32 v34, 1, v123
	s_wait_dscnt 0x0
	v_cmp_lt_i64_e64 s11, v[31:32], v[29:30]
	s_delay_alu instid0(VALU_DEP_3) | instskip(NEXT) | instid1(VALU_DEP_3)
	v_cndmask_b32_e64 v124, v33, v122, s10
	v_cndmask_b32_e64 v125, v123, v34, s10
                                        ; implicit-def: $vgpr33_vgpr34
	s_delay_alu instid0(VALU_DEP_2) | instskip(NEXT) | instid1(VALU_DEP_2)
	v_cmp_ge_i32_e64 s12, v124, v68
	v_cmp_lt_i32_e64 s13, v125, v69
	s_or_b32 s11, s12, s11
	s_wait_alu 0xfffe
	s_and_b32 s11, s13, s11
	s_wait_alu 0xfffe
	s_xor_b32 s12, s11, -1
	s_wait_alu 0xfffe
	s_and_saveexec_b32 s13, s12
	s_wait_alu 0xfffe
	s_xor_b32 s12, exec_lo, s13
; %bb.51:                               ;   in Loop: Header=BB159_2 Depth=1
	v_lshlrev_b32_e32 v33, 3, v124
	ds_load_b64 v[33:34], v33 offset:8
; %bb.52:                               ;   in Loop: Header=BB159_2 Depth=1
	s_wait_alu 0xfffe
	s_or_saveexec_b32 s12, s12
	v_dual_mov_b32 v36, v32 :: v_dual_mov_b32 v35, v31
	s_wait_alu 0xfffe
	s_xor_b32 exec_lo, exec_lo, s12
	s_cbranch_execz .LBB159_54
; %bb.53:                               ;   in Loop: Header=BB159_2 Depth=1
	s_wait_dscnt 0x0
	v_lshlrev_b32_e32 v33, 3, v125
	ds_load_b64 v[35:36], v33 offset:8
	v_dual_mov_b32 v34, v30 :: v_dual_mov_b32 v33, v29
.LBB159_54:                             ;   in Loop: Header=BB159_2 Depth=1
	s_or_b32 exec_lo, exec_lo, s12
	v_add_nc_u32_e32 v37, 1, v124
	v_add_nc_u32_e32 v38, 1, v125
	s_wait_dscnt 0x0
	v_cmp_lt_i64_e64 s12, v[35:36], v[33:34]
                                        ; implicit-def: $vgpr39_vgpr40
	s_delay_alu instid0(VALU_DEP_3) | instskip(NEXT) | instid1(VALU_DEP_3)
	v_cndmask_b32_e64 v126, v37, v124, s11
	v_cndmask_b32_e64 v127, v125, v38, s11
	s_delay_alu instid0(VALU_DEP_2) | instskip(NEXT) | instid1(VALU_DEP_2)
	v_cmp_ge_i32_e64 s13, v126, v68
	v_cmp_lt_i32_e64 s14, v127, v69
	s_or_b32 s12, s13, s12
	s_wait_alu 0xfffe
	s_and_b32 s12, s14, s12
	s_wait_alu 0xfffe
	s_xor_b32 s13, s12, -1
	s_wait_alu 0xfffe
	s_and_saveexec_b32 s14, s13
	s_wait_alu 0xfffe
	s_xor_b32 s13, exec_lo, s14
; %bb.55:                               ;   in Loop: Header=BB159_2 Depth=1
	v_lshlrev_b32_e32 v37, 3, v126
	ds_load_b64 v[39:40], v37 offset:8
; %bb.56:                               ;   in Loop: Header=BB159_2 Depth=1
	s_wait_alu 0xfffe
	s_or_saveexec_b32 s13, s13
	v_dual_mov_b32 v44, v36 :: v_dual_mov_b32 v43, v35
	s_wait_alu 0xfffe
	s_xor_b32 exec_lo, exec_lo, s13
	s_cbranch_execz .LBB159_58
; %bb.57:                               ;   in Loop: Header=BB159_2 Depth=1
	s_wait_dscnt 0x0
	v_dual_mov_b32 v40, v34 :: v_dual_lshlrev_b32 v37, 3, v127
	v_mov_b32_e32 v39, v33
	ds_load_b64 v[43:44], v37 offset:8
.LBB159_58:                             ;   in Loop: Header=BB159_2 Depth=1
	s_or_b32 exec_lo, exec_lo, s13
	v_add_nc_u32_e32 v37, 1, v126
	v_add_nc_u32_e32 v38, 1, v127
	s_wait_dscnt 0x0
	v_cmp_lt_i64_e64 s13, v[43:44], v[39:40]
                                        ; implicit-def: $vgpr45_vgpr46
	s_delay_alu instid0(VALU_DEP_3) | instskip(NEXT) | instid1(VALU_DEP_3)
	v_cndmask_b32_e64 v128, v37, v126, s12
	v_cndmask_b32_e64 v129, v127, v38, s12
	s_delay_alu instid0(VALU_DEP_2) | instskip(NEXT) | instid1(VALU_DEP_2)
	v_cmp_ge_i32_e64 s14, v128, v68
	v_cmp_lt_i32_e64 s15, v129, v69
	s_or_b32 s13, s14, s13
	s_wait_alu 0xfffe
	s_and_b32 s13, s15, s13
	s_wait_alu 0xfffe
	s_xor_b32 s14, s13, -1
	s_wait_alu 0xfffe
	s_and_saveexec_b32 s15, s14
	s_wait_alu 0xfffe
	s_xor_b32 s14, exec_lo, s15
; %bb.59:                               ;   in Loop: Header=BB159_2 Depth=1
	v_lshlrev_b32_e32 v37, 3, v128
	ds_load_b64 v[45:46], v37 offset:8
; %bb.60:                               ;   in Loop: Header=BB159_2 Depth=1
	s_wait_alu 0xfffe
	s_or_saveexec_b32 s14, s14
	v_dual_mov_b32 v48, v44 :: v_dual_mov_b32 v47, v43
	s_wait_alu 0xfffe
	s_xor_b32 exec_lo, exec_lo, s14
	s_cbranch_execz .LBB159_62
; %bb.61:                               ;   in Loop: Header=BB159_2 Depth=1
	s_wait_dscnt 0x0
	v_dual_mov_b32 v46, v40 :: v_dual_lshlrev_b32 v37, 3, v129
	v_mov_b32_e32 v45, v39
	ds_load_b64 v[47:48], v37 offset:8
.LBB159_62:                             ;   in Loop: Header=BB159_2 Depth=1
	s_or_b32 exec_lo, exec_lo, s14
	v_add_nc_u32_e32 v37, 1, v128
	v_add_nc_u32_e32 v38, 1, v129
	s_wait_dscnt 0x0
	v_cmp_lt_i64_e64 s14, v[47:48], v[45:46]
	s_delay_alu instid0(VALU_DEP_3) | instskip(NEXT) | instid1(VALU_DEP_3)
	v_cndmask_b32_e64 v130, v37, v128, s13
	v_cndmask_b32_e64 v131, v129, v38, s13
                                        ; implicit-def: $vgpr37_vgpr38
	s_delay_alu instid0(VALU_DEP_2) | instskip(NEXT) | instid1(VALU_DEP_2)
	v_cmp_ge_i32_e64 s15, v130, v68
	v_cmp_lt_i32_e64 s16, v131, v69
	s_or_b32 s14, s15, s14
	s_wait_alu 0xfffe
	s_and_b32 s14, s16, s14
	s_wait_alu 0xfffe
	s_xor_b32 s15, s14, -1
	s_wait_alu 0xfffe
	s_and_saveexec_b32 s16, s15
	s_wait_alu 0xfffe
	s_xor_b32 s15, exec_lo, s16
; %bb.63:                               ;   in Loop: Header=BB159_2 Depth=1
	v_lshlrev_b32_e32 v37, 3, v130
	ds_load_b64 v[37:38], v37 offset:8
; %bb.64:                               ;   in Loop: Header=BB159_2 Depth=1
	s_wait_alu 0xfffe
	s_or_saveexec_b32 s15, s15
	v_dual_mov_b32 v41, v47 :: v_dual_mov_b32 v42, v48
	s_wait_alu 0xfffe
	s_xor_b32 exec_lo, exec_lo, s15
	s_cbranch_execz .LBB159_66
; %bb.65:                               ;   in Loop: Header=BB159_2 Depth=1
	s_wait_dscnt 0x0
	v_lshlrev_b32_e32 v37, 3, v131
	ds_load_b64 v[41:42], v37 offset:8
	v_dual_mov_b32 v37, v45 :: v_dual_mov_b32 v38, v46
.LBB159_66:                             ;   in Loop: Header=BB159_2 Depth=1
	s_or_b32 exec_lo, exec_lo, s15
	v_add_nc_u32_e32 v133, 1, v130
	v_add_nc_u32_e32 v132, 1, v131
	v_cndmask_b32_e64 v46, v46, v48, s14
	v_cndmask_b32_e64 v45, v45, v47, s14
	;; [unrolled: 1-line block ×7, first 2 shown]
	s_wait_dscnt 0x0
	v_cmp_lt_i64_e64 s11, v[41:42], v[37:38]
	v_cndmask_b32_e64 v34, v34, v36, s12
	v_cndmask_b32_e64 v33, v33, v35, s12
	;; [unrolled: 1-line block ×3, first 2 shown]
	v_cmp_ge_i32_e64 s12, v48, v68
	v_cndmask_b32_e64 v40, v40, v44, s13
	v_cndmask_b32_e64 v39, v39, v43, s13
	;; [unrolled: 1-line block ×3, first 2 shown]
	v_cmp_lt_i32_e64 s13, v47, v69
	v_cndmask_b32_e64 v44, v50, v49, s8
	v_cndmask_b32_e64 v36, v51, v52, s9
	s_or_b32 s11, s12, s11
	v_cndmask_b32_e64 v32, v122, v123, s10
	s_wait_alu 0xfffe
	s_and_b32 s11, s13, s11
	v_cndmask_b32_e64 v130, v130, v131, s14
	v_cndmask_b32_e64 v26, v26, v28, s10
	s_wait_alu 0xfffe
	v_cndmask_b32_e64 v28, v38, v42, s11
	v_cndmask_b32_e64 v38, v48, v47, s11
	s_wait_loadcnt 0x0
	s_barrier_signal -1
	s_barrier_wait -1
	global_inv scope:SCOPE_SE
	ds_store_2addr_b64 v53, v[13:14], v[15:16] offset1:1
	ds_store_2addr_b64 v53, v[9:10], v[11:12] offset0:2 offset1:3
	ds_store_2addr_b64 v53, v[5:6], v[7:8] offset0:4 offset1:5
	;; [unrolled: 1-line block ×3, first 2 shown]
	v_lshlrev_b32_e32 v1, 3, v44
	v_lshlrev_b32_e32 v2, 3, v36
	;; [unrolled: 1-line block ×6, first 2 shown]
	s_wait_loadcnt_dscnt 0x0
	s_barrier_signal -1
	s_barrier_wait -1
	global_inv scope:SCOPE_SE
	v_lshlrev_b32_e32 v31, 3, v130
	v_lshlrev_b32_e32 v32, 3, v38
	ds_load_b64 v[13:14], v1
	ds_load_b64 v[15:16], v2
	;; [unrolled: 1-line block ×8, first 2 shown]
	v_cndmask_b32_e64 v22, v22, v24, s9
	v_cndmask_b32_e64 v21, v21, v23, s9
	;; [unrolled: 1-line block ×6, first 2 shown]
	s_wait_loadcnt_dscnt 0x0
	s_barrier_signal -1
	s_barrier_wait -1
	global_inv scope:SCOPE_SE
	ds_store_2addr_b64 v53, v[17:18], v[21:22] offset1:1
	ds_store_2addr_b64 v53, v[25:26], v[29:30] offset0:2 offset1:3
	ds_store_2addr_b64 v53, v[33:34], v[39:40] offset0:4 offset1:5
	;; [unrolled: 1-line block ×3, first 2 shown]
	v_mov_b32_e32 v21, v115
	s_wait_loadcnt_dscnt 0x0
	s_barrier_signal -1
	s_barrier_wait -1
	global_inv scope:SCOPE_SE
	s_and_saveexec_b32 s9, s2
	s_cbranch_execz .LBB159_70
; %bb.67:                               ;   in Loop: Header=BB159_2 Depth=1
	v_mov_b32_e32 v21, v115
	v_mov_b32_e32 v17, v107
	s_mov_b32 s10, 0
.LBB159_68:                             ;   Parent Loop BB159_2 Depth=1
                                        ; =>  This Inner Loop Header: Depth=2
	s_delay_alu instid0(VALU_DEP_1) | instskip(NEXT) | instid1(VALU_DEP_1)
	v_sub_nc_u32_e32 v18, v17, v21
	v_lshrrev_b32_e32 v18, 1, v18
	s_delay_alu instid0(VALU_DEP_1) | instskip(NEXT) | instid1(VALU_DEP_1)
	v_add_nc_u32_e32 v20, v18, v21
	v_not_b32_e32 v18, v20
	v_lshl_add_u32 v19, v20, 3, v73
	s_delay_alu instid0(VALU_DEP_2)
	v_lshl_add_u32 v22, v18, 3, v99
	ds_load_b64 v[18:19], v19
	ds_load_b64 v[22:23], v22
	s_wait_dscnt 0x0
	v_cmp_lt_i64_e64 s8, v[22:23], v[18:19]
	v_add_nc_u32_e32 v18, 1, v20
	s_wait_alu 0xf1ff
	s_delay_alu instid0(VALU_DEP_2) | instskip(NEXT) | instid1(VALU_DEP_2)
	v_cndmask_b32_e64 v17, v17, v20, s8
	v_cndmask_b32_e64 v21, v18, v21, s8
	s_delay_alu instid0(VALU_DEP_1)
	v_cmp_ge_i32_e64 s8, v21, v17
	s_wait_alu 0xfffe
	s_or_b32 s10, s8, s10
	s_wait_alu 0xfffe
	s_and_not1_b32 exec_lo, exec_lo, s10
	s_cbranch_execnz .LBB159_68
; %bb.69:                               ;   in Loop: Header=BB159_2 Depth=1
	s_or_b32 exec_lo, exec_lo, s10
.LBB159_70:                             ;   in Loop: Header=BB159_2 Depth=1
	s_wait_alu 0xfffe
	s_or_b32 exec_lo, exec_lo, s9
	v_sub_nc_u32_e32 v49, v91, v21
	v_lshl_add_u32 v23, v21, 3, v73
	v_add_nc_u32_e32 v50, v21, v56
                                        ; implicit-def: $vgpr21_vgpr22
	s_delay_alu instid0(VALU_DEP_3) | instskip(SKIP_1) | instid1(VALU_DEP_3)
	v_lshlrev_b32_e32 v25, 3, v49
	v_cmp_gt_i32_e64 s10, v72, v49
	v_cmp_le_i32_e64 s9, v71, v50
	ds_load_b64 v[17:18], v23
	ds_load_b64 v[19:20], v25
	s_wait_dscnt 0x0
	v_cmp_lt_i64_e64 s8, v[19:20], v[17:18]
	s_or_b32 s8, s9, s8
	s_wait_alu 0xfffe
	s_and_b32 s8, s10, s8
	s_wait_alu 0xfffe
	s_xor_b32 s9, s8, -1
	s_wait_alu 0xfffe
	s_and_saveexec_b32 s10, s9
	s_wait_alu 0xfffe
	s_xor_b32 s9, exec_lo, s10
; %bb.71:                               ;   in Loop: Header=BB159_2 Depth=1
	ds_load_b64 v[21:22], v23 offset:8
                                        ; implicit-def: $vgpr25
; %bb.72:                               ;   in Loop: Header=BB159_2 Depth=1
	s_wait_alu 0xfffe
	s_or_saveexec_b32 s9, s9
	v_dual_mov_b32 v24, v20 :: v_dual_mov_b32 v23, v19
	s_wait_alu 0xfffe
	s_xor_b32 exec_lo, exec_lo, s9
	s_cbranch_execz .LBB159_74
; %bb.73:                               ;   in Loop: Header=BB159_2 Depth=1
	ds_load_b64 v[23:24], v25 offset:8
	s_wait_dscnt 0x1
	v_dual_mov_b32 v22, v18 :: v_dual_mov_b32 v21, v17
.LBB159_74:                             ;   in Loop: Header=BB159_2 Depth=1
	s_or_b32 exec_lo, exec_lo, s9
	v_add_nc_u32_e32 v25, 1, v50
	v_add_nc_u32_e32 v26, 1, v49
	s_wait_dscnt 0x0
	v_cmp_lt_i64_e64 s9, v[23:24], v[21:22]
	s_delay_alu instid0(VALU_DEP_3) | instskip(NEXT) | instid1(VALU_DEP_3)
	v_cndmask_b32_e64 v51, v25, v50, s8
	v_cndmask_b32_e64 v52, v49, v26, s8
                                        ; implicit-def: $vgpr25_vgpr26
	s_delay_alu instid0(VALU_DEP_2) | instskip(NEXT) | instid1(VALU_DEP_2)
	v_cmp_ge_i32_e64 s10, v51, v71
	v_cmp_lt_i32_e64 s11, v52, v72
	s_or_b32 s9, s10, s9
	s_wait_alu 0xfffe
	s_and_b32 s9, s11, s9
	s_wait_alu 0xfffe
	s_xor_b32 s10, s9, -1
	s_wait_alu 0xfffe
	s_and_saveexec_b32 s11, s10
	s_wait_alu 0xfffe
	s_xor_b32 s10, exec_lo, s11
; %bb.75:                               ;   in Loop: Header=BB159_2 Depth=1
	v_lshlrev_b32_e32 v25, 3, v51
	ds_load_b64 v[25:26], v25 offset:8
; %bb.76:                               ;   in Loop: Header=BB159_2 Depth=1
	s_wait_alu 0xfffe
	s_or_saveexec_b32 s10, s10
	v_dual_mov_b32 v28, v24 :: v_dual_mov_b32 v27, v23
	s_wait_alu 0xfffe
	s_xor_b32 exec_lo, exec_lo, s10
	s_cbranch_execz .LBB159_78
; %bb.77:                               ;   in Loop: Header=BB159_2 Depth=1
	s_wait_dscnt 0x0
	v_lshlrev_b32_e32 v25, 3, v52
	ds_load_b64 v[27:28], v25 offset:8
	v_dual_mov_b32 v26, v22 :: v_dual_mov_b32 v25, v21
.LBB159_78:                             ;   in Loop: Header=BB159_2 Depth=1
	s_or_b32 exec_lo, exec_lo, s10
	v_add_nc_u32_e32 v29, 1, v51
	v_add_nc_u32_e32 v30, 1, v52
	s_wait_dscnt 0x0
	v_cmp_lt_i64_e64 s10, v[27:28], v[25:26]
	s_delay_alu instid0(VALU_DEP_3) | instskip(NEXT) | instid1(VALU_DEP_3)
	v_cndmask_b32_e64 v122, v29, v51, s9
	v_cndmask_b32_e64 v123, v52, v30, s9
                                        ; implicit-def: $vgpr29_vgpr30
	s_delay_alu instid0(VALU_DEP_2) | instskip(NEXT) | instid1(VALU_DEP_2)
	v_cmp_ge_i32_e64 s11, v122, v71
	v_cmp_lt_i32_e64 s12, v123, v72
	s_or_b32 s10, s11, s10
	s_wait_alu 0xfffe
	s_and_b32 s10, s12, s10
	s_wait_alu 0xfffe
	s_xor_b32 s11, s10, -1
	s_wait_alu 0xfffe
	s_and_saveexec_b32 s12, s11
	s_wait_alu 0xfffe
	s_xor_b32 s11, exec_lo, s12
; %bb.79:                               ;   in Loop: Header=BB159_2 Depth=1
	v_lshlrev_b32_e32 v29, 3, v122
	ds_load_b64 v[29:30], v29 offset:8
; %bb.80:                               ;   in Loop: Header=BB159_2 Depth=1
	s_wait_alu 0xfffe
	s_or_saveexec_b32 s11, s11
	v_dual_mov_b32 v32, v28 :: v_dual_mov_b32 v31, v27
	s_wait_alu 0xfffe
	s_xor_b32 exec_lo, exec_lo, s11
	s_cbranch_execz .LBB159_82
; %bb.81:                               ;   in Loop: Header=BB159_2 Depth=1
	s_wait_dscnt 0x0
	v_lshlrev_b32_e32 v29, 3, v123
	ds_load_b64 v[31:32], v29 offset:8
	v_dual_mov_b32 v30, v26 :: v_dual_mov_b32 v29, v25
.LBB159_82:                             ;   in Loop: Header=BB159_2 Depth=1
	s_or_b32 exec_lo, exec_lo, s11
	v_add_nc_u32_e32 v33, 1, v122
	v_add_nc_u32_e32 v34, 1, v123
	s_wait_dscnt 0x0
	v_cmp_lt_i64_e64 s11, v[31:32], v[29:30]
	s_delay_alu instid0(VALU_DEP_3) | instskip(NEXT) | instid1(VALU_DEP_3)
	v_cndmask_b32_e64 v124, v33, v122, s10
	v_cndmask_b32_e64 v125, v123, v34, s10
                                        ; implicit-def: $vgpr33_vgpr34
	s_delay_alu instid0(VALU_DEP_2) | instskip(NEXT) | instid1(VALU_DEP_2)
	v_cmp_ge_i32_e64 s12, v124, v71
	v_cmp_lt_i32_e64 s13, v125, v72
	s_or_b32 s11, s12, s11
	s_wait_alu 0xfffe
	s_and_b32 s11, s13, s11
	s_wait_alu 0xfffe
	s_xor_b32 s12, s11, -1
	s_wait_alu 0xfffe
	s_and_saveexec_b32 s13, s12
	s_wait_alu 0xfffe
	s_xor_b32 s12, exec_lo, s13
; %bb.83:                               ;   in Loop: Header=BB159_2 Depth=1
	v_lshlrev_b32_e32 v33, 3, v124
	ds_load_b64 v[33:34], v33 offset:8
; %bb.84:                               ;   in Loop: Header=BB159_2 Depth=1
	s_wait_alu 0xfffe
	s_or_saveexec_b32 s12, s12
	v_dual_mov_b32 v36, v32 :: v_dual_mov_b32 v35, v31
	s_wait_alu 0xfffe
	s_xor_b32 exec_lo, exec_lo, s12
	s_cbranch_execz .LBB159_86
; %bb.85:                               ;   in Loop: Header=BB159_2 Depth=1
	s_wait_dscnt 0x0
	v_lshlrev_b32_e32 v33, 3, v125
	ds_load_b64 v[35:36], v33 offset:8
	v_dual_mov_b32 v34, v30 :: v_dual_mov_b32 v33, v29
.LBB159_86:                             ;   in Loop: Header=BB159_2 Depth=1
	s_or_b32 exec_lo, exec_lo, s12
	v_add_nc_u32_e32 v37, 1, v124
	v_add_nc_u32_e32 v38, 1, v125
	s_wait_dscnt 0x0
	v_cmp_lt_i64_e64 s12, v[35:36], v[33:34]
                                        ; implicit-def: $vgpr39_vgpr40
	s_delay_alu instid0(VALU_DEP_3) | instskip(NEXT) | instid1(VALU_DEP_3)
	v_cndmask_b32_e64 v126, v37, v124, s11
	v_cndmask_b32_e64 v127, v125, v38, s11
	s_delay_alu instid0(VALU_DEP_2) | instskip(NEXT) | instid1(VALU_DEP_2)
	v_cmp_ge_i32_e64 s13, v126, v71
	v_cmp_lt_i32_e64 s14, v127, v72
	s_or_b32 s12, s13, s12
	s_wait_alu 0xfffe
	s_and_b32 s12, s14, s12
	s_wait_alu 0xfffe
	s_xor_b32 s13, s12, -1
	s_wait_alu 0xfffe
	s_and_saveexec_b32 s14, s13
	s_wait_alu 0xfffe
	s_xor_b32 s13, exec_lo, s14
; %bb.87:                               ;   in Loop: Header=BB159_2 Depth=1
	v_lshlrev_b32_e32 v37, 3, v126
	ds_load_b64 v[39:40], v37 offset:8
; %bb.88:                               ;   in Loop: Header=BB159_2 Depth=1
	s_wait_alu 0xfffe
	s_or_saveexec_b32 s13, s13
	v_dual_mov_b32 v44, v36 :: v_dual_mov_b32 v43, v35
	s_wait_alu 0xfffe
	s_xor_b32 exec_lo, exec_lo, s13
	s_cbranch_execz .LBB159_90
; %bb.89:                               ;   in Loop: Header=BB159_2 Depth=1
	s_wait_dscnt 0x0
	v_dual_mov_b32 v40, v34 :: v_dual_lshlrev_b32 v37, 3, v127
	v_mov_b32_e32 v39, v33
	ds_load_b64 v[43:44], v37 offset:8
.LBB159_90:                             ;   in Loop: Header=BB159_2 Depth=1
	s_or_b32 exec_lo, exec_lo, s13
	v_add_nc_u32_e32 v37, 1, v126
	v_add_nc_u32_e32 v38, 1, v127
	s_wait_dscnt 0x0
	v_cmp_lt_i64_e64 s13, v[43:44], v[39:40]
                                        ; implicit-def: $vgpr45_vgpr46
	s_delay_alu instid0(VALU_DEP_3) | instskip(NEXT) | instid1(VALU_DEP_3)
	v_cndmask_b32_e64 v128, v37, v126, s12
	v_cndmask_b32_e64 v129, v127, v38, s12
	s_delay_alu instid0(VALU_DEP_2) | instskip(NEXT) | instid1(VALU_DEP_2)
	v_cmp_ge_i32_e64 s14, v128, v71
	v_cmp_lt_i32_e64 s15, v129, v72
	s_or_b32 s13, s14, s13
	s_wait_alu 0xfffe
	s_and_b32 s13, s15, s13
	s_wait_alu 0xfffe
	s_xor_b32 s14, s13, -1
	s_wait_alu 0xfffe
	s_and_saveexec_b32 s15, s14
	s_wait_alu 0xfffe
	s_xor_b32 s14, exec_lo, s15
; %bb.91:                               ;   in Loop: Header=BB159_2 Depth=1
	v_lshlrev_b32_e32 v37, 3, v128
	ds_load_b64 v[45:46], v37 offset:8
; %bb.92:                               ;   in Loop: Header=BB159_2 Depth=1
	s_wait_alu 0xfffe
	s_or_saveexec_b32 s14, s14
	v_dual_mov_b32 v48, v44 :: v_dual_mov_b32 v47, v43
	s_wait_alu 0xfffe
	s_xor_b32 exec_lo, exec_lo, s14
	s_cbranch_execz .LBB159_94
; %bb.93:                               ;   in Loop: Header=BB159_2 Depth=1
	s_wait_dscnt 0x0
	v_dual_mov_b32 v46, v40 :: v_dual_lshlrev_b32 v37, 3, v129
	v_mov_b32_e32 v45, v39
	ds_load_b64 v[47:48], v37 offset:8
.LBB159_94:                             ;   in Loop: Header=BB159_2 Depth=1
	s_or_b32 exec_lo, exec_lo, s14
	v_add_nc_u32_e32 v37, 1, v128
	v_add_nc_u32_e32 v38, 1, v129
	s_wait_dscnt 0x0
	v_cmp_lt_i64_e64 s14, v[47:48], v[45:46]
	s_delay_alu instid0(VALU_DEP_3) | instskip(NEXT) | instid1(VALU_DEP_3)
	v_cndmask_b32_e64 v130, v37, v128, s13
	v_cndmask_b32_e64 v131, v129, v38, s13
                                        ; implicit-def: $vgpr37_vgpr38
	s_delay_alu instid0(VALU_DEP_2) | instskip(NEXT) | instid1(VALU_DEP_2)
	v_cmp_ge_i32_e64 s15, v130, v71
	v_cmp_lt_i32_e64 s16, v131, v72
	s_or_b32 s14, s15, s14
	s_wait_alu 0xfffe
	s_and_b32 s14, s16, s14
	s_wait_alu 0xfffe
	s_xor_b32 s15, s14, -1
	s_wait_alu 0xfffe
	s_and_saveexec_b32 s16, s15
	s_wait_alu 0xfffe
	s_xor_b32 s15, exec_lo, s16
; %bb.95:                               ;   in Loop: Header=BB159_2 Depth=1
	v_lshlrev_b32_e32 v37, 3, v130
	ds_load_b64 v[37:38], v37 offset:8
; %bb.96:                               ;   in Loop: Header=BB159_2 Depth=1
	s_wait_alu 0xfffe
	s_or_saveexec_b32 s15, s15
	v_dual_mov_b32 v41, v47 :: v_dual_mov_b32 v42, v48
	s_wait_alu 0xfffe
	s_xor_b32 exec_lo, exec_lo, s15
	s_cbranch_execz .LBB159_98
; %bb.97:                               ;   in Loop: Header=BB159_2 Depth=1
	s_wait_dscnt 0x0
	v_lshlrev_b32_e32 v37, 3, v131
	ds_load_b64 v[41:42], v37 offset:8
	v_dual_mov_b32 v37, v45 :: v_dual_mov_b32 v38, v46
.LBB159_98:                             ;   in Loop: Header=BB159_2 Depth=1
	s_or_b32 exec_lo, exec_lo, s15
	v_add_nc_u32_e32 v133, 1, v130
	v_add_nc_u32_e32 v132, 1, v131
	v_cndmask_b32_e64 v46, v46, v48, s14
	v_cndmask_b32_e64 v45, v45, v47, s14
	v_cndmask_b32_e64 v30, v30, v32, s11
	v_cndmask_b32_e64 v48, v133, v130, s14
	v_cndmask_b32_e64 v47, v131, v132, s14
	v_cndmask_b32_e64 v29, v29, v31, s11
	v_cndmask_b32_e64 v31, v124, v125, s11
	s_wait_dscnt 0x0
	v_cmp_lt_i64_e64 s11, v[41:42], v[37:38]
	v_cndmask_b32_e64 v34, v34, v36, s12
	v_cndmask_b32_e64 v33, v33, v35, s12
	;; [unrolled: 1-line block ×3, first 2 shown]
	v_cmp_ge_i32_e64 s12, v48, v71
	v_cndmask_b32_e64 v40, v40, v44, s13
	v_cndmask_b32_e64 v39, v39, v43, s13
	;; [unrolled: 1-line block ×3, first 2 shown]
	v_cmp_lt_i32_e64 s13, v47, v72
	v_cndmask_b32_e64 v44, v50, v49, s8
	v_cndmask_b32_e64 v36, v51, v52, s9
	s_or_b32 s11, s12, s11
	v_cndmask_b32_e64 v32, v122, v123, s10
	s_wait_alu 0xfffe
	s_and_b32 s11, s13, s11
	v_cndmask_b32_e64 v130, v130, v131, s14
	v_cndmask_b32_e64 v26, v26, v28, s10
	s_wait_alu 0xfffe
	v_cndmask_b32_e64 v28, v38, v42, s11
	v_cndmask_b32_e64 v38, v48, v47, s11
	s_wait_loadcnt 0x0
	s_barrier_signal -1
	s_barrier_wait -1
	global_inv scope:SCOPE_SE
	ds_store_2addr_b64 v53, v[13:14], v[15:16] offset1:1
	ds_store_2addr_b64 v53, v[9:10], v[11:12] offset0:2 offset1:3
	ds_store_2addr_b64 v53, v[5:6], v[7:8] offset0:4 offset1:5
	;; [unrolled: 1-line block ×3, first 2 shown]
	v_lshlrev_b32_e32 v1, 3, v44
	v_lshlrev_b32_e32 v2, 3, v36
	;; [unrolled: 1-line block ×6, first 2 shown]
	s_wait_loadcnt_dscnt 0x0
	s_barrier_signal -1
	s_barrier_wait -1
	global_inv scope:SCOPE_SE
	v_lshlrev_b32_e32 v31, 3, v130
	v_lshlrev_b32_e32 v32, 3, v38
	ds_load_b64 v[13:14], v1
	ds_load_b64 v[15:16], v2
	;; [unrolled: 1-line block ×8, first 2 shown]
	v_cndmask_b32_e64 v22, v22, v24, s9
	v_cndmask_b32_e64 v21, v21, v23, s9
	;; [unrolled: 1-line block ×6, first 2 shown]
	s_wait_loadcnt_dscnt 0x0
	s_barrier_signal -1
	s_barrier_wait -1
	global_inv scope:SCOPE_SE
	ds_store_2addr_b64 v53, v[17:18], v[21:22] offset1:1
	ds_store_2addr_b64 v53, v[25:26], v[29:30] offset0:2 offset1:3
	ds_store_2addr_b64 v53, v[33:34], v[39:40] offset0:4 offset1:5
	;; [unrolled: 1-line block ×3, first 2 shown]
	v_mov_b32_e32 v21, v116
	s_wait_loadcnt_dscnt 0x0
	s_barrier_signal -1
	s_barrier_wait -1
	global_inv scope:SCOPE_SE
	s_and_saveexec_b32 s9, s3
	s_cbranch_execz .LBB159_102
; %bb.99:                               ;   in Loop: Header=BB159_2 Depth=1
	v_mov_b32_e32 v21, v116
	v_mov_b32_e32 v17, v108
	s_mov_b32 s10, 0
.LBB159_100:                            ;   Parent Loop BB159_2 Depth=1
                                        ; =>  This Inner Loop Header: Depth=2
	s_delay_alu instid0(VALU_DEP_1) | instskip(NEXT) | instid1(VALU_DEP_1)
	v_sub_nc_u32_e32 v18, v17, v21
	v_lshrrev_b32_e32 v18, 1, v18
	s_delay_alu instid0(VALU_DEP_1) | instskip(NEXT) | instid1(VALU_DEP_1)
	v_add_nc_u32_e32 v20, v18, v21
	v_not_b32_e32 v18, v20
	v_lshl_add_u32 v19, v20, 3, v76
	s_delay_alu instid0(VALU_DEP_2)
	v_lshl_add_u32 v22, v18, 3, v100
	ds_load_b64 v[18:19], v19
	ds_load_b64 v[22:23], v22
	s_wait_dscnt 0x0
	v_cmp_lt_i64_e64 s8, v[22:23], v[18:19]
	v_add_nc_u32_e32 v18, 1, v20
	s_wait_alu 0xf1ff
	s_delay_alu instid0(VALU_DEP_2) | instskip(NEXT) | instid1(VALU_DEP_2)
	v_cndmask_b32_e64 v17, v17, v20, s8
	v_cndmask_b32_e64 v21, v18, v21, s8
	s_delay_alu instid0(VALU_DEP_1)
	v_cmp_ge_i32_e64 s8, v21, v17
	s_wait_alu 0xfffe
	s_or_b32 s10, s8, s10
	s_wait_alu 0xfffe
	s_and_not1_b32 exec_lo, exec_lo, s10
	s_cbranch_execnz .LBB159_100
; %bb.101:                              ;   in Loop: Header=BB159_2 Depth=1
	s_or_b32 exec_lo, exec_lo, s10
.LBB159_102:                            ;   in Loop: Header=BB159_2 Depth=1
	s_wait_alu 0xfffe
	s_or_b32 exec_lo, exec_lo, s9
	v_sub_nc_u32_e32 v49, v92, v21
	v_lshl_add_u32 v23, v21, 3, v76
	v_add_nc_u32_e32 v50, v21, v57
                                        ; implicit-def: $vgpr21_vgpr22
	s_delay_alu instid0(VALU_DEP_3) | instskip(SKIP_1) | instid1(VALU_DEP_3)
	v_lshlrev_b32_e32 v25, 3, v49
	v_cmp_gt_i32_e64 s10, v75, v49
	v_cmp_le_i32_e64 s9, v74, v50
	ds_load_b64 v[17:18], v23
	ds_load_b64 v[19:20], v25
	s_wait_dscnt 0x0
	v_cmp_lt_i64_e64 s8, v[19:20], v[17:18]
	s_or_b32 s8, s9, s8
	s_wait_alu 0xfffe
	s_and_b32 s8, s10, s8
	s_wait_alu 0xfffe
	s_xor_b32 s9, s8, -1
	s_wait_alu 0xfffe
	s_and_saveexec_b32 s10, s9
	s_wait_alu 0xfffe
	s_xor_b32 s9, exec_lo, s10
; %bb.103:                              ;   in Loop: Header=BB159_2 Depth=1
	ds_load_b64 v[21:22], v23 offset:8
                                        ; implicit-def: $vgpr25
; %bb.104:                              ;   in Loop: Header=BB159_2 Depth=1
	s_wait_alu 0xfffe
	s_or_saveexec_b32 s9, s9
	v_dual_mov_b32 v24, v20 :: v_dual_mov_b32 v23, v19
	s_wait_alu 0xfffe
	s_xor_b32 exec_lo, exec_lo, s9
	s_cbranch_execz .LBB159_106
; %bb.105:                              ;   in Loop: Header=BB159_2 Depth=1
	ds_load_b64 v[23:24], v25 offset:8
	s_wait_dscnt 0x1
	v_dual_mov_b32 v22, v18 :: v_dual_mov_b32 v21, v17
.LBB159_106:                            ;   in Loop: Header=BB159_2 Depth=1
	s_or_b32 exec_lo, exec_lo, s9
	v_add_nc_u32_e32 v25, 1, v50
	v_add_nc_u32_e32 v26, 1, v49
	s_wait_dscnt 0x0
	v_cmp_lt_i64_e64 s9, v[23:24], v[21:22]
	s_delay_alu instid0(VALU_DEP_3) | instskip(NEXT) | instid1(VALU_DEP_3)
	v_cndmask_b32_e64 v51, v25, v50, s8
	v_cndmask_b32_e64 v52, v49, v26, s8
                                        ; implicit-def: $vgpr25_vgpr26
	s_delay_alu instid0(VALU_DEP_2) | instskip(NEXT) | instid1(VALU_DEP_2)
	v_cmp_ge_i32_e64 s10, v51, v74
	v_cmp_lt_i32_e64 s11, v52, v75
	s_or_b32 s9, s10, s9
	s_wait_alu 0xfffe
	s_and_b32 s9, s11, s9
	s_wait_alu 0xfffe
	s_xor_b32 s10, s9, -1
	s_wait_alu 0xfffe
	s_and_saveexec_b32 s11, s10
	s_wait_alu 0xfffe
	s_xor_b32 s10, exec_lo, s11
; %bb.107:                              ;   in Loop: Header=BB159_2 Depth=1
	v_lshlrev_b32_e32 v25, 3, v51
	ds_load_b64 v[25:26], v25 offset:8
; %bb.108:                              ;   in Loop: Header=BB159_2 Depth=1
	s_wait_alu 0xfffe
	s_or_saveexec_b32 s10, s10
	v_dual_mov_b32 v28, v24 :: v_dual_mov_b32 v27, v23
	s_wait_alu 0xfffe
	s_xor_b32 exec_lo, exec_lo, s10
	s_cbranch_execz .LBB159_110
; %bb.109:                              ;   in Loop: Header=BB159_2 Depth=1
	s_wait_dscnt 0x0
	v_lshlrev_b32_e32 v25, 3, v52
	ds_load_b64 v[27:28], v25 offset:8
	v_dual_mov_b32 v26, v22 :: v_dual_mov_b32 v25, v21
.LBB159_110:                            ;   in Loop: Header=BB159_2 Depth=1
	s_or_b32 exec_lo, exec_lo, s10
	v_add_nc_u32_e32 v29, 1, v51
	v_add_nc_u32_e32 v30, 1, v52
	s_wait_dscnt 0x0
	v_cmp_lt_i64_e64 s10, v[27:28], v[25:26]
	s_delay_alu instid0(VALU_DEP_3) | instskip(NEXT) | instid1(VALU_DEP_3)
	v_cndmask_b32_e64 v122, v29, v51, s9
	v_cndmask_b32_e64 v123, v52, v30, s9
                                        ; implicit-def: $vgpr29_vgpr30
	s_delay_alu instid0(VALU_DEP_2) | instskip(NEXT) | instid1(VALU_DEP_2)
	v_cmp_ge_i32_e64 s11, v122, v74
	v_cmp_lt_i32_e64 s12, v123, v75
	s_or_b32 s10, s11, s10
	s_wait_alu 0xfffe
	s_and_b32 s10, s12, s10
	s_wait_alu 0xfffe
	s_xor_b32 s11, s10, -1
	s_wait_alu 0xfffe
	s_and_saveexec_b32 s12, s11
	s_wait_alu 0xfffe
	s_xor_b32 s11, exec_lo, s12
; %bb.111:                              ;   in Loop: Header=BB159_2 Depth=1
	v_lshlrev_b32_e32 v29, 3, v122
	ds_load_b64 v[29:30], v29 offset:8
; %bb.112:                              ;   in Loop: Header=BB159_2 Depth=1
	s_wait_alu 0xfffe
	s_or_saveexec_b32 s11, s11
	v_dual_mov_b32 v32, v28 :: v_dual_mov_b32 v31, v27
	s_wait_alu 0xfffe
	s_xor_b32 exec_lo, exec_lo, s11
	s_cbranch_execz .LBB159_114
; %bb.113:                              ;   in Loop: Header=BB159_2 Depth=1
	s_wait_dscnt 0x0
	v_lshlrev_b32_e32 v29, 3, v123
	ds_load_b64 v[31:32], v29 offset:8
	v_dual_mov_b32 v30, v26 :: v_dual_mov_b32 v29, v25
.LBB159_114:                            ;   in Loop: Header=BB159_2 Depth=1
	s_or_b32 exec_lo, exec_lo, s11
	v_add_nc_u32_e32 v33, 1, v122
	v_add_nc_u32_e32 v34, 1, v123
	s_wait_dscnt 0x0
	v_cmp_lt_i64_e64 s11, v[31:32], v[29:30]
	s_delay_alu instid0(VALU_DEP_3) | instskip(NEXT) | instid1(VALU_DEP_3)
	v_cndmask_b32_e64 v124, v33, v122, s10
	v_cndmask_b32_e64 v125, v123, v34, s10
                                        ; implicit-def: $vgpr33_vgpr34
	s_delay_alu instid0(VALU_DEP_2) | instskip(NEXT) | instid1(VALU_DEP_2)
	v_cmp_ge_i32_e64 s12, v124, v74
	v_cmp_lt_i32_e64 s13, v125, v75
	s_or_b32 s11, s12, s11
	s_wait_alu 0xfffe
	s_and_b32 s11, s13, s11
	s_wait_alu 0xfffe
	s_xor_b32 s12, s11, -1
	s_wait_alu 0xfffe
	s_and_saveexec_b32 s13, s12
	s_wait_alu 0xfffe
	s_xor_b32 s12, exec_lo, s13
; %bb.115:                              ;   in Loop: Header=BB159_2 Depth=1
	v_lshlrev_b32_e32 v33, 3, v124
	ds_load_b64 v[33:34], v33 offset:8
; %bb.116:                              ;   in Loop: Header=BB159_2 Depth=1
	s_wait_alu 0xfffe
	s_or_saveexec_b32 s12, s12
	v_dual_mov_b32 v36, v32 :: v_dual_mov_b32 v35, v31
	s_wait_alu 0xfffe
	s_xor_b32 exec_lo, exec_lo, s12
	s_cbranch_execz .LBB159_118
; %bb.117:                              ;   in Loop: Header=BB159_2 Depth=1
	s_wait_dscnt 0x0
	v_lshlrev_b32_e32 v33, 3, v125
	ds_load_b64 v[35:36], v33 offset:8
	v_dual_mov_b32 v34, v30 :: v_dual_mov_b32 v33, v29
.LBB159_118:                            ;   in Loop: Header=BB159_2 Depth=1
	s_or_b32 exec_lo, exec_lo, s12
	v_add_nc_u32_e32 v37, 1, v124
	v_add_nc_u32_e32 v38, 1, v125
	s_wait_dscnt 0x0
	v_cmp_lt_i64_e64 s12, v[35:36], v[33:34]
                                        ; implicit-def: $vgpr39_vgpr40
	s_delay_alu instid0(VALU_DEP_3) | instskip(NEXT) | instid1(VALU_DEP_3)
	v_cndmask_b32_e64 v126, v37, v124, s11
	v_cndmask_b32_e64 v127, v125, v38, s11
	s_delay_alu instid0(VALU_DEP_2) | instskip(NEXT) | instid1(VALU_DEP_2)
	v_cmp_ge_i32_e64 s13, v126, v74
	v_cmp_lt_i32_e64 s14, v127, v75
	s_or_b32 s12, s13, s12
	s_wait_alu 0xfffe
	s_and_b32 s12, s14, s12
	s_wait_alu 0xfffe
	s_xor_b32 s13, s12, -1
	s_wait_alu 0xfffe
	s_and_saveexec_b32 s14, s13
	s_wait_alu 0xfffe
	s_xor_b32 s13, exec_lo, s14
; %bb.119:                              ;   in Loop: Header=BB159_2 Depth=1
	v_lshlrev_b32_e32 v37, 3, v126
	ds_load_b64 v[39:40], v37 offset:8
; %bb.120:                              ;   in Loop: Header=BB159_2 Depth=1
	s_wait_alu 0xfffe
	s_or_saveexec_b32 s13, s13
	v_dual_mov_b32 v44, v36 :: v_dual_mov_b32 v43, v35
	s_wait_alu 0xfffe
	s_xor_b32 exec_lo, exec_lo, s13
	s_cbranch_execz .LBB159_122
; %bb.121:                              ;   in Loop: Header=BB159_2 Depth=1
	s_wait_dscnt 0x0
	v_dual_mov_b32 v40, v34 :: v_dual_lshlrev_b32 v37, 3, v127
	v_mov_b32_e32 v39, v33
	ds_load_b64 v[43:44], v37 offset:8
.LBB159_122:                            ;   in Loop: Header=BB159_2 Depth=1
	s_or_b32 exec_lo, exec_lo, s13
	v_add_nc_u32_e32 v37, 1, v126
	v_add_nc_u32_e32 v38, 1, v127
	s_wait_dscnt 0x0
	v_cmp_lt_i64_e64 s13, v[43:44], v[39:40]
                                        ; implicit-def: $vgpr45_vgpr46
	s_delay_alu instid0(VALU_DEP_3) | instskip(NEXT) | instid1(VALU_DEP_3)
	v_cndmask_b32_e64 v128, v37, v126, s12
	v_cndmask_b32_e64 v129, v127, v38, s12
	s_delay_alu instid0(VALU_DEP_2) | instskip(NEXT) | instid1(VALU_DEP_2)
	v_cmp_ge_i32_e64 s14, v128, v74
	v_cmp_lt_i32_e64 s15, v129, v75
	s_or_b32 s13, s14, s13
	s_wait_alu 0xfffe
	s_and_b32 s13, s15, s13
	s_wait_alu 0xfffe
	s_xor_b32 s14, s13, -1
	s_wait_alu 0xfffe
	s_and_saveexec_b32 s15, s14
	s_wait_alu 0xfffe
	s_xor_b32 s14, exec_lo, s15
; %bb.123:                              ;   in Loop: Header=BB159_2 Depth=1
	v_lshlrev_b32_e32 v37, 3, v128
	ds_load_b64 v[45:46], v37 offset:8
; %bb.124:                              ;   in Loop: Header=BB159_2 Depth=1
	s_wait_alu 0xfffe
	s_or_saveexec_b32 s14, s14
	v_dual_mov_b32 v48, v44 :: v_dual_mov_b32 v47, v43
	s_wait_alu 0xfffe
	s_xor_b32 exec_lo, exec_lo, s14
	s_cbranch_execz .LBB159_126
; %bb.125:                              ;   in Loop: Header=BB159_2 Depth=1
	s_wait_dscnt 0x0
	v_dual_mov_b32 v46, v40 :: v_dual_lshlrev_b32 v37, 3, v129
	v_mov_b32_e32 v45, v39
	ds_load_b64 v[47:48], v37 offset:8
.LBB159_126:                            ;   in Loop: Header=BB159_2 Depth=1
	s_or_b32 exec_lo, exec_lo, s14
	v_add_nc_u32_e32 v37, 1, v128
	v_add_nc_u32_e32 v38, 1, v129
	s_wait_dscnt 0x0
	v_cmp_lt_i64_e64 s14, v[47:48], v[45:46]
	s_delay_alu instid0(VALU_DEP_3) | instskip(NEXT) | instid1(VALU_DEP_3)
	v_cndmask_b32_e64 v130, v37, v128, s13
	v_cndmask_b32_e64 v131, v129, v38, s13
                                        ; implicit-def: $vgpr37_vgpr38
	s_delay_alu instid0(VALU_DEP_2) | instskip(NEXT) | instid1(VALU_DEP_2)
	v_cmp_ge_i32_e64 s15, v130, v74
	v_cmp_lt_i32_e64 s16, v131, v75
	s_or_b32 s14, s15, s14
	s_wait_alu 0xfffe
	s_and_b32 s14, s16, s14
	s_wait_alu 0xfffe
	s_xor_b32 s15, s14, -1
	s_wait_alu 0xfffe
	s_and_saveexec_b32 s16, s15
	s_wait_alu 0xfffe
	s_xor_b32 s15, exec_lo, s16
; %bb.127:                              ;   in Loop: Header=BB159_2 Depth=1
	v_lshlrev_b32_e32 v37, 3, v130
	ds_load_b64 v[37:38], v37 offset:8
; %bb.128:                              ;   in Loop: Header=BB159_2 Depth=1
	s_wait_alu 0xfffe
	s_or_saveexec_b32 s15, s15
	v_dual_mov_b32 v41, v47 :: v_dual_mov_b32 v42, v48
	s_wait_alu 0xfffe
	s_xor_b32 exec_lo, exec_lo, s15
	s_cbranch_execz .LBB159_130
; %bb.129:                              ;   in Loop: Header=BB159_2 Depth=1
	s_wait_dscnt 0x0
	v_lshlrev_b32_e32 v37, 3, v131
	ds_load_b64 v[41:42], v37 offset:8
	v_dual_mov_b32 v37, v45 :: v_dual_mov_b32 v38, v46
.LBB159_130:                            ;   in Loop: Header=BB159_2 Depth=1
	s_or_b32 exec_lo, exec_lo, s15
	v_add_nc_u32_e32 v133, 1, v130
	v_add_nc_u32_e32 v132, 1, v131
	v_cndmask_b32_e64 v46, v46, v48, s14
	v_cndmask_b32_e64 v45, v45, v47, s14
	;; [unrolled: 1-line block ×7, first 2 shown]
	s_wait_dscnt 0x0
	v_cmp_lt_i64_e64 s11, v[41:42], v[37:38]
	v_cndmask_b32_e64 v34, v34, v36, s12
	v_cndmask_b32_e64 v33, v33, v35, s12
	;; [unrolled: 1-line block ×3, first 2 shown]
	v_cmp_ge_i32_e64 s12, v48, v74
	v_cndmask_b32_e64 v40, v40, v44, s13
	v_cndmask_b32_e64 v39, v39, v43, s13
	;; [unrolled: 1-line block ×3, first 2 shown]
	v_cmp_lt_i32_e64 s13, v47, v75
	v_cndmask_b32_e64 v44, v50, v49, s8
	v_cndmask_b32_e64 v36, v51, v52, s9
	s_or_b32 s11, s12, s11
	v_cndmask_b32_e64 v32, v122, v123, s10
	s_wait_alu 0xfffe
	s_and_b32 s11, s13, s11
	v_cndmask_b32_e64 v130, v130, v131, s14
	v_cndmask_b32_e64 v26, v26, v28, s10
	s_wait_alu 0xfffe
	v_cndmask_b32_e64 v28, v38, v42, s11
	v_cndmask_b32_e64 v38, v48, v47, s11
	s_wait_loadcnt 0x0
	s_barrier_signal -1
	s_barrier_wait -1
	global_inv scope:SCOPE_SE
	ds_store_2addr_b64 v53, v[13:14], v[15:16] offset1:1
	ds_store_2addr_b64 v53, v[9:10], v[11:12] offset0:2 offset1:3
	ds_store_2addr_b64 v53, v[5:6], v[7:8] offset0:4 offset1:5
	ds_store_2addr_b64 v53, v[1:2], v[3:4] offset0:6 offset1:7
	v_lshlrev_b32_e32 v1, 3, v44
	v_lshlrev_b32_e32 v2, 3, v36
	;; [unrolled: 1-line block ×6, first 2 shown]
	s_wait_loadcnt_dscnt 0x0
	s_barrier_signal -1
	s_barrier_wait -1
	global_inv scope:SCOPE_SE
	v_lshlrev_b32_e32 v31, 3, v130
	v_lshlrev_b32_e32 v32, 3, v38
	ds_load_b64 v[13:14], v1
	ds_load_b64 v[15:16], v2
	;; [unrolled: 1-line block ×8, first 2 shown]
	v_cndmask_b32_e64 v22, v22, v24, s9
	v_cndmask_b32_e64 v21, v21, v23, s9
	;; [unrolled: 1-line block ×6, first 2 shown]
	s_wait_loadcnt_dscnt 0x0
	s_barrier_signal -1
	s_barrier_wait -1
	global_inv scope:SCOPE_SE
	ds_store_2addr_b64 v53, v[17:18], v[21:22] offset1:1
	ds_store_2addr_b64 v53, v[25:26], v[29:30] offset0:2 offset1:3
	ds_store_2addr_b64 v53, v[33:34], v[39:40] offset0:4 offset1:5
	ds_store_2addr_b64 v53, v[45:46], v[27:28] offset0:6 offset1:7
	v_mov_b32_e32 v21, v117
	s_wait_loadcnt_dscnt 0x0
	s_barrier_signal -1
	s_barrier_wait -1
	global_inv scope:SCOPE_SE
	s_and_saveexec_b32 s9, s4
	s_cbranch_execz .LBB159_134
; %bb.131:                              ;   in Loop: Header=BB159_2 Depth=1
	v_mov_b32_e32 v21, v117
	v_mov_b32_e32 v17, v109
	s_mov_b32 s10, 0
.LBB159_132:                            ;   Parent Loop BB159_2 Depth=1
                                        ; =>  This Inner Loop Header: Depth=2
	s_delay_alu instid0(VALU_DEP_1) | instskip(NEXT) | instid1(VALU_DEP_1)
	v_sub_nc_u32_e32 v18, v17, v21
	v_lshrrev_b32_e32 v18, 1, v18
	s_delay_alu instid0(VALU_DEP_1) | instskip(NEXT) | instid1(VALU_DEP_1)
	v_add_nc_u32_e32 v20, v18, v21
	v_not_b32_e32 v18, v20
	v_lshl_add_u32 v19, v20, 3, v79
	s_delay_alu instid0(VALU_DEP_2)
	v_lshl_add_u32 v22, v18, 3, v101
	ds_load_b64 v[18:19], v19
	ds_load_b64 v[22:23], v22
	s_wait_dscnt 0x0
	v_cmp_lt_i64_e64 s8, v[22:23], v[18:19]
	v_add_nc_u32_e32 v18, 1, v20
	s_wait_alu 0xf1ff
	s_delay_alu instid0(VALU_DEP_2) | instskip(NEXT) | instid1(VALU_DEP_2)
	v_cndmask_b32_e64 v17, v17, v20, s8
	v_cndmask_b32_e64 v21, v18, v21, s8
	s_delay_alu instid0(VALU_DEP_1)
	v_cmp_ge_i32_e64 s8, v21, v17
	s_wait_alu 0xfffe
	s_or_b32 s10, s8, s10
	s_wait_alu 0xfffe
	s_and_not1_b32 exec_lo, exec_lo, s10
	s_cbranch_execnz .LBB159_132
; %bb.133:                              ;   in Loop: Header=BB159_2 Depth=1
	s_or_b32 exec_lo, exec_lo, s10
.LBB159_134:                            ;   in Loop: Header=BB159_2 Depth=1
	s_wait_alu 0xfffe
	s_or_b32 exec_lo, exec_lo, s9
	v_sub_nc_u32_e32 v49, v93, v21
	v_lshl_add_u32 v23, v21, 3, v79
	v_add_nc_u32_e32 v50, v21, v58
                                        ; implicit-def: $vgpr21_vgpr22
	s_delay_alu instid0(VALU_DEP_3) | instskip(SKIP_1) | instid1(VALU_DEP_3)
	v_lshlrev_b32_e32 v25, 3, v49
	v_cmp_gt_i32_e64 s10, v78, v49
	v_cmp_le_i32_e64 s9, v77, v50
	ds_load_b64 v[17:18], v23
	ds_load_b64 v[19:20], v25
	s_wait_dscnt 0x0
	v_cmp_lt_i64_e64 s8, v[19:20], v[17:18]
	s_or_b32 s8, s9, s8
	s_wait_alu 0xfffe
	s_and_b32 s8, s10, s8
	s_wait_alu 0xfffe
	s_xor_b32 s9, s8, -1
	s_wait_alu 0xfffe
	s_and_saveexec_b32 s10, s9
	s_wait_alu 0xfffe
	s_xor_b32 s9, exec_lo, s10
; %bb.135:                              ;   in Loop: Header=BB159_2 Depth=1
	ds_load_b64 v[21:22], v23 offset:8
                                        ; implicit-def: $vgpr25
; %bb.136:                              ;   in Loop: Header=BB159_2 Depth=1
	s_wait_alu 0xfffe
	s_or_saveexec_b32 s9, s9
	v_dual_mov_b32 v24, v20 :: v_dual_mov_b32 v23, v19
	s_wait_alu 0xfffe
	s_xor_b32 exec_lo, exec_lo, s9
	s_cbranch_execz .LBB159_138
; %bb.137:                              ;   in Loop: Header=BB159_2 Depth=1
	ds_load_b64 v[23:24], v25 offset:8
	s_wait_dscnt 0x1
	v_dual_mov_b32 v22, v18 :: v_dual_mov_b32 v21, v17
.LBB159_138:                            ;   in Loop: Header=BB159_2 Depth=1
	s_or_b32 exec_lo, exec_lo, s9
	v_add_nc_u32_e32 v25, 1, v50
	v_add_nc_u32_e32 v26, 1, v49
	s_wait_dscnt 0x0
	v_cmp_lt_i64_e64 s9, v[23:24], v[21:22]
	s_delay_alu instid0(VALU_DEP_3) | instskip(NEXT) | instid1(VALU_DEP_3)
	v_cndmask_b32_e64 v51, v25, v50, s8
	v_cndmask_b32_e64 v52, v49, v26, s8
                                        ; implicit-def: $vgpr25_vgpr26
	s_delay_alu instid0(VALU_DEP_2) | instskip(NEXT) | instid1(VALU_DEP_2)
	v_cmp_ge_i32_e64 s10, v51, v77
	v_cmp_lt_i32_e64 s11, v52, v78
	s_or_b32 s9, s10, s9
	s_wait_alu 0xfffe
	s_and_b32 s9, s11, s9
	s_wait_alu 0xfffe
	s_xor_b32 s10, s9, -1
	s_wait_alu 0xfffe
	s_and_saveexec_b32 s11, s10
	s_wait_alu 0xfffe
	s_xor_b32 s10, exec_lo, s11
; %bb.139:                              ;   in Loop: Header=BB159_2 Depth=1
	v_lshlrev_b32_e32 v25, 3, v51
	ds_load_b64 v[25:26], v25 offset:8
; %bb.140:                              ;   in Loop: Header=BB159_2 Depth=1
	s_wait_alu 0xfffe
	s_or_saveexec_b32 s10, s10
	v_dual_mov_b32 v28, v24 :: v_dual_mov_b32 v27, v23
	s_wait_alu 0xfffe
	s_xor_b32 exec_lo, exec_lo, s10
	s_cbranch_execz .LBB159_142
; %bb.141:                              ;   in Loop: Header=BB159_2 Depth=1
	s_wait_dscnt 0x0
	v_lshlrev_b32_e32 v25, 3, v52
	ds_load_b64 v[27:28], v25 offset:8
	v_dual_mov_b32 v26, v22 :: v_dual_mov_b32 v25, v21
.LBB159_142:                            ;   in Loop: Header=BB159_2 Depth=1
	s_or_b32 exec_lo, exec_lo, s10
	v_add_nc_u32_e32 v29, 1, v51
	v_add_nc_u32_e32 v30, 1, v52
	s_wait_dscnt 0x0
	v_cmp_lt_i64_e64 s10, v[27:28], v[25:26]
	s_delay_alu instid0(VALU_DEP_3) | instskip(NEXT) | instid1(VALU_DEP_3)
	v_cndmask_b32_e64 v122, v29, v51, s9
	v_cndmask_b32_e64 v123, v52, v30, s9
                                        ; implicit-def: $vgpr29_vgpr30
	s_delay_alu instid0(VALU_DEP_2) | instskip(NEXT) | instid1(VALU_DEP_2)
	v_cmp_ge_i32_e64 s11, v122, v77
	v_cmp_lt_i32_e64 s12, v123, v78
	s_or_b32 s10, s11, s10
	s_wait_alu 0xfffe
	s_and_b32 s10, s12, s10
	s_wait_alu 0xfffe
	s_xor_b32 s11, s10, -1
	s_wait_alu 0xfffe
	s_and_saveexec_b32 s12, s11
	s_wait_alu 0xfffe
	s_xor_b32 s11, exec_lo, s12
; %bb.143:                              ;   in Loop: Header=BB159_2 Depth=1
	v_lshlrev_b32_e32 v29, 3, v122
	ds_load_b64 v[29:30], v29 offset:8
; %bb.144:                              ;   in Loop: Header=BB159_2 Depth=1
	s_wait_alu 0xfffe
	s_or_saveexec_b32 s11, s11
	v_dual_mov_b32 v32, v28 :: v_dual_mov_b32 v31, v27
	s_wait_alu 0xfffe
	s_xor_b32 exec_lo, exec_lo, s11
	s_cbranch_execz .LBB159_146
; %bb.145:                              ;   in Loop: Header=BB159_2 Depth=1
	s_wait_dscnt 0x0
	v_lshlrev_b32_e32 v29, 3, v123
	ds_load_b64 v[31:32], v29 offset:8
	v_dual_mov_b32 v30, v26 :: v_dual_mov_b32 v29, v25
.LBB159_146:                            ;   in Loop: Header=BB159_2 Depth=1
	s_or_b32 exec_lo, exec_lo, s11
	v_add_nc_u32_e32 v33, 1, v122
	v_add_nc_u32_e32 v34, 1, v123
	s_wait_dscnt 0x0
	v_cmp_lt_i64_e64 s11, v[31:32], v[29:30]
	s_delay_alu instid0(VALU_DEP_3) | instskip(NEXT) | instid1(VALU_DEP_3)
	v_cndmask_b32_e64 v124, v33, v122, s10
	v_cndmask_b32_e64 v125, v123, v34, s10
                                        ; implicit-def: $vgpr33_vgpr34
	s_delay_alu instid0(VALU_DEP_2) | instskip(NEXT) | instid1(VALU_DEP_2)
	v_cmp_ge_i32_e64 s12, v124, v77
	v_cmp_lt_i32_e64 s13, v125, v78
	s_or_b32 s11, s12, s11
	s_wait_alu 0xfffe
	s_and_b32 s11, s13, s11
	s_wait_alu 0xfffe
	s_xor_b32 s12, s11, -1
	s_wait_alu 0xfffe
	s_and_saveexec_b32 s13, s12
	s_wait_alu 0xfffe
	s_xor_b32 s12, exec_lo, s13
; %bb.147:                              ;   in Loop: Header=BB159_2 Depth=1
	v_lshlrev_b32_e32 v33, 3, v124
	ds_load_b64 v[33:34], v33 offset:8
; %bb.148:                              ;   in Loop: Header=BB159_2 Depth=1
	s_wait_alu 0xfffe
	s_or_saveexec_b32 s12, s12
	v_dual_mov_b32 v36, v32 :: v_dual_mov_b32 v35, v31
	s_wait_alu 0xfffe
	s_xor_b32 exec_lo, exec_lo, s12
	s_cbranch_execz .LBB159_150
; %bb.149:                              ;   in Loop: Header=BB159_2 Depth=1
	s_wait_dscnt 0x0
	v_lshlrev_b32_e32 v33, 3, v125
	ds_load_b64 v[35:36], v33 offset:8
	v_dual_mov_b32 v34, v30 :: v_dual_mov_b32 v33, v29
.LBB159_150:                            ;   in Loop: Header=BB159_2 Depth=1
	s_or_b32 exec_lo, exec_lo, s12
	v_add_nc_u32_e32 v37, 1, v124
	v_add_nc_u32_e32 v38, 1, v125
	s_wait_dscnt 0x0
	v_cmp_lt_i64_e64 s12, v[35:36], v[33:34]
                                        ; implicit-def: $vgpr39_vgpr40
	s_delay_alu instid0(VALU_DEP_3) | instskip(NEXT) | instid1(VALU_DEP_3)
	v_cndmask_b32_e64 v126, v37, v124, s11
	v_cndmask_b32_e64 v127, v125, v38, s11
	s_delay_alu instid0(VALU_DEP_2) | instskip(NEXT) | instid1(VALU_DEP_2)
	v_cmp_ge_i32_e64 s13, v126, v77
	v_cmp_lt_i32_e64 s14, v127, v78
	s_or_b32 s12, s13, s12
	s_wait_alu 0xfffe
	s_and_b32 s12, s14, s12
	s_wait_alu 0xfffe
	s_xor_b32 s13, s12, -1
	s_wait_alu 0xfffe
	s_and_saveexec_b32 s14, s13
	s_wait_alu 0xfffe
	s_xor_b32 s13, exec_lo, s14
; %bb.151:                              ;   in Loop: Header=BB159_2 Depth=1
	v_lshlrev_b32_e32 v37, 3, v126
	ds_load_b64 v[39:40], v37 offset:8
; %bb.152:                              ;   in Loop: Header=BB159_2 Depth=1
	s_wait_alu 0xfffe
	s_or_saveexec_b32 s13, s13
	v_dual_mov_b32 v44, v36 :: v_dual_mov_b32 v43, v35
	s_wait_alu 0xfffe
	s_xor_b32 exec_lo, exec_lo, s13
	s_cbranch_execz .LBB159_154
; %bb.153:                              ;   in Loop: Header=BB159_2 Depth=1
	s_wait_dscnt 0x0
	v_dual_mov_b32 v40, v34 :: v_dual_lshlrev_b32 v37, 3, v127
	v_mov_b32_e32 v39, v33
	ds_load_b64 v[43:44], v37 offset:8
.LBB159_154:                            ;   in Loop: Header=BB159_2 Depth=1
	s_or_b32 exec_lo, exec_lo, s13
	v_add_nc_u32_e32 v37, 1, v126
	v_add_nc_u32_e32 v38, 1, v127
	s_wait_dscnt 0x0
	v_cmp_lt_i64_e64 s13, v[43:44], v[39:40]
                                        ; implicit-def: $vgpr45_vgpr46
	s_delay_alu instid0(VALU_DEP_3) | instskip(NEXT) | instid1(VALU_DEP_3)
	v_cndmask_b32_e64 v128, v37, v126, s12
	v_cndmask_b32_e64 v129, v127, v38, s12
	s_delay_alu instid0(VALU_DEP_2) | instskip(NEXT) | instid1(VALU_DEP_2)
	v_cmp_ge_i32_e64 s14, v128, v77
	v_cmp_lt_i32_e64 s15, v129, v78
	s_or_b32 s13, s14, s13
	s_wait_alu 0xfffe
	s_and_b32 s13, s15, s13
	s_wait_alu 0xfffe
	s_xor_b32 s14, s13, -1
	s_wait_alu 0xfffe
	s_and_saveexec_b32 s15, s14
	s_wait_alu 0xfffe
	s_xor_b32 s14, exec_lo, s15
; %bb.155:                              ;   in Loop: Header=BB159_2 Depth=1
	v_lshlrev_b32_e32 v37, 3, v128
	ds_load_b64 v[45:46], v37 offset:8
; %bb.156:                              ;   in Loop: Header=BB159_2 Depth=1
	s_wait_alu 0xfffe
	s_or_saveexec_b32 s14, s14
	v_dual_mov_b32 v48, v44 :: v_dual_mov_b32 v47, v43
	s_wait_alu 0xfffe
	s_xor_b32 exec_lo, exec_lo, s14
	s_cbranch_execz .LBB159_158
; %bb.157:                              ;   in Loop: Header=BB159_2 Depth=1
	s_wait_dscnt 0x0
	v_dual_mov_b32 v46, v40 :: v_dual_lshlrev_b32 v37, 3, v129
	v_mov_b32_e32 v45, v39
	ds_load_b64 v[47:48], v37 offset:8
.LBB159_158:                            ;   in Loop: Header=BB159_2 Depth=1
	s_or_b32 exec_lo, exec_lo, s14
	v_add_nc_u32_e32 v37, 1, v128
	v_add_nc_u32_e32 v38, 1, v129
	s_wait_dscnt 0x0
	v_cmp_lt_i64_e64 s14, v[47:48], v[45:46]
	s_delay_alu instid0(VALU_DEP_3) | instskip(NEXT) | instid1(VALU_DEP_3)
	v_cndmask_b32_e64 v130, v37, v128, s13
	v_cndmask_b32_e64 v131, v129, v38, s13
                                        ; implicit-def: $vgpr37_vgpr38
	s_delay_alu instid0(VALU_DEP_2) | instskip(NEXT) | instid1(VALU_DEP_2)
	v_cmp_ge_i32_e64 s15, v130, v77
	v_cmp_lt_i32_e64 s16, v131, v78
	s_or_b32 s14, s15, s14
	s_wait_alu 0xfffe
	s_and_b32 s14, s16, s14
	s_wait_alu 0xfffe
	s_xor_b32 s15, s14, -1
	s_wait_alu 0xfffe
	s_and_saveexec_b32 s16, s15
	s_wait_alu 0xfffe
	s_xor_b32 s15, exec_lo, s16
; %bb.159:                              ;   in Loop: Header=BB159_2 Depth=1
	v_lshlrev_b32_e32 v37, 3, v130
	ds_load_b64 v[37:38], v37 offset:8
; %bb.160:                              ;   in Loop: Header=BB159_2 Depth=1
	s_wait_alu 0xfffe
	s_or_saveexec_b32 s15, s15
	v_dual_mov_b32 v41, v47 :: v_dual_mov_b32 v42, v48
	s_wait_alu 0xfffe
	s_xor_b32 exec_lo, exec_lo, s15
	s_cbranch_execz .LBB159_162
; %bb.161:                              ;   in Loop: Header=BB159_2 Depth=1
	s_wait_dscnt 0x0
	v_lshlrev_b32_e32 v37, 3, v131
	ds_load_b64 v[41:42], v37 offset:8
	v_dual_mov_b32 v37, v45 :: v_dual_mov_b32 v38, v46
.LBB159_162:                            ;   in Loop: Header=BB159_2 Depth=1
	s_or_b32 exec_lo, exec_lo, s15
	v_add_nc_u32_e32 v133, 1, v130
	v_add_nc_u32_e32 v132, 1, v131
	v_cndmask_b32_e64 v46, v46, v48, s14
	v_cndmask_b32_e64 v45, v45, v47, s14
	;; [unrolled: 1-line block ×7, first 2 shown]
	s_wait_dscnt 0x0
	v_cmp_lt_i64_e64 s11, v[41:42], v[37:38]
	v_cndmask_b32_e64 v34, v34, v36, s12
	v_cndmask_b32_e64 v33, v33, v35, s12
	;; [unrolled: 1-line block ×3, first 2 shown]
	v_cmp_ge_i32_e64 s12, v48, v77
	v_cndmask_b32_e64 v40, v40, v44, s13
	v_cndmask_b32_e64 v39, v39, v43, s13
	;; [unrolled: 1-line block ×3, first 2 shown]
	v_cmp_lt_i32_e64 s13, v47, v78
	v_cndmask_b32_e64 v44, v50, v49, s8
	v_cndmask_b32_e64 v36, v51, v52, s9
	s_or_b32 s11, s12, s11
	v_cndmask_b32_e64 v32, v122, v123, s10
	s_wait_alu 0xfffe
	s_and_b32 s11, s13, s11
	v_cndmask_b32_e64 v130, v130, v131, s14
	v_cndmask_b32_e64 v26, v26, v28, s10
	s_wait_alu 0xfffe
	v_cndmask_b32_e64 v28, v38, v42, s11
	v_cndmask_b32_e64 v38, v48, v47, s11
	s_wait_loadcnt 0x0
	s_barrier_signal -1
	s_barrier_wait -1
	global_inv scope:SCOPE_SE
	ds_store_2addr_b64 v53, v[13:14], v[15:16] offset1:1
	ds_store_2addr_b64 v53, v[9:10], v[11:12] offset0:2 offset1:3
	ds_store_2addr_b64 v53, v[5:6], v[7:8] offset0:4 offset1:5
	;; [unrolled: 1-line block ×3, first 2 shown]
	v_lshlrev_b32_e32 v1, 3, v44
	v_lshlrev_b32_e32 v2, 3, v36
	;; [unrolled: 1-line block ×6, first 2 shown]
	s_wait_loadcnt_dscnt 0x0
	s_barrier_signal -1
	s_barrier_wait -1
	global_inv scope:SCOPE_SE
	v_lshlrev_b32_e32 v31, 3, v130
	v_lshlrev_b32_e32 v32, 3, v38
	ds_load_b64 v[13:14], v1
	ds_load_b64 v[15:16], v2
	ds_load_b64 v[9:10], v3
	ds_load_b64 v[11:12], v4
	ds_load_b64 v[5:6], v5
	ds_load_b64 v[7:8], v7
	ds_load_b64 v[1:2], v31
	ds_load_b64 v[3:4], v32
	v_cndmask_b32_e64 v22, v22, v24, s9
	v_cndmask_b32_e64 v21, v21, v23, s9
	;; [unrolled: 1-line block ×6, first 2 shown]
	s_wait_loadcnt_dscnt 0x0
	s_barrier_signal -1
	s_barrier_wait -1
	global_inv scope:SCOPE_SE
	ds_store_2addr_b64 v53, v[17:18], v[21:22] offset1:1
	ds_store_2addr_b64 v53, v[25:26], v[29:30] offset0:2 offset1:3
	ds_store_2addr_b64 v53, v[33:34], v[39:40] offset0:4 offset1:5
	;; [unrolled: 1-line block ×3, first 2 shown]
	v_mov_b32_e32 v21, v118
	s_wait_loadcnt_dscnt 0x0
	s_barrier_signal -1
	s_barrier_wait -1
	global_inv scope:SCOPE_SE
	s_and_saveexec_b32 s9, s5
	s_cbranch_execz .LBB159_166
; %bb.163:                              ;   in Loop: Header=BB159_2 Depth=1
	v_mov_b32_e32 v21, v118
	v_mov_b32_e32 v17, v110
	s_mov_b32 s10, 0
.LBB159_164:                            ;   Parent Loop BB159_2 Depth=1
                                        ; =>  This Inner Loop Header: Depth=2
	s_delay_alu instid0(VALU_DEP_1) | instskip(NEXT) | instid1(VALU_DEP_1)
	v_sub_nc_u32_e32 v18, v17, v21
	v_lshrrev_b32_e32 v18, 1, v18
	s_delay_alu instid0(VALU_DEP_1) | instskip(NEXT) | instid1(VALU_DEP_1)
	v_add_nc_u32_e32 v20, v18, v21
	v_not_b32_e32 v18, v20
	v_lshl_add_u32 v19, v20, 3, v82
	s_delay_alu instid0(VALU_DEP_2)
	v_lshl_add_u32 v22, v18, 3, v102
	ds_load_b64 v[18:19], v19
	ds_load_b64 v[22:23], v22
	s_wait_dscnt 0x0
	v_cmp_lt_i64_e64 s8, v[22:23], v[18:19]
	v_add_nc_u32_e32 v18, 1, v20
	s_wait_alu 0xf1ff
	s_delay_alu instid0(VALU_DEP_2) | instskip(NEXT) | instid1(VALU_DEP_2)
	v_cndmask_b32_e64 v17, v17, v20, s8
	v_cndmask_b32_e64 v21, v18, v21, s8
	s_delay_alu instid0(VALU_DEP_1)
	v_cmp_ge_i32_e64 s8, v21, v17
	s_wait_alu 0xfffe
	s_or_b32 s10, s8, s10
	s_wait_alu 0xfffe
	s_and_not1_b32 exec_lo, exec_lo, s10
	s_cbranch_execnz .LBB159_164
; %bb.165:                              ;   in Loop: Header=BB159_2 Depth=1
	s_or_b32 exec_lo, exec_lo, s10
.LBB159_166:                            ;   in Loop: Header=BB159_2 Depth=1
	s_wait_alu 0xfffe
	s_or_b32 exec_lo, exec_lo, s9
	v_sub_nc_u32_e32 v49, v94, v21
	v_lshl_add_u32 v23, v21, 3, v82
	v_add_nc_u32_e32 v50, v21, v59
                                        ; implicit-def: $vgpr21_vgpr22
	s_delay_alu instid0(VALU_DEP_3) | instskip(SKIP_1) | instid1(VALU_DEP_3)
	v_lshlrev_b32_e32 v25, 3, v49
	v_cmp_gt_i32_e64 s10, v81, v49
	v_cmp_le_i32_e64 s9, v80, v50
	ds_load_b64 v[17:18], v23
	ds_load_b64 v[19:20], v25
	s_wait_dscnt 0x0
	v_cmp_lt_i64_e64 s8, v[19:20], v[17:18]
	s_or_b32 s8, s9, s8
	s_wait_alu 0xfffe
	s_and_b32 s8, s10, s8
	s_wait_alu 0xfffe
	s_xor_b32 s9, s8, -1
	s_wait_alu 0xfffe
	s_and_saveexec_b32 s10, s9
	s_wait_alu 0xfffe
	s_xor_b32 s9, exec_lo, s10
; %bb.167:                              ;   in Loop: Header=BB159_2 Depth=1
	ds_load_b64 v[21:22], v23 offset:8
                                        ; implicit-def: $vgpr25
; %bb.168:                              ;   in Loop: Header=BB159_2 Depth=1
	s_wait_alu 0xfffe
	s_or_saveexec_b32 s9, s9
	v_dual_mov_b32 v24, v20 :: v_dual_mov_b32 v23, v19
	s_wait_alu 0xfffe
	s_xor_b32 exec_lo, exec_lo, s9
	s_cbranch_execz .LBB159_170
; %bb.169:                              ;   in Loop: Header=BB159_2 Depth=1
	ds_load_b64 v[23:24], v25 offset:8
	s_wait_dscnt 0x1
	v_dual_mov_b32 v22, v18 :: v_dual_mov_b32 v21, v17
.LBB159_170:                            ;   in Loop: Header=BB159_2 Depth=1
	s_or_b32 exec_lo, exec_lo, s9
	v_add_nc_u32_e32 v25, 1, v50
	v_add_nc_u32_e32 v26, 1, v49
	s_wait_dscnt 0x0
	v_cmp_lt_i64_e64 s9, v[23:24], v[21:22]
	s_delay_alu instid0(VALU_DEP_3) | instskip(NEXT) | instid1(VALU_DEP_3)
	v_cndmask_b32_e64 v51, v25, v50, s8
	v_cndmask_b32_e64 v52, v49, v26, s8
                                        ; implicit-def: $vgpr25_vgpr26
	s_delay_alu instid0(VALU_DEP_2) | instskip(NEXT) | instid1(VALU_DEP_2)
	v_cmp_ge_i32_e64 s10, v51, v80
	v_cmp_lt_i32_e64 s11, v52, v81
	s_or_b32 s9, s10, s9
	s_wait_alu 0xfffe
	s_and_b32 s9, s11, s9
	s_wait_alu 0xfffe
	s_xor_b32 s10, s9, -1
	s_wait_alu 0xfffe
	s_and_saveexec_b32 s11, s10
	s_wait_alu 0xfffe
	s_xor_b32 s10, exec_lo, s11
; %bb.171:                              ;   in Loop: Header=BB159_2 Depth=1
	v_lshlrev_b32_e32 v25, 3, v51
	ds_load_b64 v[25:26], v25 offset:8
; %bb.172:                              ;   in Loop: Header=BB159_2 Depth=1
	s_wait_alu 0xfffe
	s_or_saveexec_b32 s10, s10
	v_dual_mov_b32 v28, v24 :: v_dual_mov_b32 v27, v23
	s_wait_alu 0xfffe
	s_xor_b32 exec_lo, exec_lo, s10
	s_cbranch_execz .LBB159_174
; %bb.173:                              ;   in Loop: Header=BB159_2 Depth=1
	s_wait_dscnt 0x0
	v_lshlrev_b32_e32 v25, 3, v52
	ds_load_b64 v[27:28], v25 offset:8
	v_dual_mov_b32 v26, v22 :: v_dual_mov_b32 v25, v21
.LBB159_174:                            ;   in Loop: Header=BB159_2 Depth=1
	s_or_b32 exec_lo, exec_lo, s10
	v_add_nc_u32_e32 v29, 1, v51
	v_add_nc_u32_e32 v30, 1, v52
	s_wait_dscnt 0x0
	v_cmp_lt_i64_e64 s10, v[27:28], v[25:26]
	s_delay_alu instid0(VALU_DEP_3) | instskip(NEXT) | instid1(VALU_DEP_3)
	v_cndmask_b32_e64 v122, v29, v51, s9
	v_cndmask_b32_e64 v123, v52, v30, s9
                                        ; implicit-def: $vgpr29_vgpr30
	s_delay_alu instid0(VALU_DEP_2) | instskip(NEXT) | instid1(VALU_DEP_2)
	v_cmp_ge_i32_e64 s11, v122, v80
	v_cmp_lt_i32_e64 s12, v123, v81
	s_or_b32 s10, s11, s10
	s_wait_alu 0xfffe
	s_and_b32 s10, s12, s10
	s_wait_alu 0xfffe
	s_xor_b32 s11, s10, -1
	s_wait_alu 0xfffe
	s_and_saveexec_b32 s12, s11
	s_wait_alu 0xfffe
	s_xor_b32 s11, exec_lo, s12
; %bb.175:                              ;   in Loop: Header=BB159_2 Depth=1
	v_lshlrev_b32_e32 v29, 3, v122
	ds_load_b64 v[29:30], v29 offset:8
; %bb.176:                              ;   in Loop: Header=BB159_2 Depth=1
	s_wait_alu 0xfffe
	s_or_saveexec_b32 s11, s11
	v_dual_mov_b32 v32, v28 :: v_dual_mov_b32 v31, v27
	s_wait_alu 0xfffe
	s_xor_b32 exec_lo, exec_lo, s11
	s_cbranch_execz .LBB159_178
; %bb.177:                              ;   in Loop: Header=BB159_2 Depth=1
	s_wait_dscnt 0x0
	v_lshlrev_b32_e32 v29, 3, v123
	ds_load_b64 v[31:32], v29 offset:8
	v_dual_mov_b32 v30, v26 :: v_dual_mov_b32 v29, v25
.LBB159_178:                            ;   in Loop: Header=BB159_2 Depth=1
	s_or_b32 exec_lo, exec_lo, s11
	v_add_nc_u32_e32 v33, 1, v122
	v_add_nc_u32_e32 v34, 1, v123
	s_wait_dscnt 0x0
	v_cmp_lt_i64_e64 s11, v[31:32], v[29:30]
	s_delay_alu instid0(VALU_DEP_3) | instskip(NEXT) | instid1(VALU_DEP_3)
	v_cndmask_b32_e64 v124, v33, v122, s10
	v_cndmask_b32_e64 v125, v123, v34, s10
                                        ; implicit-def: $vgpr33_vgpr34
	s_delay_alu instid0(VALU_DEP_2) | instskip(NEXT) | instid1(VALU_DEP_2)
	v_cmp_ge_i32_e64 s12, v124, v80
	v_cmp_lt_i32_e64 s13, v125, v81
	s_or_b32 s11, s12, s11
	s_wait_alu 0xfffe
	s_and_b32 s11, s13, s11
	s_wait_alu 0xfffe
	s_xor_b32 s12, s11, -1
	s_wait_alu 0xfffe
	s_and_saveexec_b32 s13, s12
	s_wait_alu 0xfffe
	s_xor_b32 s12, exec_lo, s13
; %bb.179:                              ;   in Loop: Header=BB159_2 Depth=1
	v_lshlrev_b32_e32 v33, 3, v124
	ds_load_b64 v[33:34], v33 offset:8
; %bb.180:                              ;   in Loop: Header=BB159_2 Depth=1
	s_wait_alu 0xfffe
	s_or_saveexec_b32 s12, s12
	v_dual_mov_b32 v36, v32 :: v_dual_mov_b32 v35, v31
	s_wait_alu 0xfffe
	s_xor_b32 exec_lo, exec_lo, s12
	s_cbranch_execz .LBB159_182
; %bb.181:                              ;   in Loop: Header=BB159_2 Depth=1
	s_wait_dscnt 0x0
	v_lshlrev_b32_e32 v33, 3, v125
	ds_load_b64 v[35:36], v33 offset:8
	v_dual_mov_b32 v34, v30 :: v_dual_mov_b32 v33, v29
.LBB159_182:                            ;   in Loop: Header=BB159_2 Depth=1
	s_or_b32 exec_lo, exec_lo, s12
	v_add_nc_u32_e32 v37, 1, v124
	v_add_nc_u32_e32 v38, 1, v125
	s_wait_dscnt 0x0
	v_cmp_lt_i64_e64 s12, v[35:36], v[33:34]
                                        ; implicit-def: $vgpr39_vgpr40
	s_delay_alu instid0(VALU_DEP_3) | instskip(NEXT) | instid1(VALU_DEP_3)
	v_cndmask_b32_e64 v126, v37, v124, s11
	v_cndmask_b32_e64 v127, v125, v38, s11
	s_delay_alu instid0(VALU_DEP_2) | instskip(NEXT) | instid1(VALU_DEP_2)
	v_cmp_ge_i32_e64 s13, v126, v80
	v_cmp_lt_i32_e64 s14, v127, v81
	s_or_b32 s12, s13, s12
	s_wait_alu 0xfffe
	s_and_b32 s12, s14, s12
	s_wait_alu 0xfffe
	s_xor_b32 s13, s12, -1
	s_wait_alu 0xfffe
	s_and_saveexec_b32 s14, s13
	s_wait_alu 0xfffe
	s_xor_b32 s13, exec_lo, s14
; %bb.183:                              ;   in Loop: Header=BB159_2 Depth=1
	v_lshlrev_b32_e32 v37, 3, v126
	ds_load_b64 v[39:40], v37 offset:8
; %bb.184:                              ;   in Loop: Header=BB159_2 Depth=1
	s_wait_alu 0xfffe
	s_or_saveexec_b32 s13, s13
	v_dual_mov_b32 v44, v36 :: v_dual_mov_b32 v43, v35
	s_wait_alu 0xfffe
	s_xor_b32 exec_lo, exec_lo, s13
	s_cbranch_execz .LBB159_186
; %bb.185:                              ;   in Loop: Header=BB159_2 Depth=1
	s_wait_dscnt 0x0
	v_dual_mov_b32 v40, v34 :: v_dual_lshlrev_b32 v37, 3, v127
	v_mov_b32_e32 v39, v33
	ds_load_b64 v[43:44], v37 offset:8
.LBB159_186:                            ;   in Loop: Header=BB159_2 Depth=1
	s_or_b32 exec_lo, exec_lo, s13
	v_add_nc_u32_e32 v37, 1, v126
	v_add_nc_u32_e32 v38, 1, v127
	s_wait_dscnt 0x0
	v_cmp_lt_i64_e64 s13, v[43:44], v[39:40]
                                        ; implicit-def: $vgpr45_vgpr46
	s_delay_alu instid0(VALU_DEP_3) | instskip(NEXT) | instid1(VALU_DEP_3)
	v_cndmask_b32_e64 v128, v37, v126, s12
	v_cndmask_b32_e64 v129, v127, v38, s12
	s_delay_alu instid0(VALU_DEP_2) | instskip(NEXT) | instid1(VALU_DEP_2)
	v_cmp_ge_i32_e64 s14, v128, v80
	v_cmp_lt_i32_e64 s15, v129, v81
	s_or_b32 s13, s14, s13
	s_wait_alu 0xfffe
	s_and_b32 s13, s15, s13
	s_wait_alu 0xfffe
	s_xor_b32 s14, s13, -1
	s_wait_alu 0xfffe
	s_and_saveexec_b32 s15, s14
	s_wait_alu 0xfffe
	s_xor_b32 s14, exec_lo, s15
; %bb.187:                              ;   in Loop: Header=BB159_2 Depth=1
	v_lshlrev_b32_e32 v37, 3, v128
	ds_load_b64 v[45:46], v37 offset:8
; %bb.188:                              ;   in Loop: Header=BB159_2 Depth=1
	s_wait_alu 0xfffe
	s_or_saveexec_b32 s14, s14
	v_dual_mov_b32 v48, v44 :: v_dual_mov_b32 v47, v43
	s_wait_alu 0xfffe
	s_xor_b32 exec_lo, exec_lo, s14
	s_cbranch_execz .LBB159_190
; %bb.189:                              ;   in Loop: Header=BB159_2 Depth=1
	s_wait_dscnt 0x0
	v_dual_mov_b32 v46, v40 :: v_dual_lshlrev_b32 v37, 3, v129
	v_mov_b32_e32 v45, v39
	ds_load_b64 v[47:48], v37 offset:8
.LBB159_190:                            ;   in Loop: Header=BB159_2 Depth=1
	s_or_b32 exec_lo, exec_lo, s14
	v_add_nc_u32_e32 v37, 1, v128
	v_add_nc_u32_e32 v38, 1, v129
	s_wait_dscnt 0x0
	v_cmp_lt_i64_e64 s14, v[47:48], v[45:46]
	s_delay_alu instid0(VALU_DEP_3) | instskip(NEXT) | instid1(VALU_DEP_3)
	v_cndmask_b32_e64 v130, v37, v128, s13
	v_cndmask_b32_e64 v131, v129, v38, s13
                                        ; implicit-def: $vgpr37_vgpr38
	s_delay_alu instid0(VALU_DEP_2) | instskip(NEXT) | instid1(VALU_DEP_2)
	v_cmp_ge_i32_e64 s15, v130, v80
	v_cmp_lt_i32_e64 s16, v131, v81
	s_or_b32 s14, s15, s14
	s_wait_alu 0xfffe
	s_and_b32 s14, s16, s14
	s_wait_alu 0xfffe
	s_xor_b32 s15, s14, -1
	s_wait_alu 0xfffe
	s_and_saveexec_b32 s16, s15
	s_wait_alu 0xfffe
	s_xor_b32 s15, exec_lo, s16
; %bb.191:                              ;   in Loop: Header=BB159_2 Depth=1
	v_lshlrev_b32_e32 v37, 3, v130
	ds_load_b64 v[37:38], v37 offset:8
; %bb.192:                              ;   in Loop: Header=BB159_2 Depth=1
	s_wait_alu 0xfffe
	s_or_saveexec_b32 s15, s15
	v_dual_mov_b32 v41, v47 :: v_dual_mov_b32 v42, v48
	s_wait_alu 0xfffe
	s_xor_b32 exec_lo, exec_lo, s15
	s_cbranch_execz .LBB159_194
; %bb.193:                              ;   in Loop: Header=BB159_2 Depth=1
	s_wait_dscnt 0x0
	v_lshlrev_b32_e32 v37, 3, v131
	ds_load_b64 v[41:42], v37 offset:8
	v_dual_mov_b32 v37, v45 :: v_dual_mov_b32 v38, v46
.LBB159_194:                            ;   in Loop: Header=BB159_2 Depth=1
	s_or_b32 exec_lo, exec_lo, s15
	v_add_nc_u32_e32 v133, 1, v130
	v_add_nc_u32_e32 v132, 1, v131
	v_cndmask_b32_e64 v46, v46, v48, s14
	v_cndmask_b32_e64 v45, v45, v47, s14
	;; [unrolled: 1-line block ×7, first 2 shown]
	s_wait_dscnt 0x0
	v_cmp_lt_i64_e64 s11, v[41:42], v[37:38]
	v_cndmask_b32_e64 v34, v34, v36, s12
	v_cndmask_b32_e64 v33, v33, v35, s12
	;; [unrolled: 1-line block ×3, first 2 shown]
	v_cmp_ge_i32_e64 s12, v48, v80
	v_cndmask_b32_e64 v40, v40, v44, s13
	v_cndmask_b32_e64 v39, v39, v43, s13
	;; [unrolled: 1-line block ×3, first 2 shown]
	v_cmp_lt_i32_e64 s13, v47, v81
	v_cndmask_b32_e64 v44, v50, v49, s8
	v_cndmask_b32_e64 v36, v51, v52, s9
	s_or_b32 s11, s12, s11
	v_cndmask_b32_e64 v32, v122, v123, s10
	s_wait_alu 0xfffe
	s_and_b32 s11, s13, s11
	v_cndmask_b32_e64 v130, v130, v131, s14
	v_cndmask_b32_e64 v26, v26, v28, s10
	s_wait_alu 0xfffe
	v_cndmask_b32_e64 v28, v38, v42, s11
	v_cndmask_b32_e64 v38, v48, v47, s11
	s_wait_loadcnt 0x0
	s_barrier_signal -1
	s_barrier_wait -1
	global_inv scope:SCOPE_SE
	ds_store_2addr_b64 v53, v[13:14], v[15:16] offset1:1
	ds_store_2addr_b64 v53, v[9:10], v[11:12] offset0:2 offset1:3
	ds_store_2addr_b64 v53, v[5:6], v[7:8] offset0:4 offset1:5
	;; [unrolled: 1-line block ×3, first 2 shown]
	v_lshlrev_b32_e32 v1, 3, v44
	v_lshlrev_b32_e32 v2, 3, v36
	;; [unrolled: 1-line block ×6, first 2 shown]
	s_wait_loadcnt_dscnt 0x0
	s_barrier_signal -1
	s_barrier_wait -1
	global_inv scope:SCOPE_SE
	v_lshlrev_b32_e32 v31, 3, v130
	v_lshlrev_b32_e32 v32, 3, v38
	ds_load_b64 v[13:14], v1
	ds_load_b64 v[15:16], v2
	ds_load_b64 v[9:10], v3
	ds_load_b64 v[11:12], v4
	ds_load_b64 v[5:6], v5
	ds_load_b64 v[7:8], v7
	ds_load_b64 v[1:2], v31
	ds_load_b64 v[3:4], v32
	v_cndmask_b32_e64 v22, v22, v24, s9
	v_cndmask_b32_e64 v21, v21, v23, s9
	;; [unrolled: 1-line block ×6, first 2 shown]
	s_wait_loadcnt_dscnt 0x0
	s_barrier_signal -1
	s_barrier_wait -1
	global_inv scope:SCOPE_SE
	ds_store_2addr_b64 v53, v[17:18], v[21:22] offset1:1
	ds_store_2addr_b64 v53, v[25:26], v[29:30] offset0:2 offset1:3
	ds_store_2addr_b64 v53, v[33:34], v[39:40] offset0:4 offset1:5
	;; [unrolled: 1-line block ×3, first 2 shown]
	v_mov_b32_e32 v21, v119
	s_wait_loadcnt_dscnt 0x0
	s_barrier_signal -1
	s_barrier_wait -1
	global_inv scope:SCOPE_SE
	s_and_saveexec_b32 s9, s6
	s_cbranch_execz .LBB159_198
; %bb.195:                              ;   in Loop: Header=BB159_2 Depth=1
	v_mov_b32_e32 v21, v119
	v_mov_b32_e32 v17, v111
	s_mov_b32 s10, 0
.LBB159_196:                            ;   Parent Loop BB159_2 Depth=1
                                        ; =>  This Inner Loop Header: Depth=2
	s_delay_alu instid0(VALU_DEP_1) | instskip(NEXT) | instid1(VALU_DEP_1)
	v_sub_nc_u32_e32 v18, v17, v21
	v_lshrrev_b32_e32 v18, 1, v18
	s_delay_alu instid0(VALU_DEP_1) | instskip(NEXT) | instid1(VALU_DEP_1)
	v_add_nc_u32_e32 v20, v18, v21
	v_not_b32_e32 v18, v20
	v_lshl_add_u32 v19, v20, 3, v85
	s_delay_alu instid0(VALU_DEP_2)
	v_lshl_add_u32 v22, v18, 3, v103
	ds_load_b64 v[18:19], v19
	ds_load_b64 v[22:23], v22
	s_wait_dscnt 0x0
	v_cmp_lt_i64_e64 s8, v[22:23], v[18:19]
	v_add_nc_u32_e32 v18, 1, v20
	s_wait_alu 0xf1ff
	s_delay_alu instid0(VALU_DEP_2) | instskip(NEXT) | instid1(VALU_DEP_2)
	v_cndmask_b32_e64 v17, v17, v20, s8
	v_cndmask_b32_e64 v21, v18, v21, s8
	s_delay_alu instid0(VALU_DEP_1)
	v_cmp_ge_i32_e64 s8, v21, v17
	s_wait_alu 0xfffe
	s_or_b32 s10, s8, s10
	s_wait_alu 0xfffe
	s_and_not1_b32 exec_lo, exec_lo, s10
	s_cbranch_execnz .LBB159_196
; %bb.197:                              ;   in Loop: Header=BB159_2 Depth=1
	s_or_b32 exec_lo, exec_lo, s10
.LBB159_198:                            ;   in Loop: Header=BB159_2 Depth=1
	s_wait_alu 0xfffe
	s_or_b32 exec_lo, exec_lo, s9
	v_sub_nc_u32_e32 v49, v95, v21
	v_lshl_add_u32 v23, v21, 3, v85
	v_add_nc_u32_e32 v50, v21, v60
                                        ; implicit-def: $vgpr21_vgpr22
	s_delay_alu instid0(VALU_DEP_3) | instskip(SKIP_1) | instid1(VALU_DEP_3)
	v_lshlrev_b32_e32 v25, 3, v49
	v_cmp_gt_i32_e64 s10, v84, v49
	v_cmp_le_i32_e64 s9, v83, v50
	ds_load_b64 v[17:18], v23
	ds_load_b64 v[19:20], v25
	s_wait_dscnt 0x0
	v_cmp_lt_i64_e64 s8, v[19:20], v[17:18]
	s_or_b32 s8, s9, s8
	s_wait_alu 0xfffe
	s_and_b32 s8, s10, s8
	s_wait_alu 0xfffe
	s_xor_b32 s9, s8, -1
	s_wait_alu 0xfffe
	s_and_saveexec_b32 s10, s9
	s_wait_alu 0xfffe
	s_xor_b32 s9, exec_lo, s10
; %bb.199:                              ;   in Loop: Header=BB159_2 Depth=1
	ds_load_b64 v[21:22], v23 offset:8
                                        ; implicit-def: $vgpr25
; %bb.200:                              ;   in Loop: Header=BB159_2 Depth=1
	s_wait_alu 0xfffe
	s_or_saveexec_b32 s9, s9
	v_dual_mov_b32 v24, v20 :: v_dual_mov_b32 v23, v19
	s_wait_alu 0xfffe
	s_xor_b32 exec_lo, exec_lo, s9
	s_cbranch_execz .LBB159_202
; %bb.201:                              ;   in Loop: Header=BB159_2 Depth=1
	ds_load_b64 v[23:24], v25 offset:8
	s_wait_dscnt 0x1
	v_dual_mov_b32 v22, v18 :: v_dual_mov_b32 v21, v17
.LBB159_202:                            ;   in Loop: Header=BB159_2 Depth=1
	s_or_b32 exec_lo, exec_lo, s9
	v_add_nc_u32_e32 v25, 1, v50
	v_add_nc_u32_e32 v26, 1, v49
	s_wait_dscnt 0x0
	v_cmp_lt_i64_e64 s9, v[23:24], v[21:22]
	s_delay_alu instid0(VALU_DEP_3) | instskip(NEXT) | instid1(VALU_DEP_3)
	v_cndmask_b32_e64 v51, v25, v50, s8
	v_cndmask_b32_e64 v52, v49, v26, s8
                                        ; implicit-def: $vgpr25_vgpr26
	s_delay_alu instid0(VALU_DEP_2) | instskip(NEXT) | instid1(VALU_DEP_2)
	v_cmp_ge_i32_e64 s10, v51, v83
	v_cmp_lt_i32_e64 s11, v52, v84
	s_or_b32 s9, s10, s9
	s_wait_alu 0xfffe
	s_and_b32 s9, s11, s9
	s_wait_alu 0xfffe
	s_xor_b32 s10, s9, -1
	s_wait_alu 0xfffe
	s_and_saveexec_b32 s11, s10
	s_wait_alu 0xfffe
	s_xor_b32 s10, exec_lo, s11
; %bb.203:                              ;   in Loop: Header=BB159_2 Depth=1
	v_lshlrev_b32_e32 v25, 3, v51
	ds_load_b64 v[25:26], v25 offset:8
; %bb.204:                              ;   in Loop: Header=BB159_2 Depth=1
	s_wait_alu 0xfffe
	s_or_saveexec_b32 s10, s10
	v_dual_mov_b32 v28, v24 :: v_dual_mov_b32 v27, v23
	s_wait_alu 0xfffe
	s_xor_b32 exec_lo, exec_lo, s10
	s_cbranch_execz .LBB159_206
; %bb.205:                              ;   in Loop: Header=BB159_2 Depth=1
	s_wait_dscnt 0x0
	v_lshlrev_b32_e32 v25, 3, v52
	ds_load_b64 v[27:28], v25 offset:8
	v_dual_mov_b32 v26, v22 :: v_dual_mov_b32 v25, v21
.LBB159_206:                            ;   in Loop: Header=BB159_2 Depth=1
	s_or_b32 exec_lo, exec_lo, s10
	v_add_nc_u32_e32 v29, 1, v51
	v_add_nc_u32_e32 v30, 1, v52
	s_wait_dscnt 0x0
	v_cmp_lt_i64_e64 s10, v[27:28], v[25:26]
	s_delay_alu instid0(VALU_DEP_3) | instskip(NEXT) | instid1(VALU_DEP_3)
	v_cndmask_b32_e64 v122, v29, v51, s9
	v_cndmask_b32_e64 v123, v52, v30, s9
                                        ; implicit-def: $vgpr29_vgpr30
	s_delay_alu instid0(VALU_DEP_2) | instskip(NEXT) | instid1(VALU_DEP_2)
	v_cmp_ge_i32_e64 s11, v122, v83
	v_cmp_lt_i32_e64 s12, v123, v84
	s_or_b32 s10, s11, s10
	s_wait_alu 0xfffe
	s_and_b32 s10, s12, s10
	s_wait_alu 0xfffe
	s_xor_b32 s11, s10, -1
	s_wait_alu 0xfffe
	s_and_saveexec_b32 s12, s11
	s_wait_alu 0xfffe
	s_xor_b32 s11, exec_lo, s12
; %bb.207:                              ;   in Loop: Header=BB159_2 Depth=1
	v_lshlrev_b32_e32 v29, 3, v122
	ds_load_b64 v[29:30], v29 offset:8
; %bb.208:                              ;   in Loop: Header=BB159_2 Depth=1
	s_wait_alu 0xfffe
	s_or_saveexec_b32 s11, s11
	v_dual_mov_b32 v32, v28 :: v_dual_mov_b32 v31, v27
	s_wait_alu 0xfffe
	s_xor_b32 exec_lo, exec_lo, s11
	s_cbranch_execz .LBB159_210
; %bb.209:                              ;   in Loop: Header=BB159_2 Depth=1
	s_wait_dscnt 0x0
	v_lshlrev_b32_e32 v29, 3, v123
	ds_load_b64 v[31:32], v29 offset:8
	v_dual_mov_b32 v30, v26 :: v_dual_mov_b32 v29, v25
.LBB159_210:                            ;   in Loop: Header=BB159_2 Depth=1
	s_or_b32 exec_lo, exec_lo, s11
	v_add_nc_u32_e32 v33, 1, v122
	v_add_nc_u32_e32 v34, 1, v123
	s_wait_dscnt 0x0
	v_cmp_lt_i64_e64 s11, v[31:32], v[29:30]
	s_delay_alu instid0(VALU_DEP_3) | instskip(NEXT) | instid1(VALU_DEP_3)
	v_cndmask_b32_e64 v124, v33, v122, s10
	v_cndmask_b32_e64 v125, v123, v34, s10
                                        ; implicit-def: $vgpr33_vgpr34
	s_delay_alu instid0(VALU_DEP_2) | instskip(NEXT) | instid1(VALU_DEP_2)
	v_cmp_ge_i32_e64 s12, v124, v83
	v_cmp_lt_i32_e64 s13, v125, v84
	s_or_b32 s11, s12, s11
	s_wait_alu 0xfffe
	s_and_b32 s11, s13, s11
	s_wait_alu 0xfffe
	s_xor_b32 s12, s11, -1
	s_wait_alu 0xfffe
	s_and_saveexec_b32 s13, s12
	s_wait_alu 0xfffe
	s_xor_b32 s12, exec_lo, s13
; %bb.211:                              ;   in Loop: Header=BB159_2 Depth=1
	v_lshlrev_b32_e32 v33, 3, v124
	ds_load_b64 v[33:34], v33 offset:8
; %bb.212:                              ;   in Loop: Header=BB159_2 Depth=1
	s_wait_alu 0xfffe
	s_or_saveexec_b32 s12, s12
	v_dual_mov_b32 v36, v32 :: v_dual_mov_b32 v35, v31
	s_wait_alu 0xfffe
	s_xor_b32 exec_lo, exec_lo, s12
	s_cbranch_execz .LBB159_214
; %bb.213:                              ;   in Loop: Header=BB159_2 Depth=1
	s_wait_dscnt 0x0
	v_lshlrev_b32_e32 v33, 3, v125
	ds_load_b64 v[35:36], v33 offset:8
	v_dual_mov_b32 v34, v30 :: v_dual_mov_b32 v33, v29
.LBB159_214:                            ;   in Loop: Header=BB159_2 Depth=1
	s_or_b32 exec_lo, exec_lo, s12
	v_add_nc_u32_e32 v37, 1, v124
	v_add_nc_u32_e32 v38, 1, v125
	s_wait_dscnt 0x0
	v_cmp_lt_i64_e64 s12, v[35:36], v[33:34]
                                        ; implicit-def: $vgpr39_vgpr40
	s_delay_alu instid0(VALU_DEP_3) | instskip(NEXT) | instid1(VALU_DEP_3)
	v_cndmask_b32_e64 v126, v37, v124, s11
	v_cndmask_b32_e64 v127, v125, v38, s11
	s_delay_alu instid0(VALU_DEP_2) | instskip(NEXT) | instid1(VALU_DEP_2)
	v_cmp_ge_i32_e64 s13, v126, v83
	v_cmp_lt_i32_e64 s14, v127, v84
	s_or_b32 s12, s13, s12
	s_wait_alu 0xfffe
	s_and_b32 s12, s14, s12
	s_wait_alu 0xfffe
	s_xor_b32 s13, s12, -1
	s_wait_alu 0xfffe
	s_and_saveexec_b32 s14, s13
	s_wait_alu 0xfffe
	s_xor_b32 s13, exec_lo, s14
; %bb.215:                              ;   in Loop: Header=BB159_2 Depth=1
	v_lshlrev_b32_e32 v37, 3, v126
	ds_load_b64 v[39:40], v37 offset:8
; %bb.216:                              ;   in Loop: Header=BB159_2 Depth=1
	s_wait_alu 0xfffe
	s_or_saveexec_b32 s13, s13
	v_dual_mov_b32 v44, v36 :: v_dual_mov_b32 v43, v35
	s_wait_alu 0xfffe
	s_xor_b32 exec_lo, exec_lo, s13
	s_cbranch_execz .LBB159_218
; %bb.217:                              ;   in Loop: Header=BB159_2 Depth=1
	s_wait_dscnt 0x0
	v_dual_mov_b32 v40, v34 :: v_dual_lshlrev_b32 v37, 3, v127
	v_mov_b32_e32 v39, v33
	ds_load_b64 v[43:44], v37 offset:8
.LBB159_218:                            ;   in Loop: Header=BB159_2 Depth=1
	s_or_b32 exec_lo, exec_lo, s13
	v_add_nc_u32_e32 v37, 1, v126
	v_add_nc_u32_e32 v38, 1, v127
	s_wait_dscnt 0x0
	v_cmp_lt_i64_e64 s13, v[43:44], v[39:40]
                                        ; implicit-def: $vgpr45_vgpr46
	s_delay_alu instid0(VALU_DEP_3) | instskip(NEXT) | instid1(VALU_DEP_3)
	v_cndmask_b32_e64 v128, v37, v126, s12
	v_cndmask_b32_e64 v129, v127, v38, s12
	s_delay_alu instid0(VALU_DEP_2) | instskip(NEXT) | instid1(VALU_DEP_2)
	v_cmp_ge_i32_e64 s14, v128, v83
	v_cmp_lt_i32_e64 s15, v129, v84
	s_or_b32 s13, s14, s13
	s_wait_alu 0xfffe
	s_and_b32 s13, s15, s13
	s_wait_alu 0xfffe
	s_xor_b32 s14, s13, -1
	s_wait_alu 0xfffe
	s_and_saveexec_b32 s15, s14
	s_wait_alu 0xfffe
	s_xor_b32 s14, exec_lo, s15
; %bb.219:                              ;   in Loop: Header=BB159_2 Depth=1
	v_lshlrev_b32_e32 v37, 3, v128
	ds_load_b64 v[45:46], v37 offset:8
; %bb.220:                              ;   in Loop: Header=BB159_2 Depth=1
	s_wait_alu 0xfffe
	s_or_saveexec_b32 s14, s14
	v_dual_mov_b32 v48, v44 :: v_dual_mov_b32 v47, v43
	s_wait_alu 0xfffe
	s_xor_b32 exec_lo, exec_lo, s14
	s_cbranch_execz .LBB159_222
; %bb.221:                              ;   in Loop: Header=BB159_2 Depth=1
	s_wait_dscnt 0x0
	v_dual_mov_b32 v46, v40 :: v_dual_lshlrev_b32 v37, 3, v129
	v_mov_b32_e32 v45, v39
	ds_load_b64 v[47:48], v37 offset:8
.LBB159_222:                            ;   in Loop: Header=BB159_2 Depth=1
	s_or_b32 exec_lo, exec_lo, s14
	v_add_nc_u32_e32 v37, 1, v128
	v_add_nc_u32_e32 v38, 1, v129
	s_wait_dscnt 0x0
	v_cmp_lt_i64_e64 s14, v[47:48], v[45:46]
	s_delay_alu instid0(VALU_DEP_3) | instskip(NEXT) | instid1(VALU_DEP_3)
	v_cndmask_b32_e64 v130, v37, v128, s13
	v_cndmask_b32_e64 v131, v129, v38, s13
                                        ; implicit-def: $vgpr37_vgpr38
	s_delay_alu instid0(VALU_DEP_2) | instskip(NEXT) | instid1(VALU_DEP_2)
	v_cmp_ge_i32_e64 s15, v130, v83
	v_cmp_lt_i32_e64 s16, v131, v84
	s_or_b32 s14, s15, s14
	s_wait_alu 0xfffe
	s_and_b32 s14, s16, s14
	s_wait_alu 0xfffe
	s_xor_b32 s15, s14, -1
	s_wait_alu 0xfffe
	s_and_saveexec_b32 s16, s15
	s_wait_alu 0xfffe
	s_xor_b32 s15, exec_lo, s16
; %bb.223:                              ;   in Loop: Header=BB159_2 Depth=1
	v_lshlrev_b32_e32 v37, 3, v130
	ds_load_b64 v[37:38], v37 offset:8
; %bb.224:                              ;   in Loop: Header=BB159_2 Depth=1
	s_wait_alu 0xfffe
	s_or_saveexec_b32 s15, s15
	v_dual_mov_b32 v41, v47 :: v_dual_mov_b32 v42, v48
	s_wait_alu 0xfffe
	s_xor_b32 exec_lo, exec_lo, s15
	s_cbranch_execz .LBB159_226
; %bb.225:                              ;   in Loop: Header=BB159_2 Depth=1
	s_wait_dscnt 0x0
	v_lshlrev_b32_e32 v37, 3, v131
	ds_load_b64 v[41:42], v37 offset:8
	v_dual_mov_b32 v37, v45 :: v_dual_mov_b32 v38, v46
.LBB159_226:                            ;   in Loop: Header=BB159_2 Depth=1
	s_or_b32 exec_lo, exec_lo, s15
	v_add_nc_u32_e32 v133, 1, v130
	v_add_nc_u32_e32 v132, 1, v131
	v_cndmask_b32_e64 v46, v46, v48, s14
	v_cndmask_b32_e64 v45, v45, v47, s14
	v_cndmask_b32_e64 v30, v30, v32, s11
	v_cndmask_b32_e64 v48, v133, v130, s14
	v_cndmask_b32_e64 v47, v131, v132, s14
	v_cndmask_b32_e64 v29, v29, v31, s11
	v_cndmask_b32_e64 v31, v124, v125, s11
	s_wait_dscnt 0x0
	v_cmp_lt_i64_e64 s11, v[41:42], v[37:38]
	v_cndmask_b32_e64 v34, v34, v36, s12
	v_cndmask_b32_e64 v33, v33, v35, s12
	v_cndmask_b32_e64 v35, v126, v127, s12
	v_cmp_ge_i32_e64 s12, v48, v83
	v_cndmask_b32_e64 v40, v40, v44, s13
	v_cndmask_b32_e64 v39, v39, v43, s13
	;; [unrolled: 1-line block ×3, first 2 shown]
	v_cmp_lt_i32_e64 s13, v47, v84
	v_cndmask_b32_e64 v44, v50, v49, s8
	v_cndmask_b32_e64 v36, v51, v52, s9
	s_or_b32 s11, s12, s11
	v_cndmask_b32_e64 v32, v122, v123, s10
	s_wait_alu 0xfffe
	s_and_b32 s11, s13, s11
	v_cndmask_b32_e64 v130, v130, v131, s14
	v_cndmask_b32_e64 v26, v26, v28, s10
	s_wait_alu 0xfffe
	v_cndmask_b32_e64 v28, v38, v42, s11
	v_cndmask_b32_e64 v38, v48, v47, s11
	s_wait_loadcnt 0x0
	s_barrier_signal -1
	s_barrier_wait -1
	global_inv scope:SCOPE_SE
	ds_store_2addr_b64 v53, v[13:14], v[15:16] offset1:1
	ds_store_2addr_b64 v53, v[9:10], v[11:12] offset0:2 offset1:3
	ds_store_2addr_b64 v53, v[5:6], v[7:8] offset0:4 offset1:5
	;; [unrolled: 1-line block ×3, first 2 shown]
	v_lshlrev_b32_e32 v1, 3, v44
	v_lshlrev_b32_e32 v2, 3, v36
	v_lshlrev_b32_e32 v3, 3, v32
	v_lshlrev_b32_e32 v4, 3, v31
	v_lshlrev_b32_e32 v5, 3, v35
	v_lshlrev_b32_e32 v7, 3, v43
	s_wait_loadcnt_dscnt 0x0
	s_barrier_signal -1
	s_barrier_wait -1
	global_inv scope:SCOPE_SE
	v_lshlrev_b32_e32 v31, 3, v130
	v_lshlrev_b32_e32 v32, 3, v38
	ds_load_b64 v[13:14], v1
	ds_load_b64 v[15:16], v2
	ds_load_b64 v[9:10], v3
	ds_load_b64 v[11:12], v4
	ds_load_b64 v[5:6], v5
	ds_load_b64 v[7:8], v7
	ds_load_b64 v[1:2], v31
	ds_load_b64 v[3:4], v32
	v_cndmask_b32_e64 v22, v22, v24, s9
	v_cndmask_b32_e64 v21, v21, v23, s9
	;; [unrolled: 1-line block ×6, first 2 shown]
	s_wait_loadcnt_dscnt 0x0
	s_barrier_signal -1
	s_barrier_wait -1
	global_inv scope:SCOPE_SE
	ds_store_2addr_b64 v53, v[17:18], v[21:22] offset1:1
	ds_store_2addr_b64 v53, v[25:26], v[29:30] offset0:2 offset1:3
	ds_store_2addr_b64 v53, v[33:34], v[39:40] offset0:4 offset1:5
	;; [unrolled: 1-line block ×3, first 2 shown]
	v_mov_b32_e32 v21, v120
	s_wait_loadcnt_dscnt 0x0
	s_barrier_signal -1
	s_barrier_wait -1
	global_inv scope:SCOPE_SE
	s_and_saveexec_b32 s9, s7
	s_cbranch_execz .LBB159_230
; %bb.227:                              ;   in Loop: Header=BB159_2 Depth=1
	v_mov_b32_e32 v21, v120
	v_mov_b32_e32 v17, v112
	s_mov_b32 s10, 0
.LBB159_228:                            ;   Parent Loop BB159_2 Depth=1
                                        ; =>  This Inner Loop Header: Depth=2
	s_delay_alu instid0(VALU_DEP_1) | instskip(NEXT) | instid1(VALU_DEP_1)
	v_sub_nc_u32_e32 v18, v17, v21
	v_lshrrev_b32_e32 v18, 1, v18
	s_delay_alu instid0(VALU_DEP_1) | instskip(NEXT) | instid1(VALU_DEP_1)
	v_add_nc_u32_e32 v20, v18, v21
	v_not_b32_e32 v18, v20
	v_lshl_add_u32 v19, v20, 3, v88
	s_delay_alu instid0(VALU_DEP_2)
	v_lshl_add_u32 v22, v18, 3, v104
	ds_load_b64 v[18:19], v19
	ds_load_b64 v[22:23], v22
	s_wait_dscnt 0x0
	v_cmp_lt_i64_e64 s8, v[22:23], v[18:19]
	v_add_nc_u32_e32 v18, 1, v20
	s_wait_alu 0xf1ff
	s_delay_alu instid0(VALU_DEP_2) | instskip(NEXT) | instid1(VALU_DEP_2)
	v_cndmask_b32_e64 v17, v17, v20, s8
	v_cndmask_b32_e64 v21, v18, v21, s8
	s_delay_alu instid0(VALU_DEP_1)
	v_cmp_ge_i32_e64 s8, v21, v17
	s_wait_alu 0xfffe
	s_or_b32 s10, s8, s10
	s_wait_alu 0xfffe
	s_and_not1_b32 exec_lo, exec_lo, s10
	s_cbranch_execnz .LBB159_228
; %bb.229:                              ;   in Loop: Header=BB159_2 Depth=1
	s_or_b32 exec_lo, exec_lo, s10
.LBB159_230:                            ;   in Loop: Header=BB159_2 Depth=1
	s_wait_alu 0xfffe
	s_or_b32 exec_lo, exec_lo, s9
	v_sub_nc_u32_e32 v49, v96, v21
	v_lshl_add_u32 v23, v21, 3, v88
	v_add_nc_u32_e32 v50, v21, v61
                                        ; implicit-def: $vgpr21_vgpr22
	s_delay_alu instid0(VALU_DEP_3) | instskip(SKIP_1) | instid1(VALU_DEP_3)
	v_lshlrev_b32_e32 v25, 3, v49
	v_cmp_gt_i32_e64 s10, v87, v49
	v_cmp_le_i32_e64 s9, v86, v50
	ds_load_b64 v[17:18], v23
	ds_load_b64 v[19:20], v25
	s_wait_dscnt 0x0
	v_cmp_lt_i64_e64 s8, v[19:20], v[17:18]
	s_or_b32 s8, s9, s8
	s_wait_alu 0xfffe
	s_and_b32 s8, s10, s8
	s_wait_alu 0xfffe
	s_xor_b32 s9, s8, -1
	s_wait_alu 0xfffe
	s_and_saveexec_b32 s10, s9
	s_wait_alu 0xfffe
	s_xor_b32 s9, exec_lo, s10
; %bb.231:                              ;   in Loop: Header=BB159_2 Depth=1
	ds_load_b64 v[21:22], v23 offset:8
                                        ; implicit-def: $vgpr25
; %bb.232:                              ;   in Loop: Header=BB159_2 Depth=1
	s_wait_alu 0xfffe
	s_or_saveexec_b32 s9, s9
	v_dual_mov_b32 v24, v20 :: v_dual_mov_b32 v23, v19
	s_wait_alu 0xfffe
	s_xor_b32 exec_lo, exec_lo, s9
	s_cbranch_execz .LBB159_234
; %bb.233:                              ;   in Loop: Header=BB159_2 Depth=1
	ds_load_b64 v[23:24], v25 offset:8
	s_wait_dscnt 0x1
	v_dual_mov_b32 v22, v18 :: v_dual_mov_b32 v21, v17
.LBB159_234:                            ;   in Loop: Header=BB159_2 Depth=1
	s_or_b32 exec_lo, exec_lo, s9
	v_add_nc_u32_e32 v25, 1, v50
	v_add_nc_u32_e32 v26, 1, v49
	s_wait_dscnt 0x0
	v_cmp_lt_i64_e64 s9, v[23:24], v[21:22]
	s_delay_alu instid0(VALU_DEP_3) | instskip(NEXT) | instid1(VALU_DEP_3)
	v_cndmask_b32_e64 v51, v25, v50, s8
	v_cndmask_b32_e64 v52, v49, v26, s8
                                        ; implicit-def: $vgpr25_vgpr26
	s_delay_alu instid0(VALU_DEP_2) | instskip(NEXT) | instid1(VALU_DEP_2)
	v_cmp_ge_i32_e64 s10, v51, v86
	v_cmp_lt_i32_e64 s11, v52, v87
	s_or_b32 s9, s10, s9
	s_wait_alu 0xfffe
	s_and_b32 s9, s11, s9
	s_wait_alu 0xfffe
	s_xor_b32 s10, s9, -1
	s_wait_alu 0xfffe
	s_and_saveexec_b32 s11, s10
	s_wait_alu 0xfffe
	s_xor_b32 s10, exec_lo, s11
; %bb.235:                              ;   in Loop: Header=BB159_2 Depth=1
	v_lshlrev_b32_e32 v25, 3, v51
	ds_load_b64 v[25:26], v25 offset:8
; %bb.236:                              ;   in Loop: Header=BB159_2 Depth=1
	s_wait_alu 0xfffe
	s_or_saveexec_b32 s10, s10
	v_dual_mov_b32 v28, v24 :: v_dual_mov_b32 v27, v23
	s_wait_alu 0xfffe
	s_xor_b32 exec_lo, exec_lo, s10
	s_cbranch_execz .LBB159_238
; %bb.237:                              ;   in Loop: Header=BB159_2 Depth=1
	s_wait_dscnt 0x0
	v_lshlrev_b32_e32 v25, 3, v52
	ds_load_b64 v[27:28], v25 offset:8
	v_dual_mov_b32 v26, v22 :: v_dual_mov_b32 v25, v21
.LBB159_238:                            ;   in Loop: Header=BB159_2 Depth=1
	s_or_b32 exec_lo, exec_lo, s10
	v_add_nc_u32_e32 v29, 1, v51
	v_add_nc_u32_e32 v30, 1, v52
	s_wait_dscnt 0x0
	v_cmp_lt_i64_e64 s10, v[27:28], v[25:26]
	s_delay_alu instid0(VALU_DEP_3) | instskip(NEXT) | instid1(VALU_DEP_3)
	v_cndmask_b32_e64 v122, v29, v51, s9
	v_cndmask_b32_e64 v123, v52, v30, s9
                                        ; implicit-def: $vgpr29_vgpr30
	s_delay_alu instid0(VALU_DEP_2) | instskip(NEXT) | instid1(VALU_DEP_2)
	v_cmp_ge_i32_e64 s11, v122, v86
	v_cmp_lt_i32_e64 s12, v123, v87
	s_or_b32 s10, s11, s10
	s_wait_alu 0xfffe
	s_and_b32 s10, s12, s10
	s_wait_alu 0xfffe
	s_xor_b32 s11, s10, -1
	s_wait_alu 0xfffe
	s_and_saveexec_b32 s12, s11
	s_wait_alu 0xfffe
	s_xor_b32 s11, exec_lo, s12
; %bb.239:                              ;   in Loop: Header=BB159_2 Depth=1
	v_lshlrev_b32_e32 v29, 3, v122
	ds_load_b64 v[29:30], v29 offset:8
; %bb.240:                              ;   in Loop: Header=BB159_2 Depth=1
	s_wait_alu 0xfffe
	s_or_saveexec_b32 s11, s11
	v_dual_mov_b32 v32, v28 :: v_dual_mov_b32 v31, v27
	s_wait_alu 0xfffe
	s_xor_b32 exec_lo, exec_lo, s11
	s_cbranch_execz .LBB159_242
; %bb.241:                              ;   in Loop: Header=BB159_2 Depth=1
	s_wait_dscnt 0x0
	v_lshlrev_b32_e32 v29, 3, v123
	ds_load_b64 v[31:32], v29 offset:8
	v_dual_mov_b32 v30, v26 :: v_dual_mov_b32 v29, v25
.LBB159_242:                            ;   in Loop: Header=BB159_2 Depth=1
	s_or_b32 exec_lo, exec_lo, s11
	v_add_nc_u32_e32 v33, 1, v122
	v_add_nc_u32_e32 v34, 1, v123
	s_wait_dscnt 0x0
	v_cmp_lt_i64_e64 s11, v[31:32], v[29:30]
	s_delay_alu instid0(VALU_DEP_3) | instskip(NEXT) | instid1(VALU_DEP_3)
	v_cndmask_b32_e64 v124, v33, v122, s10
	v_cndmask_b32_e64 v125, v123, v34, s10
                                        ; implicit-def: $vgpr33_vgpr34
	s_delay_alu instid0(VALU_DEP_2) | instskip(NEXT) | instid1(VALU_DEP_2)
	v_cmp_ge_i32_e64 s12, v124, v86
	v_cmp_lt_i32_e64 s13, v125, v87
	s_or_b32 s11, s12, s11
	s_wait_alu 0xfffe
	s_and_b32 s11, s13, s11
	s_wait_alu 0xfffe
	s_xor_b32 s12, s11, -1
	s_wait_alu 0xfffe
	s_and_saveexec_b32 s13, s12
	s_wait_alu 0xfffe
	s_xor_b32 s12, exec_lo, s13
; %bb.243:                              ;   in Loop: Header=BB159_2 Depth=1
	v_lshlrev_b32_e32 v33, 3, v124
	ds_load_b64 v[33:34], v33 offset:8
; %bb.244:                              ;   in Loop: Header=BB159_2 Depth=1
	s_wait_alu 0xfffe
	s_or_saveexec_b32 s12, s12
	v_dual_mov_b32 v36, v32 :: v_dual_mov_b32 v35, v31
	s_wait_alu 0xfffe
	s_xor_b32 exec_lo, exec_lo, s12
	s_cbranch_execz .LBB159_246
; %bb.245:                              ;   in Loop: Header=BB159_2 Depth=1
	s_wait_dscnt 0x0
	v_lshlrev_b32_e32 v33, 3, v125
	ds_load_b64 v[35:36], v33 offset:8
	v_dual_mov_b32 v34, v30 :: v_dual_mov_b32 v33, v29
.LBB159_246:                            ;   in Loop: Header=BB159_2 Depth=1
	s_or_b32 exec_lo, exec_lo, s12
	v_add_nc_u32_e32 v37, 1, v124
	v_add_nc_u32_e32 v38, 1, v125
	s_wait_dscnt 0x0
	v_cmp_lt_i64_e64 s12, v[35:36], v[33:34]
                                        ; implicit-def: $vgpr39_vgpr40
	s_delay_alu instid0(VALU_DEP_3) | instskip(NEXT) | instid1(VALU_DEP_3)
	v_cndmask_b32_e64 v126, v37, v124, s11
	v_cndmask_b32_e64 v127, v125, v38, s11
	s_delay_alu instid0(VALU_DEP_2) | instskip(NEXT) | instid1(VALU_DEP_2)
	v_cmp_ge_i32_e64 s13, v126, v86
	v_cmp_lt_i32_e64 s14, v127, v87
	s_or_b32 s12, s13, s12
	s_wait_alu 0xfffe
	s_and_b32 s12, s14, s12
	s_wait_alu 0xfffe
	s_xor_b32 s13, s12, -1
	s_wait_alu 0xfffe
	s_and_saveexec_b32 s14, s13
	s_wait_alu 0xfffe
	s_xor_b32 s13, exec_lo, s14
; %bb.247:                              ;   in Loop: Header=BB159_2 Depth=1
	v_lshlrev_b32_e32 v37, 3, v126
	ds_load_b64 v[39:40], v37 offset:8
; %bb.248:                              ;   in Loop: Header=BB159_2 Depth=1
	s_wait_alu 0xfffe
	s_or_saveexec_b32 s13, s13
	v_dual_mov_b32 v44, v36 :: v_dual_mov_b32 v43, v35
	s_wait_alu 0xfffe
	s_xor_b32 exec_lo, exec_lo, s13
	s_cbranch_execz .LBB159_250
; %bb.249:                              ;   in Loop: Header=BB159_2 Depth=1
	s_wait_dscnt 0x0
	v_dual_mov_b32 v40, v34 :: v_dual_lshlrev_b32 v37, 3, v127
	v_mov_b32_e32 v39, v33
	ds_load_b64 v[43:44], v37 offset:8
.LBB159_250:                            ;   in Loop: Header=BB159_2 Depth=1
	s_or_b32 exec_lo, exec_lo, s13
	v_add_nc_u32_e32 v37, 1, v126
	v_add_nc_u32_e32 v38, 1, v127
	s_wait_dscnt 0x0
	v_cmp_lt_i64_e64 s13, v[43:44], v[39:40]
                                        ; implicit-def: $vgpr45_vgpr46
	s_delay_alu instid0(VALU_DEP_3) | instskip(NEXT) | instid1(VALU_DEP_3)
	v_cndmask_b32_e64 v128, v37, v126, s12
	v_cndmask_b32_e64 v129, v127, v38, s12
	s_delay_alu instid0(VALU_DEP_2) | instskip(NEXT) | instid1(VALU_DEP_2)
	v_cmp_ge_i32_e64 s14, v128, v86
	v_cmp_lt_i32_e64 s15, v129, v87
	s_or_b32 s13, s14, s13
	s_wait_alu 0xfffe
	s_and_b32 s13, s15, s13
	s_wait_alu 0xfffe
	s_xor_b32 s14, s13, -1
	s_wait_alu 0xfffe
	s_and_saveexec_b32 s15, s14
	s_wait_alu 0xfffe
	s_xor_b32 s14, exec_lo, s15
; %bb.251:                              ;   in Loop: Header=BB159_2 Depth=1
	v_lshlrev_b32_e32 v37, 3, v128
	ds_load_b64 v[45:46], v37 offset:8
; %bb.252:                              ;   in Loop: Header=BB159_2 Depth=1
	s_wait_alu 0xfffe
	s_or_saveexec_b32 s14, s14
	v_dual_mov_b32 v48, v44 :: v_dual_mov_b32 v47, v43
	s_wait_alu 0xfffe
	s_xor_b32 exec_lo, exec_lo, s14
	s_cbranch_execz .LBB159_254
; %bb.253:                              ;   in Loop: Header=BB159_2 Depth=1
	s_wait_dscnt 0x0
	v_dual_mov_b32 v46, v40 :: v_dual_lshlrev_b32 v37, 3, v129
	v_mov_b32_e32 v45, v39
	ds_load_b64 v[47:48], v37 offset:8
.LBB159_254:                            ;   in Loop: Header=BB159_2 Depth=1
	s_or_b32 exec_lo, exec_lo, s14
	v_add_nc_u32_e32 v37, 1, v128
	v_add_nc_u32_e32 v38, 1, v129
	s_wait_dscnt 0x0
	v_cmp_lt_i64_e64 s14, v[47:48], v[45:46]
	s_delay_alu instid0(VALU_DEP_3) | instskip(NEXT) | instid1(VALU_DEP_3)
	v_cndmask_b32_e64 v130, v37, v128, s13
	v_cndmask_b32_e64 v131, v129, v38, s13
                                        ; implicit-def: $vgpr37_vgpr38
	s_delay_alu instid0(VALU_DEP_2) | instskip(NEXT) | instid1(VALU_DEP_2)
	v_cmp_ge_i32_e64 s15, v130, v86
	v_cmp_lt_i32_e64 s16, v131, v87
	s_or_b32 s14, s15, s14
	s_wait_alu 0xfffe
	s_and_b32 s14, s16, s14
	s_wait_alu 0xfffe
	s_xor_b32 s15, s14, -1
	s_wait_alu 0xfffe
	s_and_saveexec_b32 s16, s15
	s_wait_alu 0xfffe
	s_xor_b32 s15, exec_lo, s16
; %bb.255:                              ;   in Loop: Header=BB159_2 Depth=1
	v_lshlrev_b32_e32 v37, 3, v130
	ds_load_b64 v[37:38], v37 offset:8
; %bb.256:                              ;   in Loop: Header=BB159_2 Depth=1
	s_wait_alu 0xfffe
	s_or_saveexec_b32 s15, s15
	v_dual_mov_b32 v41, v47 :: v_dual_mov_b32 v42, v48
	s_wait_alu 0xfffe
	s_xor_b32 exec_lo, exec_lo, s15
	s_cbranch_execz .LBB159_258
; %bb.257:                              ;   in Loop: Header=BB159_2 Depth=1
	s_wait_dscnt 0x0
	v_lshlrev_b32_e32 v37, 3, v131
	ds_load_b64 v[41:42], v37 offset:8
	v_dual_mov_b32 v37, v45 :: v_dual_mov_b32 v38, v46
.LBB159_258:                            ;   in Loop: Header=BB159_2 Depth=1
	s_or_b32 exec_lo, exec_lo, s15
	v_add_nc_u32_e32 v133, 1, v130
	v_add_nc_u32_e32 v132, 1, v131
	v_cndmask_b32_e64 v46, v46, v48, s14
	v_cndmask_b32_e64 v45, v45, v47, s14
	;; [unrolled: 1-line block ×7, first 2 shown]
	s_wait_dscnt 0x0
	v_cmp_lt_i64_e64 s11, v[41:42], v[37:38]
	v_cndmask_b32_e64 v34, v34, v36, s12
	v_cndmask_b32_e64 v33, v33, v35, s12
	;; [unrolled: 1-line block ×3, first 2 shown]
	v_cmp_ge_i32_e64 s12, v48, v86
	v_cndmask_b32_e64 v40, v40, v44, s13
	v_cndmask_b32_e64 v39, v39, v43, s13
	;; [unrolled: 1-line block ×3, first 2 shown]
	v_cmp_lt_i32_e64 s13, v47, v87
	v_cndmask_b32_e64 v44, v50, v49, s8
	v_cndmask_b32_e64 v36, v51, v52, s9
	s_or_b32 s11, s12, s11
	v_cndmask_b32_e64 v32, v122, v123, s10
	s_wait_alu 0xfffe
	s_and_b32 s11, s13, s11
	v_cndmask_b32_e64 v130, v130, v131, s14
	v_cndmask_b32_e64 v26, v26, v28, s10
	s_wait_alu 0xfffe
	v_cndmask_b32_e64 v28, v38, v42, s11
	v_cndmask_b32_e64 v38, v48, v47, s11
	s_wait_loadcnt 0x0
	s_barrier_signal -1
	s_barrier_wait -1
	global_inv scope:SCOPE_SE
	ds_store_2addr_b64 v53, v[13:14], v[15:16] offset1:1
	ds_store_2addr_b64 v53, v[9:10], v[11:12] offset0:2 offset1:3
	ds_store_2addr_b64 v53, v[5:6], v[7:8] offset0:4 offset1:5
	;; [unrolled: 1-line block ×3, first 2 shown]
	v_lshlrev_b32_e32 v1, 3, v44
	v_lshlrev_b32_e32 v2, 3, v36
	v_lshlrev_b32_e32 v3, 3, v32
	v_lshlrev_b32_e32 v4, 3, v31
	v_lshlrev_b32_e32 v5, 3, v35
	v_lshlrev_b32_e32 v7, 3, v43
	s_wait_loadcnt_dscnt 0x0
	s_barrier_signal -1
	s_barrier_wait -1
	global_inv scope:SCOPE_SE
	v_lshlrev_b32_e32 v31, 3, v130
	v_lshlrev_b32_e32 v32, 3, v38
	ds_load_b64 v[13:14], v1
	ds_load_b64 v[15:16], v2
	ds_load_b64 v[9:10], v3
	ds_load_b64 v[11:12], v4
	ds_load_b64 v[5:6], v5
	ds_load_b64 v[7:8], v7
	ds_load_b64 v[1:2], v31
	ds_load_b64 v[3:4], v32
	v_cndmask_b32_e64 v22, v22, v24, s9
	v_cndmask_b32_e64 v21, v21, v23, s9
	;; [unrolled: 1-line block ×6, first 2 shown]
	s_wait_loadcnt_dscnt 0x0
	s_barrier_signal -1
	s_barrier_wait -1
	global_inv scope:SCOPE_SE
	ds_store_2addr_b64 v53, v[17:18], v[21:22] offset1:1
	ds_store_2addr_b64 v53, v[25:26], v[29:30] offset0:2 offset1:3
	ds_store_2addr_b64 v53, v[33:34], v[39:40] offset0:4 offset1:5
	;; [unrolled: 1-line block ×3, first 2 shown]
	v_mov_b32_e32 v29, v62
	s_wait_loadcnt_dscnt 0x0
	s_barrier_signal -1
	s_barrier_wait -1
	global_inv scope:SCOPE_SE
	s_and_saveexec_b32 s9, vcc_lo
	s_cbranch_execz .LBB159_262
; %bb.259:                              ;   in Loop: Header=BB159_2 Depth=1
	v_mov_b32_e32 v29, v62
	v_mov_b32_e32 v17, v63
	s_mov_b32 s10, 0
.LBB159_260:                            ;   Parent Loop BB159_2 Depth=1
                                        ; =>  This Inner Loop Header: Depth=2
	s_delay_alu instid0(VALU_DEP_1) | instskip(NEXT) | instid1(VALU_DEP_1)
	v_sub_nc_u32_e32 v18, v17, v29
	v_lshrrev_b32_e32 v18, 1, v18
	s_delay_alu instid0(VALU_DEP_1) | instskip(NEXT) | instid1(VALU_DEP_1)
	v_add_nc_u32_e32 v22, v18, v29
	v_not_b32_e32 v18, v22
	v_lshlrev_b32_e32 v19, 3, v22
	s_delay_alu instid0(VALU_DEP_2)
	v_lshl_add_u32 v20, v18, 3, v121
	ds_load_b64 v[18:19], v19
	ds_load_b64 v[20:21], v20
	s_wait_dscnt 0x0
	v_cmp_lt_i64_e64 s8, v[20:21], v[18:19]
	v_add_nc_u32_e32 v18, 1, v22
	s_wait_alu 0xf1ff
	s_delay_alu instid0(VALU_DEP_2) | instskip(NEXT) | instid1(VALU_DEP_2)
	v_cndmask_b32_e64 v17, v17, v22, s8
	v_cndmask_b32_e64 v29, v18, v29, s8
	s_delay_alu instid0(VALU_DEP_1)
	v_cmp_ge_i32_e64 s8, v29, v17
	s_wait_alu 0xfffe
	s_or_b32 s10, s8, s10
	s_wait_alu 0xfffe
	s_and_not1_b32 exec_lo, exec_lo, s10
	s_cbranch_execnz .LBB159_260
; %bb.261:                              ;   in Loop: Header=BB159_2 Depth=1
	s_or_b32 exec_lo, exec_lo, s10
.LBB159_262:                            ;   in Loop: Header=BB159_2 Depth=1
	s_wait_alu 0xfffe
	s_or_b32 exec_lo, exec_lo, s9
	v_sub_nc_u32_e32 v30, v64, v29
	v_lshlrev_b32_e32 v23, 3, v29
	v_cmp_le_i32_e64 s9, 0x800, v29
                                        ; implicit-def: $vgpr21_vgpr22
	s_delay_alu instid0(VALU_DEP_3)
	v_lshlrev_b32_e32 v25, 3, v30
	v_cmp_gt_i32_e64 s10, 0x1000, v30
	ds_load_b64 v[17:18], v23
	ds_load_b64 v[19:20], v25
	s_wait_dscnt 0x0
	v_cmp_lt_i64_e64 s8, v[19:20], v[17:18]
	s_or_b32 s8, s9, s8
	s_wait_alu 0xfffe
	s_and_b32 s8, s10, s8
	s_wait_alu 0xfffe
	s_xor_b32 s9, s8, -1
	s_wait_alu 0xfffe
	s_and_saveexec_b32 s10, s9
	s_wait_alu 0xfffe
	s_xor_b32 s9, exec_lo, s10
; %bb.263:                              ;   in Loop: Header=BB159_2 Depth=1
	ds_load_b64 v[21:22], v23 offset:8
                                        ; implicit-def: $vgpr25
; %bb.264:                              ;   in Loop: Header=BB159_2 Depth=1
	s_wait_alu 0xfffe
	s_or_saveexec_b32 s9, s9
	v_dual_mov_b32 v24, v20 :: v_dual_mov_b32 v23, v19
	s_wait_alu 0xfffe
	s_xor_b32 exec_lo, exec_lo, s9
	s_cbranch_execz .LBB159_266
; %bb.265:                              ;   in Loop: Header=BB159_2 Depth=1
	ds_load_b64 v[23:24], v25 offset:8
	s_wait_dscnt 0x1
	v_dual_mov_b32 v22, v18 :: v_dual_mov_b32 v21, v17
.LBB159_266:                            ;   in Loop: Header=BB159_2 Depth=1
	s_or_b32 exec_lo, exec_lo, s9
	v_add_nc_u32_e32 v25, 1, v29
	v_add_nc_u32_e32 v26, 1, v30
	s_wait_dscnt 0x0
	v_cmp_lt_i64_e64 s9, v[23:24], v[21:22]
	s_delay_alu instid0(VALU_DEP_3) | instskip(NEXT) | instid1(VALU_DEP_3)
	v_cndmask_b32_e64 v31, v25, v29, s8
	v_cndmask_b32_e64 v32, v30, v26, s8
                                        ; implicit-def: $vgpr25_vgpr26
	s_delay_alu instid0(VALU_DEP_2) | instskip(NEXT) | instid1(VALU_DEP_2)
	v_cmp_le_i32_e64 s10, 0x800, v31
	v_cmp_gt_i32_e64 s11, 0x1000, v32
	s_or_b32 s9, s10, s9
	s_wait_alu 0xfffe
	s_and_b32 s9, s11, s9
	s_wait_alu 0xfffe
	s_xor_b32 s10, s9, -1
	s_wait_alu 0xfffe
	s_and_saveexec_b32 s11, s10
	s_wait_alu 0xfffe
	s_xor_b32 s10, exec_lo, s11
; %bb.267:                              ;   in Loop: Header=BB159_2 Depth=1
	v_lshlrev_b32_e32 v25, 3, v31
	ds_load_b64 v[25:26], v25 offset:8
; %bb.268:                              ;   in Loop: Header=BB159_2 Depth=1
	s_wait_alu 0xfffe
	s_or_saveexec_b32 s10, s10
	v_dual_mov_b32 v28, v24 :: v_dual_mov_b32 v27, v23
	s_wait_alu 0xfffe
	s_xor_b32 exec_lo, exec_lo, s10
	s_cbranch_execz .LBB159_270
; %bb.269:                              ;   in Loop: Header=BB159_2 Depth=1
	s_wait_dscnt 0x0
	v_lshlrev_b32_e32 v25, 3, v32
	ds_load_b64 v[27:28], v25 offset:8
	v_dual_mov_b32 v26, v22 :: v_dual_mov_b32 v25, v21
.LBB159_270:                            ;   in Loop: Header=BB159_2 Depth=1
	s_or_b32 exec_lo, exec_lo, s10
	v_add_nc_u32_e32 v33, 1, v31
	v_add_nc_u32_e32 v34, 1, v32
	s_wait_dscnt 0x0
	v_cmp_lt_i64_e64 s10, v[27:28], v[25:26]
	s_delay_alu instid0(VALU_DEP_3) | instskip(NEXT) | instid1(VALU_DEP_3)
	v_cndmask_b32_e64 v122, v33, v31, s9
	v_cndmask_b32_e64 v123, v32, v34, s9
                                        ; implicit-def: $vgpr33_vgpr34
	s_delay_alu instid0(VALU_DEP_2) | instskip(NEXT) | instid1(VALU_DEP_2)
	v_cmp_le_i32_e64 s11, 0x800, v122
	v_cmp_gt_i32_e64 s12, 0x1000, v123
	s_or_b32 s10, s11, s10
	s_wait_alu 0xfffe
	s_and_b32 s10, s12, s10
	s_wait_alu 0xfffe
	s_xor_b32 s11, s10, -1
	s_wait_alu 0xfffe
	s_and_saveexec_b32 s12, s11
	s_wait_alu 0xfffe
	s_xor_b32 s11, exec_lo, s12
; %bb.271:                              ;   in Loop: Header=BB159_2 Depth=1
	v_lshlrev_b32_e32 v33, 3, v122
	ds_load_b64 v[33:34], v33 offset:8
; %bb.272:                              ;   in Loop: Header=BB159_2 Depth=1
	s_wait_alu 0xfffe
	s_or_saveexec_b32 s11, s11
	v_dual_mov_b32 v36, v28 :: v_dual_mov_b32 v35, v27
	s_wait_alu 0xfffe
	s_xor_b32 exec_lo, exec_lo, s11
	s_cbranch_execz .LBB159_274
; %bb.273:                              ;   in Loop: Header=BB159_2 Depth=1
	s_wait_dscnt 0x0
	v_lshlrev_b32_e32 v33, 3, v123
	ds_load_b64 v[35:36], v33 offset:8
	v_dual_mov_b32 v34, v26 :: v_dual_mov_b32 v33, v25
.LBB159_274:                            ;   in Loop: Header=BB159_2 Depth=1
	s_or_b32 exec_lo, exec_lo, s11
	v_add_nc_u32_e32 v37, 1, v122
	v_add_nc_u32_e32 v38, 1, v123
	s_wait_dscnt 0x0
	v_cmp_lt_i64_e64 s11, v[35:36], v[33:34]
	s_delay_alu instid0(VALU_DEP_3) | instskip(NEXT) | instid1(VALU_DEP_3)
	v_cndmask_b32_e64 v124, v37, v122, s10
	v_cndmask_b32_e64 v125, v123, v38, s10
                                        ; implicit-def: $vgpr37_vgpr38
	s_delay_alu instid0(VALU_DEP_2) | instskip(NEXT) | instid1(VALU_DEP_2)
	v_cmp_le_i32_e64 s12, 0x800, v124
	v_cmp_gt_i32_e64 s13, 0x1000, v125
	s_or_b32 s11, s12, s11
	s_wait_alu 0xfffe
	s_and_b32 s11, s13, s11
	s_wait_alu 0xfffe
	s_xor_b32 s12, s11, -1
	s_wait_alu 0xfffe
	s_and_saveexec_b32 s13, s12
	s_wait_alu 0xfffe
	s_xor_b32 s12, exec_lo, s13
; %bb.275:                              ;   in Loop: Header=BB159_2 Depth=1
	v_lshlrev_b32_e32 v37, 3, v124
	ds_load_b64 v[37:38], v37 offset:8
; %bb.276:                              ;   in Loop: Header=BB159_2 Depth=1
	s_wait_alu 0xfffe
	s_or_saveexec_b32 s12, s12
	v_dual_mov_b32 v40, v36 :: v_dual_mov_b32 v39, v35
	s_wait_alu 0xfffe
	s_xor_b32 exec_lo, exec_lo, s12
	s_cbranch_execz .LBB159_278
; %bb.277:                              ;   in Loop: Header=BB159_2 Depth=1
	s_wait_dscnt 0x0
	v_lshlrev_b32_e32 v37, 3, v125
	ds_load_b64 v[39:40], v37 offset:8
	v_dual_mov_b32 v38, v34 :: v_dual_mov_b32 v37, v33
.LBB159_278:                            ;   in Loop: Header=BB159_2 Depth=1
	s_or_b32 exec_lo, exec_lo, s12
	v_add_nc_u32_e32 v41, 1, v124
	v_add_nc_u32_e32 v42, 1, v125
	s_wait_dscnt 0x0
	v_cmp_lt_i64_e64 s12, v[39:40], v[37:38]
	s_delay_alu instid0(VALU_DEP_3) | instskip(NEXT) | instid1(VALU_DEP_3)
	v_cndmask_b32_e64 v126, v41, v124, s11
	v_cndmask_b32_e64 v127, v125, v42, s11
                                        ; implicit-def: $vgpr41_vgpr42
	s_delay_alu instid0(VALU_DEP_2) | instskip(NEXT) | instid1(VALU_DEP_2)
	v_cmp_le_i32_e64 s13, 0x800, v126
	v_cmp_gt_i32_e64 s14, 0x1000, v127
	s_or_b32 s12, s13, s12
	s_wait_alu 0xfffe
	s_and_b32 s12, s14, s12
	s_wait_alu 0xfffe
	s_xor_b32 s13, s12, -1
	s_wait_alu 0xfffe
	s_and_saveexec_b32 s14, s13
	s_wait_alu 0xfffe
	s_xor_b32 s13, exec_lo, s14
; %bb.279:                              ;   in Loop: Header=BB159_2 Depth=1
	v_lshlrev_b32_e32 v41, 3, v126
	ds_load_b64 v[41:42], v41 offset:8
; %bb.280:                              ;   in Loop: Header=BB159_2 Depth=1
	s_wait_alu 0xfffe
	s_or_saveexec_b32 s13, s13
	v_dual_mov_b32 v44, v40 :: v_dual_mov_b32 v43, v39
	s_wait_alu 0xfffe
	s_xor_b32 exec_lo, exec_lo, s13
	s_cbranch_execz .LBB159_282
; %bb.281:                              ;   in Loop: Header=BB159_2 Depth=1
	s_wait_dscnt 0x0
	v_lshlrev_b32_e32 v41, 3, v127
	ds_load_b64 v[43:44], v41 offset:8
	v_dual_mov_b32 v42, v38 :: v_dual_mov_b32 v41, v37
.LBB159_282:                            ;   in Loop: Header=BB159_2 Depth=1
	s_or_b32 exec_lo, exec_lo, s13
	v_add_nc_u32_e32 v45, 1, v126
	v_add_nc_u32_e32 v46, 1, v127
	s_wait_dscnt 0x0
	v_cmp_lt_i64_e64 s13, v[43:44], v[41:42]
	s_delay_alu instid0(VALU_DEP_3) | instskip(NEXT) | instid1(VALU_DEP_3)
	v_cndmask_b32_e64 v128, v45, v126, s12
	v_cndmask_b32_e64 v129, v127, v46, s12
                                        ; implicit-def: $vgpr45_vgpr46
	s_delay_alu instid0(VALU_DEP_2) | instskip(NEXT) | instid1(VALU_DEP_2)
	v_cmp_le_i32_e64 s14, 0x800, v128
	v_cmp_gt_i32_e64 s15, 0x1000, v129
	s_or_b32 s13, s14, s13
	s_wait_alu 0xfffe
	s_and_b32 s13, s15, s13
	s_wait_alu 0xfffe
	s_xor_b32 s14, s13, -1
	s_wait_alu 0xfffe
	s_and_saveexec_b32 s15, s14
	s_wait_alu 0xfffe
	s_xor_b32 s14, exec_lo, s15
; %bb.283:                              ;   in Loop: Header=BB159_2 Depth=1
	v_lshlrev_b32_e32 v45, 3, v128
	ds_load_b64 v[45:46], v45 offset:8
; %bb.284:                              ;   in Loop: Header=BB159_2 Depth=1
	s_wait_alu 0xfffe
	s_or_saveexec_b32 s14, s14
	v_dual_mov_b32 v48, v44 :: v_dual_mov_b32 v47, v43
	s_wait_alu 0xfffe
	s_xor_b32 exec_lo, exec_lo, s14
	s_cbranch_execz .LBB159_286
; %bb.285:                              ;   in Loop: Header=BB159_2 Depth=1
	s_wait_dscnt 0x0
	v_lshlrev_b32_e32 v45, 3, v129
	ds_load_b64 v[47:48], v45 offset:8
	v_dual_mov_b32 v46, v42 :: v_dual_mov_b32 v45, v41
.LBB159_286:                            ;   in Loop: Header=BB159_2 Depth=1
	s_or_b32 exec_lo, exec_lo, s14
	v_add_nc_u32_e32 v49, 1, v128
	v_add_nc_u32_e32 v50, 1, v129
	s_wait_dscnt 0x0
	v_cmp_lt_i64_e64 s14, v[47:48], v[45:46]
                                        ; implicit-def: $vgpr132
	s_delay_alu instid0(VALU_DEP_3) | instskip(NEXT) | instid1(VALU_DEP_3)
	v_cndmask_b32_e64 v133, v49, v128, s13
	v_cndmask_b32_e64 v131, v129, v50, s13
                                        ; implicit-def: $vgpr49_vgpr50
	s_delay_alu instid0(VALU_DEP_2) | instskip(NEXT) | instid1(VALU_DEP_2)
	v_cmp_le_i32_e64 s15, 0x800, v133
	v_cmp_gt_i32_e64 s16, 0x1000, v131
	s_or_b32 s14, s15, s14
	s_wait_alu 0xfffe
	s_and_b32 s14, s16, s14
	s_wait_alu 0xfffe
	s_xor_b32 s15, s14, -1
	s_wait_alu 0xfffe
	s_and_saveexec_b32 s16, s15
	s_wait_alu 0xfffe
	s_xor_b32 s15, exec_lo, s16
; %bb.287:                              ;   in Loop: Header=BB159_2 Depth=1
	v_lshlrev_b32_e32 v49, 3, v133
	v_add_nc_u32_e32 v132, 1, v133
	ds_load_b64 v[49:50], v49 offset:8
; %bb.288:                              ;   in Loop: Header=BB159_2 Depth=1
	s_wait_alu 0xfffe
	s_or_saveexec_b32 s15, s15
	v_mov_b32_e32 v52, v48
	v_dual_mov_b32 v130, v133 :: v_dual_mov_b32 v51, v47
	s_wait_alu 0xfffe
	s_xor_b32 exec_lo, exec_lo, s15
	s_cbranch_execz .LBB159_1
; %bb.289:                              ;   in Loop: Header=BB159_2 Depth=1
	s_wait_dscnt 0x0
	v_dual_mov_b32 v130, v131 :: v_dual_lshlrev_b32 v49, 3, v131
	v_mov_b32_e32 v132, v133
	ds_load_b64 v[51:52], v49 offset:8
	v_add_nc_u32_e32 v49, 1, v131
	s_delay_alu instid0(VALU_DEP_1)
	v_dual_mov_b32 v131, v49 :: v_dual_mov_b32 v50, v46
	v_mov_b32_e32 v49, v45
	s_branch .LBB159_1
.LBB159_290:
	s_wait_dscnt 0x7
	v_add_co_u32 v15, vcc_lo, v19, v15
	s_delay_alu instid0(VALU_DEP_1)
	v_add_co_ci_u32_e64 v16, null, v20, v16, vcc_lo
	s_wait_dscnt 0x6
	v_add_co_u32 v13, vcc_lo, v31, v13
	s_wait_alu 0xfffd
	v_add_co_ci_u32_e64 v14, null, v32, v14, vcc_lo
	s_wait_dscnt 0x5
	v_add_co_u32 v11, vcc_lo, v29, v11
	s_wait_alu 0xfffd
	;; [unrolled: 4-line block ×4, first 2 shown]
	v_add_co_ci_u32_e64 v8, null, v26, v8, vcc_lo
	s_wait_dscnt 0x2
	v_add_co_u32 v5, vcc_lo, v23, v5
	v_lshlrev_b32_e32 v19, 3, v0
	s_wait_alu 0xfffd
	v_add_co_ci_u32_e64 v6, null, v24, v6, vcc_lo
	s_wait_dscnt 0x1
	v_add_co_u32 v3, vcc_lo, v21, v3
	s_wait_alu 0xfffd
	v_add_co_ci_u32_e64 v4, null, v22, v4, vcc_lo
	s_add_nc_u64 s[0:1], s[46:47], s[48:49]
	s_wait_dscnt 0x0
	v_add_co_u32 v0, vcc_lo, v17, v1
	s_wait_alu 0xfffd
	v_add_co_ci_u32_e64 v1, null, v18, v2, vcc_lo
	s_clause 0x7
	global_store_b64 v19, v[15:16], s[0:1]
	global_store_b64 v19, v[13:14], s[0:1] offset:4096
	global_store_b64 v19, v[11:12], s[0:1] offset:8192
	;; [unrolled: 1-line block ×7, first 2 shown]
	s_nop 0
	s_sendmsg sendmsg(MSG_DEALLOC_VGPRS)
	s_endpgm
	.section	.rodata,"a",@progbits
	.p2align	6, 0x0
	.amdhsa_kernel _Z17sort_pairs_kernelIxLj512ELj8EN10test_utils4lessELj10EEvPKT_PS2_T2_
		.amdhsa_group_segment_fixed_size 32776
		.amdhsa_private_segment_fixed_size 0
		.amdhsa_kernarg_size 20
		.amdhsa_user_sgpr_count 2
		.amdhsa_user_sgpr_dispatch_ptr 0
		.amdhsa_user_sgpr_queue_ptr 0
		.amdhsa_user_sgpr_kernarg_segment_ptr 1
		.amdhsa_user_sgpr_dispatch_id 0
		.amdhsa_user_sgpr_private_segment_size 0
		.amdhsa_wavefront_size32 1
		.amdhsa_uses_dynamic_stack 0
		.amdhsa_enable_private_segment 0
		.amdhsa_system_sgpr_workgroup_id_x 1
		.amdhsa_system_sgpr_workgroup_id_y 0
		.amdhsa_system_sgpr_workgroup_id_z 0
		.amdhsa_system_sgpr_workgroup_info 0
		.amdhsa_system_vgpr_workitem_id 0
		.amdhsa_next_free_vgpr 134
		.amdhsa_next_free_sgpr 52
		.amdhsa_reserve_vcc 1
		.amdhsa_float_round_mode_32 0
		.amdhsa_float_round_mode_16_64 0
		.amdhsa_float_denorm_mode_32 3
		.amdhsa_float_denorm_mode_16_64 3
		.amdhsa_fp16_overflow 0
		.amdhsa_workgroup_processor_mode 1
		.amdhsa_memory_ordered 1
		.amdhsa_forward_progress 1
		.amdhsa_inst_pref_size 157
		.amdhsa_round_robin_scheduling 0
		.amdhsa_exception_fp_ieee_invalid_op 0
		.amdhsa_exception_fp_denorm_src 0
		.amdhsa_exception_fp_ieee_div_zero 0
		.amdhsa_exception_fp_ieee_overflow 0
		.amdhsa_exception_fp_ieee_underflow 0
		.amdhsa_exception_fp_ieee_inexact 0
		.amdhsa_exception_int_div_zero 0
	.end_amdhsa_kernel
	.section	.text._Z17sort_pairs_kernelIxLj512ELj8EN10test_utils4lessELj10EEvPKT_PS2_T2_,"axG",@progbits,_Z17sort_pairs_kernelIxLj512ELj8EN10test_utils4lessELj10EEvPKT_PS2_T2_,comdat
.Lfunc_end159:
	.size	_Z17sort_pairs_kernelIxLj512ELj8EN10test_utils4lessELj10EEvPKT_PS2_T2_, .Lfunc_end159-_Z17sort_pairs_kernelIxLj512ELj8EN10test_utils4lessELj10EEvPKT_PS2_T2_
                                        ; -- End function
	.set _Z17sort_pairs_kernelIxLj512ELj8EN10test_utils4lessELj10EEvPKT_PS2_T2_.num_vgpr, 134
	.set _Z17sort_pairs_kernelIxLj512ELj8EN10test_utils4lessELj10EEvPKT_PS2_T2_.num_agpr, 0
	.set _Z17sort_pairs_kernelIxLj512ELj8EN10test_utils4lessELj10EEvPKT_PS2_T2_.numbered_sgpr, 52
	.set _Z17sort_pairs_kernelIxLj512ELj8EN10test_utils4lessELj10EEvPKT_PS2_T2_.num_named_barrier, 0
	.set _Z17sort_pairs_kernelIxLj512ELj8EN10test_utils4lessELj10EEvPKT_PS2_T2_.private_seg_size, 0
	.set _Z17sort_pairs_kernelIxLj512ELj8EN10test_utils4lessELj10EEvPKT_PS2_T2_.uses_vcc, 1
	.set _Z17sort_pairs_kernelIxLj512ELj8EN10test_utils4lessELj10EEvPKT_PS2_T2_.uses_flat_scratch, 0
	.set _Z17sort_pairs_kernelIxLj512ELj8EN10test_utils4lessELj10EEvPKT_PS2_T2_.has_dyn_sized_stack, 0
	.set _Z17sort_pairs_kernelIxLj512ELj8EN10test_utils4lessELj10EEvPKT_PS2_T2_.has_recursion, 0
	.set _Z17sort_pairs_kernelIxLj512ELj8EN10test_utils4lessELj10EEvPKT_PS2_T2_.has_indirect_call, 0
	.section	.AMDGPU.csdata,"",@progbits
; Kernel info:
; codeLenInByte = 20024
; TotalNumSgprs: 54
; NumVgprs: 134
; ScratchSize: 0
; MemoryBound: 0
; FloatMode: 240
; IeeeMode: 1
; LDSByteSize: 32776 bytes/workgroup (compile time only)
; SGPRBlocks: 0
; VGPRBlocks: 16
; NumSGPRsForWavesPerEU: 54
; NumVGPRsForWavesPerEU: 134
; Occupancy: 10
; WaveLimiterHint : 1
; COMPUTE_PGM_RSRC2:SCRATCH_EN: 0
; COMPUTE_PGM_RSRC2:USER_SGPR: 2
; COMPUTE_PGM_RSRC2:TRAP_HANDLER: 0
; COMPUTE_PGM_RSRC2:TGID_X_EN: 1
; COMPUTE_PGM_RSRC2:TGID_Y_EN: 0
; COMPUTE_PGM_RSRC2:TGID_Z_EN: 0
; COMPUTE_PGM_RSRC2:TIDIG_COMP_CNT: 0
	.section	.AMDGPU.gpr_maximums,"",@progbits
	.set amdgpu.max_num_vgpr, 0
	.set amdgpu.max_num_agpr, 0
	.set amdgpu.max_num_sgpr, 0
	.section	.AMDGPU.csdata,"",@progbits
	.type	__hip_cuid_c3f3bbd4ce8baabe,@object ; @__hip_cuid_c3f3bbd4ce8baabe
	.section	.bss,"aw",@nobits
	.globl	__hip_cuid_c3f3bbd4ce8baabe
__hip_cuid_c3f3bbd4ce8baabe:
	.byte	0                               ; 0x0
	.size	__hip_cuid_c3f3bbd4ce8baabe, 1

	.ident	"AMD clang version 22.0.0git (https://github.com/RadeonOpenCompute/llvm-project roc-7.2.4 26084 f58b06dce1f9c15707c5f808fd002e18c2accf7e)"
	.section	".note.GNU-stack","",@progbits
	.addrsig
	.addrsig_sym __hip_cuid_c3f3bbd4ce8baabe
	.amdgpu_metadata
---
amdhsa.kernels:
  - .args:
      - .address_space:  global
        .offset:         0
        .size:           8
        .value_kind:     global_buffer
      - .address_space:  global
        .offset:         8
        .size:           8
        .value_kind:     global_buffer
      - .offset:         16
        .size:           1
        .value_kind:     by_value
    .group_segment_fixed_size: 260
    .kernarg_segment_align: 8
    .kernarg_segment_size: 20
    .language:       OpenCL C
    .language_version:
      - 2
      - 0
    .max_flat_workgroup_size: 64
    .name:           _Z16sort_keys_kernelIiLj64ELj1EN10test_utils4lessELj10EEvPKT_PS2_T2_
    .private_segment_fixed_size: 0
    .sgpr_count:     18
    .sgpr_spill_count: 0
    .symbol:         _Z16sort_keys_kernelIiLj64ELj1EN10test_utils4lessELj10EEvPKT_PS2_T2_.kd
    .uniform_work_group_size: 1
    .uses_dynamic_stack: false
    .vgpr_count:     47
    .vgpr_spill_count: 0
    .wavefront_size: 32
    .workgroup_processor_mode: 1
  - .args:
      - .address_space:  global
        .offset:         0
        .size:           8
        .value_kind:     global_buffer
      - .address_space:  global
        .offset:         8
        .size:           8
        .value_kind:     global_buffer
      - .offset:         16
        .size:           1
        .value_kind:     by_value
    .group_segment_fixed_size: 260
    .kernarg_segment_align: 8
    .kernarg_segment_size: 20
    .language:       OpenCL C
    .language_version:
      - 2
      - 0
    .max_flat_workgroup_size: 64
    .name:           _Z17sort_pairs_kernelIiLj64ELj1EN10test_utils4lessELj10EEvPKT_PS2_T2_
    .private_segment_fixed_size: 0
    .sgpr_count:     18
    .sgpr_spill_count: 0
    .symbol:         _Z17sort_pairs_kernelIiLj64ELj1EN10test_utils4lessELj10EEvPKT_PS2_T2_.kd
    .uniform_work_group_size: 1
    .uses_dynamic_stack: false
    .vgpr_count:     54
    .vgpr_spill_count: 0
    .wavefront_size: 32
    .workgroup_processor_mode: 1
  - .args:
      - .address_space:  global
        .offset:         0
        .size:           8
        .value_kind:     global_buffer
      - .address_space:  global
        .offset:         8
        .size:           8
        .value_kind:     global_buffer
      - .offset:         16
        .size:           1
        .value_kind:     by_value
    .group_segment_fixed_size: 516
    .kernarg_segment_align: 8
    .kernarg_segment_size: 20
    .language:       OpenCL C
    .language_version:
      - 2
      - 0
    .max_flat_workgroup_size: 64
    .name:           _Z16sort_keys_kernelIiLj64ELj2EN10test_utils4lessELj10EEvPKT_PS2_T2_
    .private_segment_fixed_size: 0
    .sgpr_count:     18
    .sgpr_spill_count: 0
    .symbol:         _Z16sort_keys_kernelIiLj64ELj2EN10test_utils4lessELj10EEvPKT_PS2_T2_.kd
    .uniform_work_group_size: 1
    .uses_dynamic_stack: false
    .vgpr_count:     54
    .vgpr_spill_count: 0
    .wavefront_size: 32
    .workgroup_processor_mode: 1
  - .args:
      - .address_space:  global
        .offset:         0
        .size:           8
        .value_kind:     global_buffer
      - .address_space:  global
        .offset:         8
        .size:           8
        .value_kind:     global_buffer
      - .offset:         16
        .size:           1
        .value_kind:     by_value
    .group_segment_fixed_size: 516
    .kernarg_segment_align: 8
    .kernarg_segment_size: 20
    .language:       OpenCL C
    .language_version:
      - 2
      - 0
    .max_flat_workgroup_size: 64
    .name:           _Z17sort_pairs_kernelIiLj64ELj2EN10test_utils4lessELj10EEvPKT_PS2_T2_
    .private_segment_fixed_size: 0
    .sgpr_count:     18
    .sgpr_spill_count: 0
    .symbol:         _Z17sort_pairs_kernelIiLj64ELj2EN10test_utils4lessELj10EEvPKT_PS2_T2_.kd
    .uniform_work_group_size: 1
    .uses_dynamic_stack: false
    .vgpr_count:     57
    .vgpr_spill_count: 0
    .wavefront_size: 32
    .workgroup_processor_mode: 1
  - .args:
      - .address_space:  global
        .offset:         0
        .size:           8
        .value_kind:     global_buffer
      - .address_space:  global
        .offset:         8
        .size:           8
        .value_kind:     global_buffer
      - .offset:         16
        .size:           1
        .value_kind:     by_value
    .group_segment_fixed_size: 772
    .kernarg_segment_align: 8
    .kernarg_segment_size: 20
    .language:       OpenCL C
    .language_version:
      - 2
      - 0
    .max_flat_workgroup_size: 64
    .name:           _Z16sort_keys_kernelIiLj64ELj3EN10test_utils4lessELj10EEvPKT_PS2_T2_
    .private_segment_fixed_size: 0
    .sgpr_count:     18
    .sgpr_spill_count: 0
    .symbol:         _Z16sort_keys_kernelIiLj64ELj3EN10test_utils4lessELj10EEvPKT_PS2_T2_.kd
    .uniform_work_group_size: 1
    .uses_dynamic_stack: false
    .vgpr_count:     63
    .vgpr_spill_count: 0
    .wavefront_size: 32
    .workgroup_processor_mode: 1
  - .args:
      - .address_space:  global
        .offset:         0
        .size:           8
        .value_kind:     global_buffer
      - .address_space:  global
        .offset:         8
        .size:           8
        .value_kind:     global_buffer
      - .offset:         16
        .size:           1
        .value_kind:     by_value
    .group_segment_fixed_size: 772
    .kernarg_segment_align: 8
    .kernarg_segment_size: 20
    .language:       OpenCL C
    .language_version:
      - 2
      - 0
    .max_flat_workgroup_size: 64
    .name:           _Z17sort_pairs_kernelIiLj64ELj3EN10test_utils4lessELj10EEvPKT_PS2_T2_
    .private_segment_fixed_size: 0
    .sgpr_count:     22
    .sgpr_spill_count: 0
    .symbol:         _Z17sort_pairs_kernelIiLj64ELj3EN10test_utils4lessELj10EEvPKT_PS2_T2_.kd
    .uniform_work_group_size: 1
    .uses_dynamic_stack: false
    .vgpr_count:     68
    .vgpr_spill_count: 0
    .wavefront_size: 32
    .workgroup_processor_mode: 1
  - .args:
      - .address_space:  global
        .offset:         0
        .size:           8
        .value_kind:     global_buffer
      - .address_space:  global
        .offset:         8
        .size:           8
        .value_kind:     global_buffer
      - .offset:         16
        .size:           1
        .value_kind:     by_value
    .group_segment_fixed_size: 1028
    .kernarg_segment_align: 8
    .kernarg_segment_size: 20
    .language:       OpenCL C
    .language_version:
      - 2
      - 0
    .max_flat_workgroup_size: 64
    .name:           _Z16sort_keys_kernelIiLj64ELj4EN10test_utils4lessELj10EEvPKT_PS2_T2_
    .private_segment_fixed_size: 0
    .sgpr_count:     20
    .sgpr_spill_count: 0
    .symbol:         _Z16sort_keys_kernelIiLj64ELj4EN10test_utils4lessELj10EEvPKT_PS2_T2_.kd
    .uniform_work_group_size: 1
    .uses_dynamic_stack: false
    .vgpr_count:     58
    .vgpr_spill_count: 0
    .wavefront_size: 32
    .workgroup_processor_mode: 1
  - .args:
      - .address_space:  global
        .offset:         0
        .size:           8
        .value_kind:     global_buffer
      - .address_space:  global
        .offset:         8
        .size:           8
        .value_kind:     global_buffer
      - .offset:         16
        .size:           1
        .value_kind:     by_value
    .group_segment_fixed_size: 1028
    .kernarg_segment_align: 8
    .kernarg_segment_size: 20
    .language:       OpenCL C
    .language_version:
      - 2
      - 0
    .max_flat_workgroup_size: 64
    .name:           _Z17sort_pairs_kernelIiLj64ELj4EN10test_utils4lessELj10EEvPKT_PS2_T2_
    .private_segment_fixed_size: 0
    .sgpr_count:     26
    .sgpr_spill_count: 0
    .symbol:         _Z17sort_pairs_kernelIiLj64ELj4EN10test_utils4lessELj10EEvPKT_PS2_T2_.kd
    .uniform_work_group_size: 1
    .uses_dynamic_stack: false
    .vgpr_count:     68
    .vgpr_spill_count: 0
    .wavefront_size: 32
    .workgroup_processor_mode: 1
  - .args:
      - .address_space:  global
        .offset:         0
        .size:           8
        .value_kind:     global_buffer
      - .address_space:  global
        .offset:         8
        .size:           8
        .value_kind:     global_buffer
      - .offset:         16
        .size:           1
        .value_kind:     by_value
    .group_segment_fixed_size: 2052
    .kernarg_segment_align: 8
    .kernarg_segment_size: 20
    .language:       OpenCL C
    .language_version:
      - 2
      - 0
    .max_flat_workgroup_size: 64
    .name:           _Z16sort_keys_kernelIiLj64ELj8EN10test_utils4lessELj10EEvPKT_PS2_T2_
    .private_segment_fixed_size: 0
    .sgpr_count:     22
    .sgpr_spill_count: 0
    .symbol:         _Z16sort_keys_kernelIiLj64ELj8EN10test_utils4lessELj10EEvPKT_PS2_T2_.kd
    .uniform_work_group_size: 1
    .uses_dynamic_stack: false
    .vgpr_count:     66
    .vgpr_spill_count: 0
    .wavefront_size: 32
    .workgroup_processor_mode: 1
  - .args:
      - .address_space:  global
        .offset:         0
        .size:           8
        .value_kind:     global_buffer
      - .address_space:  global
        .offset:         8
        .size:           8
        .value_kind:     global_buffer
      - .offset:         16
        .size:           1
        .value_kind:     by_value
    .group_segment_fixed_size: 2052
    .kernarg_segment_align: 8
    .kernarg_segment_size: 20
    .language:       OpenCL C
    .language_version:
      - 2
      - 0
    .max_flat_workgroup_size: 64
    .name:           _Z17sort_pairs_kernelIiLj64ELj8EN10test_utils4lessELj10EEvPKT_PS2_T2_
    .private_segment_fixed_size: 0
    .sgpr_count:     52
    .sgpr_spill_count: 0
    .symbol:         _Z17sort_pairs_kernelIiLj64ELj8EN10test_utils4lessELj10EEvPKT_PS2_T2_.kd
    .uniform_work_group_size: 1
    .uses_dynamic_stack: false
    .vgpr_count:     86
    .vgpr_spill_count: 0
    .wavefront_size: 32
    .workgroup_processor_mode: 1
  - .args:
      - .address_space:  global
        .offset:         0
        .size:           8
        .value_kind:     global_buffer
      - .address_space:  global
        .offset:         8
        .size:           8
        .value_kind:     global_buffer
      - .offset:         16
        .size:           1
        .value_kind:     by_value
    .group_segment_fixed_size: 516
    .kernarg_segment_align: 8
    .kernarg_segment_size: 20
    .language:       OpenCL C
    .language_version:
      - 2
      - 0
    .max_flat_workgroup_size: 128
    .name:           _Z16sort_keys_kernelIiLj128ELj1EN10test_utils4lessELj10EEvPKT_PS2_T2_
    .private_segment_fixed_size: 0
    .sgpr_count:     18
    .sgpr_spill_count: 0
    .symbol:         _Z16sort_keys_kernelIiLj128ELj1EN10test_utils4lessELj10EEvPKT_PS2_T2_.kd
    .uniform_work_group_size: 1
    .uses_dynamic_stack: false
    .vgpr_count:     54
    .vgpr_spill_count: 0
    .wavefront_size: 32
    .workgroup_processor_mode: 1
  - .args:
      - .address_space:  global
        .offset:         0
        .size:           8
        .value_kind:     global_buffer
      - .address_space:  global
        .offset:         8
        .size:           8
        .value_kind:     global_buffer
      - .offset:         16
        .size:           1
        .value_kind:     by_value
    .group_segment_fixed_size: 516
    .kernarg_segment_align: 8
    .kernarg_segment_size: 20
    .language:       OpenCL C
    .language_version:
      - 2
      - 0
    .max_flat_workgroup_size: 128
    .name:           _Z17sort_pairs_kernelIiLj128ELj1EN10test_utils4lessELj10EEvPKT_PS2_T2_
    .private_segment_fixed_size: 0
    .sgpr_count:     18
    .sgpr_spill_count: 0
    .symbol:         _Z17sort_pairs_kernelIiLj128ELj1EN10test_utils4lessELj10EEvPKT_PS2_T2_.kd
    .uniform_work_group_size: 1
    .uses_dynamic_stack: false
    .vgpr_count:     64
    .vgpr_spill_count: 0
    .wavefront_size: 32
    .workgroup_processor_mode: 1
  - .args:
      - .address_space:  global
        .offset:         0
        .size:           8
        .value_kind:     global_buffer
      - .address_space:  global
        .offset:         8
        .size:           8
        .value_kind:     global_buffer
      - .offset:         16
        .size:           1
        .value_kind:     by_value
    .group_segment_fixed_size: 1028
    .kernarg_segment_align: 8
    .kernarg_segment_size: 20
    .language:       OpenCL C
    .language_version:
      - 2
      - 0
    .max_flat_workgroup_size: 128
    .name:           _Z16sort_keys_kernelIiLj128ELj2EN10test_utils4lessELj10EEvPKT_PS2_T2_
    .private_segment_fixed_size: 0
    .sgpr_count:     18
    .sgpr_spill_count: 0
    .symbol:         _Z16sort_keys_kernelIiLj128ELj2EN10test_utils4lessELj10EEvPKT_PS2_T2_.kd
    .uniform_work_group_size: 1
    .uses_dynamic_stack: false
    .vgpr_count:     62
    .vgpr_spill_count: 0
    .wavefront_size: 32
    .workgroup_processor_mode: 1
  - .args:
      - .address_space:  global
        .offset:         0
        .size:           8
        .value_kind:     global_buffer
      - .address_space:  global
        .offset:         8
        .size:           8
        .value_kind:     global_buffer
      - .offset:         16
        .size:           1
        .value_kind:     by_value
    .group_segment_fixed_size: 1028
    .kernarg_segment_align: 8
    .kernarg_segment_size: 20
    .language:       OpenCL C
    .language_version:
      - 2
      - 0
    .max_flat_workgroup_size: 128
    .name:           _Z17sort_pairs_kernelIiLj128ELj2EN10test_utils4lessELj10EEvPKT_PS2_T2_
    .private_segment_fixed_size: 0
    .sgpr_count:     20
    .sgpr_spill_count: 0
    .symbol:         _Z17sort_pairs_kernelIiLj128ELj2EN10test_utils4lessELj10EEvPKT_PS2_T2_.kd
    .uniform_work_group_size: 1
    .uses_dynamic_stack: false
    .vgpr_count:     67
    .vgpr_spill_count: 0
    .wavefront_size: 32
    .workgroup_processor_mode: 1
  - .args:
      - .address_space:  global
        .offset:         0
        .size:           8
        .value_kind:     global_buffer
      - .address_space:  global
        .offset:         8
        .size:           8
        .value_kind:     global_buffer
      - .offset:         16
        .size:           1
        .value_kind:     by_value
    .group_segment_fixed_size: 1540
    .kernarg_segment_align: 8
    .kernarg_segment_size: 20
    .language:       OpenCL C
    .language_version:
      - 2
      - 0
    .max_flat_workgroup_size: 128
    .name:           _Z16sort_keys_kernelIiLj128ELj3EN10test_utils4lessELj10EEvPKT_PS2_T2_
    .private_segment_fixed_size: 0
    .sgpr_count:     20
    .sgpr_spill_count: 0
    .symbol:         _Z16sort_keys_kernelIiLj128ELj3EN10test_utils4lessELj10EEvPKT_PS2_T2_.kd
    .uniform_work_group_size: 1
    .uses_dynamic_stack: false
    .vgpr_count:     71
    .vgpr_spill_count: 0
    .wavefront_size: 32
    .workgroup_processor_mode: 1
  - .args:
      - .address_space:  global
        .offset:         0
        .size:           8
        .value_kind:     global_buffer
      - .address_space:  global
        .offset:         8
        .size:           8
        .value_kind:     global_buffer
      - .offset:         16
        .size:           1
        .value_kind:     by_value
    .group_segment_fixed_size: 1540
    .kernarg_segment_align: 8
    .kernarg_segment_size: 20
    .language:       OpenCL C
    .language_version:
      - 2
      - 0
    .max_flat_workgroup_size: 128
    .name:           _Z17sort_pairs_kernelIiLj128ELj3EN10test_utils4lessELj10EEvPKT_PS2_T2_
    .private_segment_fixed_size: 0
    .sgpr_count:     22
    .sgpr_spill_count: 0
    .symbol:         _Z17sort_pairs_kernelIiLj128ELj3EN10test_utils4lessELj10EEvPKT_PS2_T2_.kd
    .uniform_work_group_size: 1
    .uses_dynamic_stack: false
    .vgpr_count:     77
    .vgpr_spill_count: 0
    .wavefront_size: 32
    .workgroup_processor_mode: 1
  - .args:
      - .address_space:  global
        .offset:         0
        .size:           8
        .value_kind:     global_buffer
      - .address_space:  global
        .offset:         8
        .size:           8
        .value_kind:     global_buffer
      - .offset:         16
        .size:           1
        .value_kind:     by_value
    .group_segment_fixed_size: 2052
    .kernarg_segment_align: 8
    .kernarg_segment_size: 20
    .language:       OpenCL C
    .language_version:
      - 2
      - 0
    .max_flat_workgroup_size: 128
    .name:           _Z16sort_keys_kernelIiLj128ELj4EN10test_utils4lessELj10EEvPKT_PS2_T2_
    .private_segment_fixed_size: 0
    .sgpr_count:     22
    .sgpr_spill_count: 0
    .symbol:         _Z16sort_keys_kernelIiLj128ELj4EN10test_utils4lessELj10EEvPKT_PS2_T2_.kd
    .uniform_work_group_size: 1
    .uses_dynamic_stack: false
    .vgpr_count:     66
    .vgpr_spill_count: 0
    .wavefront_size: 32
    .workgroup_processor_mode: 1
  - .args:
      - .address_space:  global
        .offset:         0
        .size:           8
        .value_kind:     global_buffer
      - .address_space:  global
        .offset:         8
        .size:           8
        .value_kind:     global_buffer
      - .offset:         16
        .size:           1
        .value_kind:     by_value
    .group_segment_fixed_size: 2052
    .kernarg_segment_align: 8
    .kernarg_segment_size: 20
    .language:       OpenCL C
    .language_version:
      - 2
      - 0
    .max_flat_workgroup_size: 128
    .name:           _Z17sort_pairs_kernelIiLj128ELj4EN10test_utils4lessELj10EEvPKT_PS2_T2_
    .private_segment_fixed_size: 0
    .sgpr_count:     26
    .sgpr_spill_count: 0
    .symbol:         _Z17sort_pairs_kernelIiLj128ELj4EN10test_utils4lessELj10EEvPKT_PS2_T2_.kd
    .uniform_work_group_size: 1
    .uses_dynamic_stack: false
    .vgpr_count:     76
    .vgpr_spill_count: 0
    .wavefront_size: 32
    .workgroup_processor_mode: 1
  - .args:
      - .address_space:  global
        .offset:         0
        .size:           8
        .value_kind:     global_buffer
      - .address_space:  global
        .offset:         8
        .size:           8
        .value_kind:     global_buffer
      - .offset:         16
        .size:           1
        .value_kind:     by_value
    .group_segment_fixed_size: 4100
    .kernarg_segment_align: 8
    .kernarg_segment_size: 20
    .language:       OpenCL C
    .language_version:
      - 2
      - 0
    .max_flat_workgroup_size: 128
    .name:           _Z16sort_keys_kernelIiLj128ELj8EN10test_utils4lessELj10EEvPKT_PS2_T2_
    .private_segment_fixed_size: 0
    .sgpr_count:     24
    .sgpr_spill_count: 0
    .symbol:         _Z16sort_keys_kernelIiLj128ELj8EN10test_utils4lessELj10EEvPKT_PS2_T2_.kd
    .uniform_work_group_size: 1
    .uses_dynamic_stack: false
    .vgpr_count:     74
    .vgpr_spill_count: 0
    .wavefront_size: 32
    .workgroup_processor_mode: 1
  - .args:
      - .address_space:  global
        .offset:         0
        .size:           8
        .value_kind:     global_buffer
      - .address_space:  global
        .offset:         8
        .size:           8
        .value_kind:     global_buffer
      - .offset:         16
        .size:           1
        .value_kind:     by_value
    .group_segment_fixed_size: 4100
    .kernarg_segment_align: 8
    .kernarg_segment_size: 20
    .language:       OpenCL C
    .language_version:
      - 2
      - 0
    .max_flat_workgroup_size: 128
    .name:           _Z17sort_pairs_kernelIiLj128ELj8EN10test_utils4lessELj10EEvPKT_PS2_T2_
    .private_segment_fixed_size: 0
    .sgpr_count:     54
    .sgpr_spill_count: 0
    .symbol:         _Z17sort_pairs_kernelIiLj128ELj8EN10test_utils4lessELj10EEvPKT_PS2_T2_.kd
    .uniform_work_group_size: 1
    .uses_dynamic_stack: false
    .vgpr_count:     94
    .vgpr_spill_count: 0
    .wavefront_size: 32
    .workgroup_processor_mode: 1
  - .args:
      - .address_space:  global
        .offset:         0
        .size:           8
        .value_kind:     global_buffer
      - .address_space:  global
        .offset:         8
        .size:           8
        .value_kind:     global_buffer
      - .offset:         16
        .size:           1
        .value_kind:     by_value
    .group_segment_fixed_size: 1028
    .kernarg_segment_align: 8
    .kernarg_segment_size: 20
    .language:       OpenCL C
    .language_version:
      - 2
      - 0
    .max_flat_workgroup_size: 256
    .name:           _Z16sort_keys_kernelIiLj256ELj1EN10test_utils4lessELj10EEvPKT_PS2_T2_
    .private_segment_fixed_size: 0
    .sgpr_count:     18
    .sgpr_spill_count: 0
    .symbol:         _Z16sort_keys_kernelIiLj256ELj1EN10test_utils4lessELj10EEvPKT_PS2_T2_.kd
    .uniform_work_group_size: 1
    .uses_dynamic_stack: false
    .vgpr_count:     61
    .vgpr_spill_count: 0
    .wavefront_size: 32
    .workgroup_processor_mode: 1
  - .args:
      - .address_space:  global
        .offset:         0
        .size:           8
        .value_kind:     global_buffer
      - .address_space:  global
        .offset:         8
        .size:           8
        .value_kind:     global_buffer
      - .offset:         16
        .size:           1
        .value_kind:     by_value
    .group_segment_fixed_size: 1028
    .kernarg_segment_align: 8
    .kernarg_segment_size: 20
    .language:       OpenCL C
    .language_version:
      - 2
      - 0
    .max_flat_workgroup_size: 256
    .name:           _Z17sort_pairs_kernelIiLj256ELj1EN10test_utils4lessELj10EEvPKT_PS2_T2_
    .private_segment_fixed_size: 0
    .sgpr_count:     18
    .sgpr_spill_count: 0
    .symbol:         _Z17sort_pairs_kernelIiLj256ELj1EN10test_utils4lessELj10EEvPKT_PS2_T2_.kd
    .uniform_work_group_size: 1
    .uses_dynamic_stack: false
    .vgpr_count:     74
    .vgpr_spill_count: 0
    .wavefront_size: 32
    .workgroup_processor_mode: 1
  - .args:
      - .address_space:  global
        .offset:         0
        .size:           8
        .value_kind:     global_buffer
      - .address_space:  global
        .offset:         8
        .size:           8
        .value_kind:     global_buffer
      - .offset:         16
        .size:           1
        .value_kind:     by_value
    .group_segment_fixed_size: 2052
    .kernarg_segment_align: 8
    .kernarg_segment_size: 20
    .language:       OpenCL C
    .language_version:
      - 2
      - 0
    .max_flat_workgroup_size: 256
    .name:           _Z16sort_keys_kernelIiLj256ELj2EN10test_utils4lessELj10EEvPKT_PS2_T2_
    .private_segment_fixed_size: 0
    .sgpr_count:     20
    .sgpr_spill_count: 0
    .symbol:         _Z16sort_keys_kernelIiLj256ELj2EN10test_utils4lessELj10EEvPKT_PS2_T2_.kd
    .uniform_work_group_size: 1
    .uses_dynamic_stack: false
    .vgpr_count:     70
    .vgpr_spill_count: 0
    .wavefront_size: 32
    .workgroup_processor_mode: 1
  - .args:
      - .address_space:  global
        .offset:         0
        .size:           8
        .value_kind:     global_buffer
      - .address_space:  global
        .offset:         8
        .size:           8
        .value_kind:     global_buffer
      - .offset:         16
        .size:           1
        .value_kind:     by_value
    .group_segment_fixed_size: 2052
    .kernarg_segment_align: 8
    .kernarg_segment_size: 20
    .language:       OpenCL C
    .language_version:
      - 2
      - 0
    .max_flat_workgroup_size: 256
    .name:           _Z17sort_pairs_kernelIiLj256ELj2EN10test_utils4lessELj10EEvPKT_PS2_T2_
    .private_segment_fixed_size: 0
    .sgpr_count:     22
    .sgpr_spill_count: 0
    .symbol:         _Z17sort_pairs_kernelIiLj256ELj2EN10test_utils4lessELj10EEvPKT_PS2_T2_.kd
    .uniform_work_group_size: 1
    .uses_dynamic_stack: false
    .vgpr_count:     77
    .vgpr_spill_count: 0
    .wavefront_size: 32
    .workgroup_processor_mode: 1
  - .args:
      - .address_space:  global
        .offset:         0
        .size:           8
        .value_kind:     global_buffer
      - .address_space:  global
        .offset:         8
        .size:           8
        .value_kind:     global_buffer
      - .offset:         16
        .size:           1
        .value_kind:     by_value
    .group_segment_fixed_size: 3076
    .kernarg_segment_align: 8
    .kernarg_segment_size: 20
    .language:       OpenCL C
    .language_version:
      - 2
      - 0
    .max_flat_workgroup_size: 256
    .name:           _Z16sort_keys_kernelIiLj256ELj3EN10test_utils4lessELj10EEvPKT_PS2_T2_
    .private_segment_fixed_size: 0
    .sgpr_count:     22
    .sgpr_spill_count: 0
    .symbol:         _Z16sort_keys_kernelIiLj256ELj3EN10test_utils4lessELj10EEvPKT_PS2_T2_.kd
    .uniform_work_group_size: 1
    .uses_dynamic_stack: false
    .vgpr_count:     80
    .vgpr_spill_count: 0
    .wavefront_size: 32
    .workgroup_processor_mode: 1
  - .args:
      - .address_space:  global
        .offset:         0
        .size:           8
        .value_kind:     global_buffer
      - .address_space:  global
        .offset:         8
        .size:           8
        .value_kind:     global_buffer
      - .offset:         16
        .size:           1
        .value_kind:     by_value
    .group_segment_fixed_size: 3076
    .kernarg_segment_align: 8
    .kernarg_segment_size: 20
    .language:       OpenCL C
    .language_version:
      - 2
      - 0
    .max_flat_workgroup_size: 256
    .name:           _Z17sort_pairs_kernelIiLj256ELj3EN10test_utils4lessELj10EEvPKT_PS2_T2_
    .private_segment_fixed_size: 0
    .sgpr_count:     22
    .sgpr_spill_count: 0
    .symbol:         _Z17sort_pairs_kernelIiLj256ELj3EN10test_utils4lessELj10EEvPKT_PS2_T2_.kd
    .uniform_work_group_size: 1
    .uses_dynamic_stack: false
    .vgpr_count:     88
    .vgpr_spill_count: 0
    .wavefront_size: 32
    .workgroup_processor_mode: 1
  - .args:
      - .address_space:  global
        .offset:         0
        .size:           8
        .value_kind:     global_buffer
      - .address_space:  global
        .offset:         8
        .size:           8
        .value_kind:     global_buffer
      - .offset:         16
        .size:           1
        .value_kind:     by_value
    .group_segment_fixed_size: 4100
    .kernarg_segment_align: 8
    .kernarg_segment_size: 20
    .language:       OpenCL C
    .language_version:
      - 2
      - 0
    .max_flat_workgroup_size: 256
    .name:           _Z16sort_keys_kernelIiLj256ELj4EN10test_utils4lessELj10EEvPKT_PS2_T2_
    .private_segment_fixed_size: 0
    .sgpr_count:     22
    .sgpr_spill_count: 0
    .symbol:         _Z16sort_keys_kernelIiLj256ELj4EN10test_utils4lessELj10EEvPKT_PS2_T2_.kd
    .uniform_work_group_size: 1
    .uses_dynamic_stack: false
    .vgpr_count:     74
    .vgpr_spill_count: 0
    .wavefront_size: 32
    .workgroup_processor_mode: 1
  - .args:
      - .address_space:  global
        .offset:         0
        .size:           8
        .value_kind:     global_buffer
      - .address_space:  global
        .offset:         8
        .size:           8
        .value_kind:     global_buffer
      - .offset:         16
        .size:           1
        .value_kind:     by_value
    .group_segment_fixed_size: 4100
    .kernarg_segment_align: 8
    .kernarg_segment_size: 20
    .language:       OpenCL C
    .language_version:
      - 2
      - 0
    .max_flat_workgroup_size: 256
    .name:           _Z17sort_pairs_kernelIiLj256ELj4EN10test_utils4lessELj10EEvPKT_PS2_T2_
    .private_segment_fixed_size: 0
    .sgpr_count:     26
    .sgpr_spill_count: 0
    .symbol:         _Z17sort_pairs_kernelIiLj256ELj4EN10test_utils4lessELj10EEvPKT_PS2_T2_.kd
    .uniform_work_group_size: 1
    .uses_dynamic_stack: false
    .vgpr_count:     84
    .vgpr_spill_count: 0
    .wavefront_size: 32
    .workgroup_processor_mode: 1
  - .args:
      - .address_space:  global
        .offset:         0
        .size:           8
        .value_kind:     global_buffer
      - .address_space:  global
        .offset:         8
        .size:           8
        .value_kind:     global_buffer
      - .offset:         16
        .size:           1
        .value_kind:     by_value
    .group_segment_fixed_size: 8196
    .kernarg_segment_align: 8
    .kernarg_segment_size: 20
    .language:       OpenCL C
    .language_version:
      - 2
      - 0
    .max_flat_workgroup_size: 256
    .name:           _Z16sort_keys_kernelIiLj256ELj8EN10test_utils4lessELj10EEvPKT_PS2_T2_
    .private_segment_fixed_size: 0
    .sgpr_count:     26
    .sgpr_spill_count: 0
    .symbol:         _Z16sort_keys_kernelIiLj256ELj8EN10test_utils4lessELj10EEvPKT_PS2_T2_.kd
    .uniform_work_group_size: 1
    .uses_dynamic_stack: false
    .vgpr_count:     82
    .vgpr_spill_count: 0
    .wavefront_size: 32
    .workgroup_processor_mode: 1
  - .args:
      - .address_space:  global
        .offset:         0
        .size:           8
        .value_kind:     global_buffer
      - .address_space:  global
        .offset:         8
        .size:           8
        .value_kind:     global_buffer
      - .offset:         16
        .size:           1
        .value_kind:     by_value
    .group_segment_fixed_size: 8196
    .kernarg_segment_align: 8
    .kernarg_segment_size: 20
    .language:       OpenCL C
    .language_version:
      - 2
      - 0
    .max_flat_workgroup_size: 256
    .name:           _Z17sort_pairs_kernelIiLj256ELj8EN10test_utils4lessELj10EEvPKT_PS2_T2_
    .private_segment_fixed_size: 0
    .sgpr_count:     54
    .sgpr_spill_count: 0
    .symbol:         _Z17sort_pairs_kernelIiLj256ELj8EN10test_utils4lessELj10EEvPKT_PS2_T2_.kd
    .uniform_work_group_size: 1
    .uses_dynamic_stack: false
    .vgpr_count:     102
    .vgpr_spill_count: 0
    .wavefront_size: 32
    .workgroup_processor_mode: 1
  - .args:
      - .address_space:  global
        .offset:         0
        .size:           8
        .value_kind:     global_buffer
      - .address_space:  global
        .offset:         8
        .size:           8
        .value_kind:     global_buffer
      - .offset:         16
        .size:           1
        .value_kind:     by_value
    .group_segment_fixed_size: 2052
    .kernarg_segment_align: 8
    .kernarg_segment_size: 20
    .language:       OpenCL C
    .language_version:
      - 2
      - 0
    .max_flat_workgroup_size: 512
    .name:           _Z16sort_keys_kernelIiLj512ELj1EN10test_utils4lessELj10EEvPKT_PS2_T2_
    .private_segment_fixed_size: 0
    .sgpr_count:     20
    .sgpr_spill_count: 0
    .symbol:         _Z16sort_keys_kernelIiLj512ELj1EN10test_utils4lessELj10EEvPKT_PS2_T2_.kd
    .uniform_work_group_size: 1
    .uses_dynamic_stack: false
    .vgpr_count:     70
    .vgpr_spill_count: 0
    .wavefront_size: 32
    .workgroup_processor_mode: 1
  - .args:
      - .address_space:  global
        .offset:         0
        .size:           8
        .value_kind:     global_buffer
      - .address_space:  global
        .offset:         8
        .size:           8
        .value_kind:     global_buffer
      - .offset:         16
        .size:           1
        .value_kind:     by_value
    .group_segment_fixed_size: 2052
    .kernarg_segment_align: 8
    .kernarg_segment_size: 20
    .language:       OpenCL C
    .language_version:
      - 2
      - 0
    .max_flat_workgroup_size: 512
    .name:           _Z17sort_pairs_kernelIiLj512ELj1EN10test_utils4lessELj10EEvPKT_PS2_T2_
    .private_segment_fixed_size: 0
    .sgpr_count:     20
    .sgpr_spill_count: 0
    .symbol:         _Z17sort_pairs_kernelIiLj512ELj1EN10test_utils4lessELj10EEvPKT_PS2_T2_.kd
    .uniform_work_group_size: 1
    .uses_dynamic_stack: false
    .vgpr_count:     84
    .vgpr_spill_count: 0
    .wavefront_size: 32
    .workgroup_processor_mode: 1
  - .args:
      - .address_space:  global
        .offset:         0
        .size:           8
        .value_kind:     global_buffer
      - .address_space:  global
        .offset:         8
        .size:           8
        .value_kind:     global_buffer
      - .offset:         16
        .size:           1
        .value_kind:     by_value
    .group_segment_fixed_size: 4100
    .kernarg_segment_align: 8
    .kernarg_segment_size: 20
    .language:       OpenCL C
    .language_version:
      - 2
      - 0
    .max_flat_workgroup_size: 512
    .name:           _Z16sort_keys_kernelIiLj512ELj2EN10test_utils4lessELj10EEvPKT_PS2_T2_
    .private_segment_fixed_size: 0
    .sgpr_count:     22
    .sgpr_spill_count: 0
    .symbol:         _Z16sort_keys_kernelIiLj512ELj2EN10test_utils4lessELj10EEvPKT_PS2_T2_.kd
    .uniform_work_group_size: 1
    .uses_dynamic_stack: false
    .vgpr_count:     78
    .vgpr_spill_count: 0
    .wavefront_size: 32
    .workgroup_processor_mode: 1
  - .args:
      - .address_space:  global
        .offset:         0
        .size:           8
        .value_kind:     global_buffer
      - .address_space:  global
        .offset:         8
        .size:           8
        .value_kind:     global_buffer
      - .offset:         16
        .size:           1
        .value_kind:     by_value
    .group_segment_fixed_size: 4100
    .kernarg_segment_align: 8
    .kernarg_segment_size: 20
    .language:       OpenCL C
    .language_version:
      - 2
      - 0
    .max_flat_workgroup_size: 512
    .name:           _Z17sort_pairs_kernelIiLj512ELj2EN10test_utils4lessELj10EEvPKT_PS2_T2_
    .private_segment_fixed_size: 0
    .sgpr_count:     22
    .sgpr_spill_count: 0
    .symbol:         _Z17sort_pairs_kernelIiLj512ELj2EN10test_utils4lessELj10EEvPKT_PS2_T2_.kd
    .uniform_work_group_size: 1
    .uses_dynamic_stack: false
    .vgpr_count:     87
    .vgpr_spill_count: 0
    .wavefront_size: 32
    .workgroup_processor_mode: 1
  - .args:
      - .address_space:  global
        .offset:         0
        .size:           8
        .value_kind:     global_buffer
      - .address_space:  global
        .offset:         8
        .size:           8
        .value_kind:     global_buffer
      - .offset:         16
        .size:           1
        .value_kind:     by_value
    .group_segment_fixed_size: 6148
    .kernarg_segment_align: 8
    .kernarg_segment_size: 20
    .language:       OpenCL C
    .language_version:
      - 2
      - 0
    .max_flat_workgroup_size: 512
    .name:           _Z16sort_keys_kernelIiLj512ELj3EN10test_utils4lessELj10EEvPKT_PS2_T2_
    .private_segment_fixed_size: 0
    .sgpr_count:     22
    .sgpr_spill_count: 0
    .symbol:         _Z16sort_keys_kernelIiLj512ELj3EN10test_utils4lessELj10EEvPKT_PS2_T2_.kd
    .uniform_work_group_size: 1
    .uses_dynamic_stack: false
    .vgpr_count:     90
    .vgpr_spill_count: 0
    .wavefront_size: 32
    .workgroup_processor_mode: 1
  - .args:
      - .address_space:  global
        .offset:         0
        .size:           8
        .value_kind:     global_buffer
      - .address_space:  global
        .offset:         8
        .size:           8
        .value_kind:     global_buffer
      - .offset:         16
        .size:           1
        .value_kind:     by_value
    .group_segment_fixed_size: 6148
    .kernarg_segment_align: 8
    .kernarg_segment_size: 20
    .language:       OpenCL C
    .language_version:
      - 2
      - 0
    .max_flat_workgroup_size: 512
    .name:           _Z17sort_pairs_kernelIiLj512ELj3EN10test_utils4lessELj10EEvPKT_PS2_T2_
    .private_segment_fixed_size: 0
    .sgpr_count:     24
    .sgpr_spill_count: 0
    .symbol:         _Z17sort_pairs_kernelIiLj512ELj3EN10test_utils4lessELj10EEvPKT_PS2_T2_.kd
    .uniform_work_group_size: 1
    .uses_dynamic_stack: false
    .vgpr_count:     96
    .vgpr_spill_count: 0
    .wavefront_size: 32
    .workgroup_processor_mode: 1
  - .args:
      - .address_space:  global
        .offset:         0
        .size:           8
        .value_kind:     global_buffer
      - .address_space:  global
        .offset:         8
        .size:           8
        .value_kind:     global_buffer
      - .offset:         16
        .size:           1
        .value_kind:     by_value
    .group_segment_fixed_size: 8196
    .kernarg_segment_align: 8
    .kernarg_segment_size: 20
    .language:       OpenCL C
    .language_version:
      - 2
      - 0
    .max_flat_workgroup_size: 512
    .name:           _Z16sort_keys_kernelIiLj512ELj4EN10test_utils4lessELj10EEvPKT_PS2_T2_
    .private_segment_fixed_size: 0
    .sgpr_count:     22
    .sgpr_spill_count: 0
    .symbol:         _Z16sort_keys_kernelIiLj512ELj4EN10test_utils4lessELj10EEvPKT_PS2_T2_.kd
    .uniform_work_group_size: 1
    .uses_dynamic_stack: false
    .vgpr_count:     82
    .vgpr_spill_count: 0
    .wavefront_size: 32
    .workgroup_processor_mode: 1
  - .args:
      - .address_space:  global
        .offset:         0
        .size:           8
        .value_kind:     global_buffer
      - .address_space:  global
        .offset:         8
        .size:           8
        .value_kind:     global_buffer
      - .offset:         16
        .size:           1
        .value_kind:     by_value
    .group_segment_fixed_size: 8196
    .kernarg_segment_align: 8
    .kernarg_segment_size: 20
    .language:       OpenCL C
    .language_version:
      - 2
      - 0
    .max_flat_workgroup_size: 512
    .name:           _Z17sort_pairs_kernelIiLj512ELj4EN10test_utils4lessELj10EEvPKT_PS2_T2_
    .private_segment_fixed_size: 0
    .sgpr_count:     28
    .sgpr_spill_count: 0
    .symbol:         _Z17sort_pairs_kernelIiLj512ELj4EN10test_utils4lessELj10EEvPKT_PS2_T2_.kd
    .uniform_work_group_size: 1
    .uses_dynamic_stack: false
    .vgpr_count:     92
    .vgpr_spill_count: 0
    .wavefront_size: 32
    .workgroup_processor_mode: 1
  - .args:
      - .address_space:  global
        .offset:         0
        .size:           8
        .value_kind:     global_buffer
      - .address_space:  global
        .offset:         8
        .size:           8
        .value_kind:     global_buffer
      - .offset:         16
        .size:           1
        .value_kind:     by_value
    .group_segment_fixed_size: 16388
    .kernarg_segment_align: 8
    .kernarg_segment_size: 20
    .language:       OpenCL C
    .language_version:
      - 2
      - 0
    .max_flat_workgroup_size: 512
    .name:           _Z16sort_keys_kernelIiLj512ELj8EN10test_utils4lessELj10EEvPKT_PS2_T2_
    .private_segment_fixed_size: 0
    .sgpr_count:     26
    .sgpr_spill_count: 0
    .symbol:         _Z16sort_keys_kernelIiLj512ELj8EN10test_utils4lessELj10EEvPKT_PS2_T2_.kd
    .uniform_work_group_size: 1
    .uses_dynamic_stack: false
    .vgpr_count:     90
    .vgpr_spill_count: 0
    .wavefront_size: 32
    .workgroup_processor_mode: 1
  - .args:
      - .address_space:  global
        .offset:         0
        .size:           8
        .value_kind:     global_buffer
      - .address_space:  global
        .offset:         8
        .size:           8
        .value_kind:     global_buffer
      - .offset:         16
        .size:           1
        .value_kind:     by_value
    .group_segment_fixed_size: 16388
    .kernarg_segment_align: 8
    .kernarg_segment_size: 20
    .language:       OpenCL C
    .language_version:
      - 2
      - 0
    .max_flat_workgroup_size: 512
    .name:           _Z17sort_pairs_kernelIiLj512ELj8EN10test_utils4lessELj10EEvPKT_PS2_T2_
    .private_segment_fixed_size: 0
    .sgpr_count:     54
    .sgpr_spill_count: 0
    .symbol:         _Z17sort_pairs_kernelIiLj512ELj8EN10test_utils4lessELj10EEvPKT_PS2_T2_.kd
    .uniform_work_group_size: 1
    .uses_dynamic_stack: false
    .vgpr_count:     110
    .vgpr_spill_count: 0
    .wavefront_size: 32
    .workgroup_processor_mode: 1
  - .args:
      - .address_space:  global
        .offset:         0
        .size:           8
        .value_kind:     global_buffer
      - .address_space:  global
        .offset:         8
        .size:           8
        .value_kind:     global_buffer
      - .offset:         16
        .size:           1
        .value_kind:     by_value
    .group_segment_fixed_size: 65
    .kernarg_segment_align: 8
    .kernarg_segment_size: 20
    .language:       OpenCL C
    .language_version:
      - 2
      - 0
    .max_flat_workgroup_size: 64
    .name:           _Z16sort_keys_kernelIaLj64ELj1EN10test_utils4lessELj10EEvPKT_PS2_T2_
    .private_segment_fixed_size: 0
    .sgpr_count:     16
    .sgpr_spill_count: 0
    .symbol:         _Z16sort_keys_kernelIaLj64ELj1EN10test_utils4lessELj10EEvPKT_PS2_T2_.kd
    .uniform_work_group_size: 1
    .uses_dynamic_stack: false
    .vgpr_count:     40
    .vgpr_spill_count: 0
    .wavefront_size: 32
    .workgroup_processor_mode: 1
  - .args:
      - .address_space:  global
        .offset:         0
        .size:           8
        .value_kind:     global_buffer
      - .address_space:  global
        .offset:         8
        .size:           8
        .value_kind:     global_buffer
      - .offset:         16
        .size:           1
        .value_kind:     by_value
    .group_segment_fixed_size: 65
    .kernarg_segment_align: 8
    .kernarg_segment_size: 20
    .language:       OpenCL C
    .language_version:
      - 2
      - 0
    .max_flat_workgroup_size: 64
    .name:           _Z17sort_pairs_kernelIaLj64ELj1EN10test_utils4lessELj10EEvPKT_PS2_T2_
    .private_segment_fixed_size: 0
    .sgpr_count:     16
    .sgpr_spill_count: 0
    .symbol:         _Z17sort_pairs_kernelIaLj64ELj1EN10test_utils4lessELj10EEvPKT_PS2_T2_.kd
    .uniform_work_group_size: 1
    .uses_dynamic_stack: false
    .vgpr_count:     42
    .vgpr_spill_count: 0
    .wavefront_size: 32
    .workgroup_processor_mode: 1
  - .args:
      - .address_space:  global
        .offset:         0
        .size:           8
        .value_kind:     global_buffer
      - .address_space:  global
        .offset:         8
        .size:           8
        .value_kind:     global_buffer
      - .offset:         16
        .size:           1
        .value_kind:     by_value
    .group_segment_fixed_size: 129
    .kernarg_segment_align: 8
    .kernarg_segment_size: 20
    .language:       OpenCL C
    .language_version:
      - 2
      - 0
    .max_flat_workgroup_size: 64
    .name:           _Z16sort_keys_kernelIaLj64ELj2EN10test_utils4lessELj10EEvPKT_PS2_T2_
    .private_segment_fixed_size: 0
    .sgpr_count:     16
    .sgpr_spill_count: 0
    .symbol:         _Z16sort_keys_kernelIaLj64ELj2EN10test_utils4lessELj10EEvPKT_PS2_T2_.kd
    .uniform_work_group_size: 1
    .uses_dynamic_stack: false
    .vgpr_count:     45
    .vgpr_spill_count: 0
    .wavefront_size: 32
    .workgroup_processor_mode: 1
  - .args:
      - .address_space:  global
        .offset:         0
        .size:           8
        .value_kind:     global_buffer
      - .address_space:  global
        .offset:         8
        .size:           8
        .value_kind:     global_buffer
      - .offset:         16
        .size:           1
        .value_kind:     by_value
    .group_segment_fixed_size: 129
    .kernarg_segment_align: 8
    .kernarg_segment_size: 20
    .language:       OpenCL C
    .language_version:
      - 2
      - 0
    .max_flat_workgroup_size: 64
    .name:           _Z17sort_pairs_kernelIaLj64ELj2EN10test_utils4lessELj10EEvPKT_PS2_T2_
    .private_segment_fixed_size: 0
    .sgpr_count:     16
    .sgpr_spill_count: 0
    .symbol:         _Z17sort_pairs_kernelIaLj64ELj2EN10test_utils4lessELj10EEvPKT_PS2_T2_.kd
    .uniform_work_group_size: 1
    .uses_dynamic_stack: false
    .vgpr_count:     48
    .vgpr_spill_count: 0
    .wavefront_size: 32
    .workgroup_processor_mode: 1
  - .args:
      - .address_space:  global
        .offset:         0
        .size:           8
        .value_kind:     global_buffer
      - .address_space:  global
        .offset:         8
        .size:           8
        .value_kind:     global_buffer
      - .offset:         16
        .size:           1
        .value_kind:     by_value
    .group_segment_fixed_size: 193
    .kernarg_segment_align: 8
    .kernarg_segment_size: 20
    .language:       OpenCL C
    .language_version:
      - 2
      - 0
    .max_flat_workgroup_size: 64
    .name:           _Z16sort_keys_kernelIaLj64ELj3EN10test_utils4lessELj10EEvPKT_PS2_T2_
    .private_segment_fixed_size: 0
    .sgpr_count:     16
    .sgpr_spill_count: 0
    .symbol:         _Z16sort_keys_kernelIaLj64ELj3EN10test_utils4lessELj10EEvPKT_PS2_T2_.kd
    .uniform_work_group_size: 1
    .uses_dynamic_stack: false
    .vgpr_count:     54
    .vgpr_spill_count: 0
    .wavefront_size: 32
    .workgroup_processor_mode: 1
  - .args:
      - .address_space:  global
        .offset:         0
        .size:           8
        .value_kind:     global_buffer
      - .address_space:  global
        .offset:         8
        .size:           8
        .value_kind:     global_buffer
      - .offset:         16
        .size:           1
        .value_kind:     by_value
    .group_segment_fixed_size: 193
    .kernarg_segment_align: 8
    .kernarg_segment_size: 20
    .language:       OpenCL C
    .language_version:
      - 2
      - 0
    .max_flat_workgroup_size: 64
    .name:           _Z17sort_pairs_kernelIaLj64ELj3EN10test_utils4lessELj10EEvPKT_PS2_T2_
    .private_segment_fixed_size: 0
    .sgpr_count:     20
    .sgpr_spill_count: 0
    .symbol:         _Z17sort_pairs_kernelIaLj64ELj3EN10test_utils4lessELj10EEvPKT_PS2_T2_.kd
    .uniform_work_group_size: 1
    .uses_dynamic_stack: false
    .vgpr_count:     57
    .vgpr_spill_count: 0
    .wavefront_size: 32
    .workgroup_processor_mode: 1
  - .args:
      - .address_space:  global
        .offset:         0
        .size:           8
        .value_kind:     global_buffer
      - .address_space:  global
        .offset:         8
        .size:           8
        .value_kind:     global_buffer
      - .offset:         16
        .size:           1
        .value_kind:     by_value
    .group_segment_fixed_size: 257
    .kernarg_segment_align: 8
    .kernarg_segment_size: 20
    .language:       OpenCL C
    .language_version:
      - 2
      - 0
    .max_flat_workgroup_size: 64
    .name:           _Z16sort_keys_kernelIaLj64ELj4EN10test_utils4lessELj10EEvPKT_PS2_T2_
    .private_segment_fixed_size: 0
    .sgpr_count:     20
    .sgpr_spill_count: 0
    .symbol:         _Z16sort_keys_kernelIaLj64ELj4EN10test_utils4lessELj10EEvPKT_PS2_T2_.kd
    .uniform_work_group_size: 1
    .uses_dynamic_stack: false
    .vgpr_count:     49
    .vgpr_spill_count: 0
    .wavefront_size: 32
    .workgroup_processor_mode: 1
  - .args:
      - .address_space:  global
        .offset:         0
        .size:           8
        .value_kind:     global_buffer
      - .address_space:  global
        .offset:         8
        .size:           8
        .value_kind:     global_buffer
      - .offset:         16
        .size:           1
        .value_kind:     by_value
    .group_segment_fixed_size: 257
    .kernarg_segment_align: 8
    .kernarg_segment_size: 20
    .language:       OpenCL C
    .language_version:
      - 2
      - 0
    .max_flat_workgroup_size: 64
    .name:           _Z17sort_pairs_kernelIaLj64ELj4EN10test_utils4lessELj10EEvPKT_PS2_T2_
    .private_segment_fixed_size: 0
    .sgpr_count:     24
    .sgpr_spill_count: 0
    .symbol:         _Z17sort_pairs_kernelIaLj64ELj4EN10test_utils4lessELj10EEvPKT_PS2_T2_.kd
    .uniform_work_group_size: 1
    .uses_dynamic_stack: false
    .vgpr_count:     58
    .vgpr_spill_count: 0
    .wavefront_size: 32
    .workgroup_processor_mode: 1
  - .args:
      - .address_space:  global
        .offset:         0
        .size:           8
        .value_kind:     global_buffer
      - .address_space:  global
        .offset:         8
        .size:           8
        .value_kind:     global_buffer
      - .offset:         16
        .size:           1
        .value_kind:     by_value
    .group_segment_fixed_size: 513
    .kernarg_segment_align: 8
    .kernarg_segment_size: 20
    .language:       OpenCL C
    .language_version:
      - 2
      - 0
    .max_flat_workgroup_size: 64
    .name:           _Z16sort_keys_kernelIaLj64ELj8EN10test_utils4lessELj10EEvPKT_PS2_T2_
    .private_segment_fixed_size: 0
    .sgpr_count:     21
    .sgpr_spill_count: 0
    .symbol:         _Z16sort_keys_kernelIaLj64ELj8EN10test_utils4lessELj10EEvPKT_PS2_T2_.kd
    .uniform_work_group_size: 1
    .uses_dynamic_stack: false
    .vgpr_count:     61
    .vgpr_spill_count: 0
    .wavefront_size: 32
    .workgroup_processor_mode: 1
  - .args:
      - .address_space:  global
        .offset:         0
        .size:           8
        .value_kind:     global_buffer
      - .address_space:  global
        .offset:         8
        .size:           8
        .value_kind:     global_buffer
      - .offset:         16
        .size:           1
        .value_kind:     by_value
    .group_segment_fixed_size: 513
    .kernarg_segment_align: 8
    .kernarg_segment_size: 20
    .language:       OpenCL C
    .language_version:
      - 2
      - 0
    .max_flat_workgroup_size: 64
    .name:           _Z17sort_pairs_kernelIaLj64ELj8EN10test_utils4lessELj10EEvPKT_PS2_T2_
    .private_segment_fixed_size: 0
    .sgpr_count:     52
    .sgpr_spill_count: 0
    .symbol:         _Z17sort_pairs_kernelIaLj64ELj8EN10test_utils4lessELj10EEvPKT_PS2_T2_.kd
    .uniform_work_group_size: 1
    .uses_dynamic_stack: false
    .vgpr_count:     75
    .vgpr_spill_count: 0
    .wavefront_size: 32
    .workgroup_processor_mode: 1
  - .args:
      - .address_space:  global
        .offset:         0
        .size:           8
        .value_kind:     global_buffer
      - .address_space:  global
        .offset:         8
        .size:           8
        .value_kind:     global_buffer
      - .offset:         16
        .size:           1
        .value_kind:     by_value
    .group_segment_fixed_size: 129
    .kernarg_segment_align: 8
    .kernarg_segment_size: 20
    .language:       OpenCL C
    .language_version:
      - 2
      - 0
    .max_flat_workgroup_size: 128
    .name:           _Z16sort_keys_kernelIaLj128ELj1EN10test_utils4lessELj10EEvPKT_PS2_T2_
    .private_segment_fixed_size: 0
    .sgpr_count:     16
    .sgpr_spill_count: 0
    .symbol:         _Z16sort_keys_kernelIaLj128ELj1EN10test_utils4lessELj10EEvPKT_PS2_T2_.kd
    .uniform_work_group_size: 1
    .uses_dynamic_stack: false
    .vgpr_count:     46
    .vgpr_spill_count: 0
    .wavefront_size: 32
    .workgroup_processor_mode: 1
  - .args:
      - .address_space:  global
        .offset:         0
        .size:           8
        .value_kind:     global_buffer
      - .address_space:  global
        .offset:         8
        .size:           8
        .value_kind:     global_buffer
      - .offset:         16
        .size:           1
        .value_kind:     by_value
    .group_segment_fixed_size: 129
    .kernarg_segment_align: 8
    .kernarg_segment_size: 20
    .language:       OpenCL C
    .language_version:
      - 2
      - 0
    .max_flat_workgroup_size: 128
    .name:           _Z17sort_pairs_kernelIaLj128ELj1EN10test_utils4lessELj10EEvPKT_PS2_T2_
    .private_segment_fixed_size: 0
    .sgpr_count:     16
    .sgpr_spill_count: 0
    .symbol:         _Z17sort_pairs_kernelIaLj128ELj1EN10test_utils4lessELj10EEvPKT_PS2_T2_.kd
    .uniform_work_group_size: 1
    .uses_dynamic_stack: false
    .vgpr_count:     50
    .vgpr_spill_count: 0
    .wavefront_size: 32
    .workgroup_processor_mode: 1
  - .args:
      - .address_space:  global
        .offset:         0
        .size:           8
        .value_kind:     global_buffer
      - .address_space:  global
        .offset:         8
        .size:           8
        .value_kind:     global_buffer
      - .offset:         16
        .size:           1
        .value_kind:     by_value
    .group_segment_fixed_size: 257
    .kernarg_segment_align: 8
    .kernarg_segment_size: 20
    .language:       OpenCL C
    .language_version:
      - 2
      - 0
    .max_flat_workgroup_size: 128
    .name:           _Z16sort_keys_kernelIaLj128ELj2EN10test_utils4lessELj10EEvPKT_PS2_T2_
    .private_segment_fixed_size: 0
    .sgpr_count:     17
    .sgpr_spill_count: 0
    .symbol:         _Z16sort_keys_kernelIaLj128ELj2EN10test_utils4lessELj10EEvPKT_PS2_T2_.kd
    .uniform_work_group_size: 1
    .uses_dynamic_stack: false
    .vgpr_count:     51
    .vgpr_spill_count: 0
    .wavefront_size: 32
    .workgroup_processor_mode: 1
  - .args:
      - .address_space:  global
        .offset:         0
        .size:           8
        .value_kind:     global_buffer
      - .address_space:  global
        .offset:         8
        .size:           8
        .value_kind:     global_buffer
      - .offset:         16
        .size:           1
        .value_kind:     by_value
    .group_segment_fixed_size: 257
    .kernarg_segment_align: 8
    .kernarg_segment_size: 20
    .language:       OpenCL C
    .language_version:
      - 2
      - 0
    .max_flat_workgroup_size: 128
    .name:           _Z17sort_pairs_kernelIaLj128ELj2EN10test_utils4lessELj10EEvPKT_PS2_T2_
    .private_segment_fixed_size: 0
    .sgpr_count:     17
    .sgpr_spill_count: 0
    .symbol:         _Z17sort_pairs_kernelIaLj128ELj2EN10test_utils4lessELj10EEvPKT_PS2_T2_.kd
    .uniform_work_group_size: 1
    .uses_dynamic_stack: false
    .vgpr_count:     54
    .vgpr_spill_count: 0
    .wavefront_size: 32
    .workgroup_processor_mode: 1
  - .args:
      - .address_space:  global
        .offset:         0
        .size:           8
        .value_kind:     global_buffer
      - .address_space:  global
        .offset:         8
        .size:           8
        .value_kind:     global_buffer
      - .offset:         16
        .size:           1
        .value_kind:     by_value
    .group_segment_fixed_size: 385
    .kernarg_segment_align: 8
    .kernarg_segment_size: 20
    .language:       OpenCL C
    .language_version:
      - 2
      - 0
    .max_flat_workgroup_size: 128
    .name:           _Z16sort_keys_kernelIaLj128ELj3EN10test_utils4lessELj10EEvPKT_PS2_T2_
    .private_segment_fixed_size: 0
    .sgpr_count:     17
    .sgpr_spill_count: 0
    .symbol:         _Z16sort_keys_kernelIaLj128ELj3EN10test_utils4lessELj10EEvPKT_PS2_T2_.kd
    .uniform_work_group_size: 1
    .uses_dynamic_stack: false
    .vgpr_count:     63
    .vgpr_spill_count: 0
    .wavefront_size: 32
    .workgroup_processor_mode: 1
  - .args:
      - .address_space:  global
        .offset:         0
        .size:           8
        .value_kind:     global_buffer
      - .address_space:  global
        .offset:         8
        .size:           8
        .value_kind:     global_buffer
      - .offset:         16
        .size:           1
        .value_kind:     by_value
    .group_segment_fixed_size: 385
    .kernarg_segment_align: 8
    .kernarg_segment_size: 20
    .language:       OpenCL C
    .language_version:
      - 2
      - 0
    .max_flat_workgroup_size: 128
    .name:           _Z17sort_pairs_kernelIaLj128ELj3EN10test_utils4lessELj10EEvPKT_PS2_T2_
    .private_segment_fixed_size: 0
    .sgpr_count:     20
    .sgpr_spill_count: 0
    .symbol:         _Z17sort_pairs_kernelIaLj128ELj3EN10test_utils4lessELj10EEvPKT_PS2_T2_.kd
    .uniform_work_group_size: 1
    .uses_dynamic_stack: false
    .vgpr_count:     64
    .vgpr_spill_count: 0
    .wavefront_size: 32
    .workgroup_processor_mode: 1
  - .args:
      - .address_space:  global
        .offset:         0
        .size:           8
        .value_kind:     global_buffer
      - .address_space:  global
        .offset:         8
        .size:           8
        .value_kind:     global_buffer
      - .offset:         16
        .size:           1
        .value_kind:     by_value
    .group_segment_fixed_size: 513
    .kernarg_segment_align: 8
    .kernarg_segment_size: 20
    .language:       OpenCL C
    .language_version:
      - 2
      - 0
    .max_flat_workgroup_size: 128
    .name:           _Z16sort_keys_kernelIaLj128ELj4EN10test_utils4lessELj10EEvPKT_PS2_T2_
    .private_segment_fixed_size: 0
    .sgpr_count:     20
    .sgpr_spill_count: 0
    .symbol:         _Z16sort_keys_kernelIaLj128ELj4EN10test_utils4lessELj10EEvPKT_PS2_T2_.kd
    .uniform_work_group_size: 1
    .uses_dynamic_stack: false
    .vgpr_count:     56
    .vgpr_spill_count: 0
    .wavefront_size: 32
    .workgroup_processor_mode: 1
  - .args:
      - .address_space:  global
        .offset:         0
        .size:           8
        .value_kind:     global_buffer
      - .address_space:  global
        .offset:         8
        .size:           8
        .value_kind:     global_buffer
      - .offset:         16
        .size:           1
        .value_kind:     by_value
    .group_segment_fixed_size: 513
    .kernarg_segment_align: 8
    .kernarg_segment_size: 20
    .language:       OpenCL C
    .language_version:
      - 2
      - 0
    .max_flat_workgroup_size: 128
    .name:           _Z17sort_pairs_kernelIaLj128ELj4EN10test_utils4lessELj10EEvPKT_PS2_T2_
    .private_segment_fixed_size: 0
    .sgpr_count:     24
    .sgpr_spill_count: 0
    .symbol:         _Z17sort_pairs_kernelIaLj128ELj4EN10test_utils4lessELj10EEvPKT_PS2_T2_.kd
    .uniform_work_group_size: 1
    .uses_dynamic_stack: false
    .vgpr_count:     64
    .vgpr_spill_count: 0
    .wavefront_size: 32
    .workgroup_processor_mode: 1
  - .args:
      - .address_space:  global
        .offset:         0
        .size:           8
        .value_kind:     global_buffer
      - .address_space:  global
        .offset:         8
        .size:           8
        .value_kind:     global_buffer
      - .offset:         16
        .size:           1
        .value_kind:     by_value
    .group_segment_fixed_size: 1025
    .kernarg_segment_align: 8
    .kernarg_segment_size: 20
    .language:       OpenCL C
    .language_version:
      - 2
      - 0
    .max_flat_workgroup_size: 128
    .name:           _Z16sort_keys_kernelIaLj128ELj8EN10test_utils4lessELj10EEvPKT_PS2_T2_
    .private_segment_fixed_size: 0
    .sgpr_count:     24
    .sgpr_spill_count: 0
    .symbol:         _Z16sort_keys_kernelIaLj128ELj8EN10test_utils4lessELj10EEvPKT_PS2_T2_.kd
    .uniform_work_group_size: 1
    .uses_dynamic_stack: false
    .vgpr_count:     67
    .vgpr_spill_count: 0
    .wavefront_size: 32
    .workgroup_processor_mode: 1
  - .args:
      - .address_space:  global
        .offset:         0
        .size:           8
        .value_kind:     global_buffer
      - .address_space:  global
        .offset:         8
        .size:           8
        .value_kind:     global_buffer
      - .offset:         16
        .size:           1
        .value_kind:     by_value
    .group_segment_fixed_size: 1025
    .kernarg_segment_align: 8
    .kernarg_segment_size: 20
    .language:       OpenCL C
    .language_version:
      - 2
      - 0
    .max_flat_workgroup_size: 128
    .name:           _Z17sort_pairs_kernelIaLj128ELj8EN10test_utils4lessELj10EEvPKT_PS2_T2_
    .private_segment_fixed_size: 0
    .sgpr_count:     52
    .sgpr_spill_count: 0
    .symbol:         _Z17sort_pairs_kernelIaLj128ELj8EN10test_utils4lessELj10EEvPKT_PS2_T2_.kd
    .uniform_work_group_size: 1
    .uses_dynamic_stack: false
    .vgpr_count:     81
    .vgpr_spill_count: 0
    .wavefront_size: 32
    .workgroup_processor_mode: 1
  - .args:
      - .address_space:  global
        .offset:         0
        .size:           8
        .value_kind:     global_buffer
      - .address_space:  global
        .offset:         8
        .size:           8
        .value_kind:     global_buffer
      - .offset:         16
        .size:           1
        .value_kind:     by_value
    .group_segment_fixed_size: 257
    .kernarg_segment_align: 8
    .kernarg_segment_size: 20
    .language:       OpenCL C
    .language_version:
      - 2
      - 0
    .max_flat_workgroup_size: 256
    .name:           _Z16sort_keys_kernelIaLj256ELj1EN10test_utils4lessELj10EEvPKT_PS2_T2_
    .private_segment_fixed_size: 0
    .sgpr_count:     17
    .sgpr_spill_count: 0
    .symbol:         _Z16sort_keys_kernelIaLj256ELj1EN10test_utils4lessELj10EEvPKT_PS2_T2_.kd
    .uniform_work_group_size: 1
    .uses_dynamic_stack: false
    .vgpr_count:     52
    .vgpr_spill_count: 0
    .wavefront_size: 32
    .workgroup_processor_mode: 1
  - .args:
      - .address_space:  global
        .offset:         0
        .size:           8
        .value_kind:     global_buffer
      - .address_space:  global
        .offset:         8
        .size:           8
        .value_kind:     global_buffer
      - .offset:         16
        .size:           1
        .value_kind:     by_value
    .group_segment_fixed_size: 257
    .kernarg_segment_align: 8
    .kernarg_segment_size: 20
    .language:       OpenCL C
    .language_version:
      - 2
      - 0
    .max_flat_workgroup_size: 256
    .name:           _Z17sort_pairs_kernelIaLj256ELj1EN10test_utils4lessELj10EEvPKT_PS2_T2_
    .private_segment_fixed_size: 0
    .sgpr_count:     17
    .sgpr_spill_count: 0
    .symbol:         _Z17sort_pairs_kernelIaLj256ELj1EN10test_utils4lessELj10EEvPKT_PS2_T2_.kd
    .uniform_work_group_size: 1
    .uses_dynamic_stack: false
    .vgpr_count:     58
    .vgpr_spill_count: 0
    .wavefront_size: 32
    .workgroup_processor_mode: 1
  - .args:
      - .address_space:  global
        .offset:         0
        .size:           8
        .value_kind:     global_buffer
      - .address_space:  global
        .offset:         8
        .size:           8
        .value_kind:     global_buffer
      - .offset:         16
        .size:           1
        .value_kind:     by_value
    .group_segment_fixed_size: 513
    .kernarg_segment_align: 8
    .kernarg_segment_size: 20
    .language:       OpenCL C
    .language_version:
      - 2
      - 0
    .max_flat_workgroup_size: 256
    .name:           _Z16sort_keys_kernelIaLj256ELj2EN10test_utils4lessELj10EEvPKT_PS2_T2_
    .private_segment_fixed_size: 0
    .sgpr_count:     20
    .sgpr_spill_count: 0
    .symbol:         _Z16sort_keys_kernelIaLj256ELj2EN10test_utils4lessELj10EEvPKT_PS2_T2_.kd
    .uniform_work_group_size: 1
    .uses_dynamic_stack: false
    .vgpr_count:     57
    .vgpr_spill_count: 0
    .wavefront_size: 32
    .workgroup_processor_mode: 1
  - .args:
      - .address_space:  global
        .offset:         0
        .size:           8
        .value_kind:     global_buffer
      - .address_space:  global
        .offset:         8
        .size:           8
        .value_kind:     global_buffer
      - .offset:         16
        .size:           1
        .value_kind:     by_value
    .group_segment_fixed_size: 513
    .kernarg_segment_align: 8
    .kernarg_segment_size: 20
    .language:       OpenCL C
    .language_version:
      - 2
      - 0
    .max_flat_workgroup_size: 256
    .name:           _Z17sort_pairs_kernelIaLj256ELj2EN10test_utils4lessELj10EEvPKT_PS2_T2_
    .private_segment_fixed_size: 0
    .sgpr_count:     20
    .sgpr_spill_count: 0
    .symbol:         _Z17sort_pairs_kernelIaLj256ELj2EN10test_utils4lessELj10EEvPKT_PS2_T2_.kd
    .uniform_work_group_size: 1
    .uses_dynamic_stack: false
    .vgpr_count:     62
    .vgpr_spill_count: 0
    .wavefront_size: 32
    .workgroup_processor_mode: 1
  - .args:
      - .address_space:  global
        .offset:         0
        .size:           8
        .value_kind:     global_buffer
      - .address_space:  global
        .offset:         8
        .size:           8
        .value_kind:     global_buffer
      - .offset:         16
        .size:           1
        .value_kind:     by_value
    .group_segment_fixed_size: 769
    .kernarg_segment_align: 8
    .kernarg_segment_size: 20
    .language:       OpenCL C
    .language_version:
      - 2
      - 0
    .max_flat_workgroup_size: 256
    .name:           _Z16sort_keys_kernelIaLj256ELj3EN10test_utils4lessELj10EEvPKT_PS2_T2_
    .private_segment_fixed_size: 0
    .sgpr_count:     20
    .sgpr_spill_count: 0
    .symbol:         _Z16sort_keys_kernelIaLj256ELj3EN10test_utils4lessELj10EEvPKT_PS2_T2_.kd
    .uniform_work_group_size: 1
    .uses_dynamic_stack: false
    .vgpr_count:     72
    .vgpr_spill_count: 0
    .wavefront_size: 32
    .workgroup_processor_mode: 1
  - .args:
      - .address_space:  global
        .offset:         0
        .size:           8
        .value_kind:     global_buffer
      - .address_space:  global
        .offset:         8
        .size:           8
        .value_kind:     global_buffer
      - .offset:         16
        .size:           1
        .value_kind:     by_value
    .group_segment_fixed_size: 769
    .kernarg_segment_align: 8
    .kernarg_segment_size: 20
    .language:       OpenCL C
    .language_version:
      - 2
      - 0
    .max_flat_workgroup_size: 256
    .name:           _Z17sort_pairs_kernelIaLj256ELj3EN10test_utils4lessELj10EEvPKT_PS2_T2_
    .private_segment_fixed_size: 0
    .sgpr_count:     21
    .sgpr_spill_count: 0
    .symbol:         _Z17sort_pairs_kernelIaLj256ELj3EN10test_utils4lessELj10EEvPKT_PS2_T2_.kd
    .uniform_work_group_size: 1
    .uses_dynamic_stack: false
    .vgpr_count:     72
    .vgpr_spill_count: 0
    .wavefront_size: 32
    .workgroup_processor_mode: 1
  - .args:
      - .address_space:  global
        .offset:         0
        .size:           8
        .value_kind:     global_buffer
      - .address_space:  global
        .offset:         8
        .size:           8
        .value_kind:     global_buffer
      - .offset:         16
        .size:           1
        .value_kind:     by_value
    .group_segment_fixed_size: 1025
    .kernarg_segment_align: 8
    .kernarg_segment_size: 20
    .language:       OpenCL C
    .language_version:
      - 2
      - 0
    .max_flat_workgroup_size: 256
    .name:           _Z16sort_keys_kernelIaLj256ELj4EN10test_utils4lessELj10EEvPKT_PS2_T2_
    .private_segment_fixed_size: 0
    .sgpr_count:     20
    .sgpr_spill_count: 0
    .symbol:         _Z16sort_keys_kernelIaLj256ELj4EN10test_utils4lessELj10EEvPKT_PS2_T2_.kd
    .uniform_work_group_size: 1
    .uses_dynamic_stack: false
    .vgpr_count:     64
    .vgpr_spill_count: 0
    .wavefront_size: 32
    .workgroup_processor_mode: 1
  - .args:
      - .address_space:  global
        .offset:         0
        .size:           8
        .value_kind:     global_buffer
      - .address_space:  global
        .offset:         8
        .size:           8
        .value_kind:     global_buffer
      - .offset:         16
        .size:           1
        .value_kind:     by_value
    .group_segment_fixed_size: 1025
    .kernarg_segment_align: 8
    .kernarg_segment_size: 20
    .language:       OpenCL C
    .language_version:
      - 2
      - 0
    .max_flat_workgroup_size: 256
    .name:           _Z17sort_pairs_kernelIaLj256ELj4EN10test_utils4lessELj10EEvPKT_PS2_T2_
    .private_segment_fixed_size: 0
    .sgpr_count:     25
    .sgpr_spill_count: 0
    .symbol:         _Z17sort_pairs_kernelIaLj256ELj4EN10test_utils4lessELj10EEvPKT_PS2_T2_.kd
    .uniform_work_group_size: 1
    .uses_dynamic_stack: false
    .vgpr_count:     70
    .vgpr_spill_count: 0
    .wavefront_size: 32
    .workgroup_processor_mode: 1
  - .args:
      - .address_space:  global
        .offset:         0
        .size:           8
        .value_kind:     global_buffer
      - .address_space:  global
        .offset:         8
        .size:           8
        .value_kind:     global_buffer
      - .offset:         16
        .size:           1
        .value_kind:     by_value
    .group_segment_fixed_size: 2049
    .kernarg_segment_align: 8
    .kernarg_segment_size: 20
    .language:       OpenCL C
    .language_version:
      - 2
      - 0
    .max_flat_workgroup_size: 256
    .name:           _Z16sort_keys_kernelIaLj256ELj8EN10test_utils4lessELj10EEvPKT_PS2_T2_
    .private_segment_fixed_size: 0
    .sgpr_count:     24
    .sgpr_spill_count: 0
    .symbol:         _Z16sort_keys_kernelIaLj256ELj8EN10test_utils4lessELj10EEvPKT_PS2_T2_.kd
    .uniform_work_group_size: 1
    .uses_dynamic_stack: false
    .vgpr_count:     73
    .vgpr_spill_count: 0
    .wavefront_size: 32
    .workgroup_processor_mode: 1
  - .args:
      - .address_space:  global
        .offset:         0
        .size:           8
        .value_kind:     global_buffer
      - .address_space:  global
        .offset:         8
        .size:           8
        .value_kind:     global_buffer
      - .offset:         16
        .size:           1
        .value_kind:     by_value
    .group_segment_fixed_size: 2049
    .kernarg_segment_align: 8
    .kernarg_segment_size: 20
    .language:       OpenCL C
    .language_version:
      - 2
      - 0
    .max_flat_workgroup_size: 256
    .name:           _Z17sort_pairs_kernelIaLj256ELj8EN10test_utils4lessELj10EEvPKT_PS2_T2_
    .private_segment_fixed_size: 0
    .sgpr_count:     52
    .sgpr_spill_count: 0
    .symbol:         _Z17sort_pairs_kernelIaLj256ELj8EN10test_utils4lessELj10EEvPKT_PS2_T2_.kd
    .uniform_work_group_size: 1
    .uses_dynamic_stack: false
    .vgpr_count:     87
    .vgpr_spill_count: 0
    .wavefront_size: 32
    .workgroup_processor_mode: 1
  - .args:
      - .address_space:  global
        .offset:         0
        .size:           8
        .value_kind:     global_buffer
      - .address_space:  global
        .offset:         8
        .size:           8
        .value_kind:     global_buffer
      - .offset:         16
        .size:           1
        .value_kind:     by_value
    .group_segment_fixed_size: 513
    .kernarg_segment_align: 8
    .kernarg_segment_size: 20
    .language:       OpenCL C
    .language_version:
      - 2
      - 0
    .max_flat_workgroup_size: 512
    .name:           _Z16sort_keys_kernelIaLj512ELj1EN10test_utils4lessELj10EEvPKT_PS2_T2_
    .private_segment_fixed_size: 0
    .sgpr_count:     20
    .sgpr_spill_count: 0
    .symbol:         _Z16sort_keys_kernelIaLj512ELj1EN10test_utils4lessELj10EEvPKT_PS2_T2_.kd
    .uniform_work_group_size: 1
    .uses_dynamic_stack: false
    .vgpr_count:     58
    .vgpr_spill_count: 0
    .wavefront_size: 32
    .workgroup_processor_mode: 1
  - .args:
      - .address_space:  global
        .offset:         0
        .size:           8
        .value_kind:     global_buffer
      - .address_space:  global
        .offset:         8
        .size:           8
        .value_kind:     global_buffer
      - .offset:         16
        .size:           1
        .value_kind:     by_value
    .group_segment_fixed_size: 513
    .kernarg_segment_align: 8
    .kernarg_segment_size: 20
    .language:       OpenCL C
    .language_version:
      - 2
      - 0
    .max_flat_workgroup_size: 512
    .name:           _Z17sort_pairs_kernelIaLj512ELj1EN10test_utils4lessELj10EEvPKT_PS2_T2_
    .private_segment_fixed_size: 0
    .sgpr_count:     20
    .sgpr_spill_count: 0
    .symbol:         _Z17sort_pairs_kernelIaLj512ELj1EN10test_utils4lessELj10EEvPKT_PS2_T2_.kd
    .uniform_work_group_size: 1
    .uses_dynamic_stack: false
    .vgpr_count:     66
    .vgpr_spill_count: 0
    .wavefront_size: 32
    .workgroup_processor_mode: 1
  - .args:
      - .address_space:  global
        .offset:         0
        .size:           8
        .value_kind:     global_buffer
      - .address_space:  global
        .offset:         8
        .size:           8
        .value_kind:     global_buffer
      - .offset:         16
        .size:           1
        .value_kind:     by_value
    .group_segment_fixed_size: 1025
    .kernarg_segment_align: 8
    .kernarg_segment_size: 20
    .language:       OpenCL C
    .language_version:
      - 2
      - 0
    .max_flat_workgroup_size: 512
    .name:           _Z16sort_keys_kernelIaLj512ELj2EN10test_utils4lessELj10EEvPKT_PS2_T2_
    .private_segment_fixed_size: 0
    .sgpr_count:     20
    .sgpr_spill_count: 0
    .symbol:         _Z16sort_keys_kernelIaLj512ELj2EN10test_utils4lessELj10EEvPKT_PS2_T2_.kd
    .uniform_work_group_size: 1
    .uses_dynamic_stack: false
    .vgpr_count:     63
    .vgpr_spill_count: 0
    .wavefront_size: 32
    .workgroup_processor_mode: 1
  - .args:
      - .address_space:  global
        .offset:         0
        .size:           8
        .value_kind:     global_buffer
      - .address_space:  global
        .offset:         8
        .size:           8
        .value_kind:     global_buffer
      - .offset:         16
        .size:           1
        .value_kind:     by_value
    .group_segment_fixed_size: 1025
    .kernarg_segment_align: 8
    .kernarg_segment_size: 20
    .language:       OpenCL C
    .language_version:
      - 2
      - 0
    .max_flat_workgroup_size: 512
    .name:           _Z17sort_pairs_kernelIaLj512ELj2EN10test_utils4lessELj10EEvPKT_PS2_T2_
    .private_segment_fixed_size: 0
    .sgpr_count:     20
    .sgpr_spill_count: 0
    .symbol:         _Z17sort_pairs_kernelIaLj512ELj2EN10test_utils4lessELj10EEvPKT_PS2_T2_.kd
    .uniform_work_group_size: 1
    .uses_dynamic_stack: false
    .vgpr_count:     70
    .vgpr_spill_count: 0
    .wavefront_size: 32
    .workgroup_processor_mode: 1
  - .args:
      - .address_space:  global
        .offset:         0
        .size:           8
        .value_kind:     global_buffer
      - .address_space:  global
        .offset:         8
        .size:           8
        .value_kind:     global_buffer
      - .offset:         16
        .size:           1
        .value_kind:     by_value
    .group_segment_fixed_size: 1537
    .kernarg_segment_align: 8
    .kernarg_segment_size: 20
    .language:       OpenCL C
    .language_version:
      - 2
      - 0
    .max_flat_workgroup_size: 512
    .name:           _Z16sort_keys_kernelIaLj512ELj3EN10test_utils4lessELj10EEvPKT_PS2_T2_
    .private_segment_fixed_size: 0
    .sgpr_count:     20
    .sgpr_spill_count: 0
    .symbol:         _Z16sort_keys_kernelIaLj512ELj3EN10test_utils4lessELj10EEvPKT_PS2_T2_.kd
    .uniform_work_group_size: 1
    .uses_dynamic_stack: false
    .vgpr_count:     81
    .vgpr_spill_count: 0
    .wavefront_size: 32
    .workgroup_processor_mode: 1
  - .args:
      - .address_space:  global
        .offset:         0
        .size:           8
        .value_kind:     global_buffer
      - .address_space:  global
        .offset:         8
        .size:           8
        .value_kind:     global_buffer
      - .offset:         16
        .size:           1
        .value_kind:     by_value
    .group_segment_fixed_size: 1537
    .kernarg_segment_align: 8
    .kernarg_segment_size: 20
    .language:       OpenCL C
    .language_version:
      - 2
      - 0
    .max_flat_workgroup_size: 512
    .name:           _Z17sort_pairs_kernelIaLj512ELj3EN10test_utils4lessELj10EEvPKT_PS2_T2_
    .private_segment_fixed_size: 0
    .sgpr_count:     24
    .sgpr_spill_count: 0
    .symbol:         _Z17sort_pairs_kernelIaLj512ELj3EN10test_utils4lessELj10EEvPKT_PS2_T2_.kd
    .uniform_work_group_size: 1
    .uses_dynamic_stack: false
    .vgpr_count:     81
    .vgpr_spill_count: 0
    .wavefront_size: 32
    .workgroup_processor_mode: 1
  - .args:
      - .address_space:  global
        .offset:         0
        .size:           8
        .value_kind:     global_buffer
      - .address_space:  global
        .offset:         8
        .size:           8
        .value_kind:     global_buffer
      - .offset:         16
        .size:           1
        .value_kind:     by_value
    .group_segment_fixed_size: 2049
    .kernarg_segment_align: 8
    .kernarg_segment_size: 20
    .language:       OpenCL C
    .language_version:
      - 2
      - 0
    .max_flat_workgroup_size: 512
    .name:           _Z16sort_keys_kernelIaLj512ELj4EN10test_utils4lessELj10EEvPKT_PS2_T2_
    .private_segment_fixed_size: 0
    .sgpr_count:     21
    .sgpr_spill_count: 0
    .symbol:         _Z16sort_keys_kernelIaLj512ELj4EN10test_utils4lessELj10EEvPKT_PS2_T2_.kd
    .uniform_work_group_size: 1
    .uses_dynamic_stack: false
    .vgpr_count:     72
    .vgpr_spill_count: 0
    .wavefront_size: 32
    .workgroup_processor_mode: 1
  - .args:
      - .address_space:  global
        .offset:         0
        .size:           8
        .value_kind:     global_buffer
      - .address_space:  global
        .offset:         8
        .size:           8
        .value_kind:     global_buffer
      - .offset:         16
        .size:           1
        .value_kind:     by_value
    .group_segment_fixed_size: 2049
    .kernarg_segment_align: 8
    .kernarg_segment_size: 20
    .language:       OpenCL C
    .language_version:
      - 2
      - 0
    .max_flat_workgroup_size: 512
    .name:           _Z17sort_pairs_kernelIaLj512ELj4EN10test_utils4lessELj10EEvPKT_PS2_T2_
    .private_segment_fixed_size: 0
    .sgpr_count:     28
    .sgpr_spill_count: 0
    .symbol:         _Z17sort_pairs_kernelIaLj512ELj4EN10test_utils4lessELj10EEvPKT_PS2_T2_.kd
    .uniform_work_group_size: 1
    .uses_dynamic_stack: false
    .vgpr_count:     76
    .vgpr_spill_count: 0
    .wavefront_size: 32
    .workgroup_processor_mode: 1
  - .args:
      - .address_space:  global
        .offset:         0
        .size:           8
        .value_kind:     global_buffer
      - .address_space:  global
        .offset:         8
        .size:           8
        .value_kind:     global_buffer
      - .offset:         16
        .size:           1
        .value_kind:     by_value
    .group_segment_fixed_size: 4097
    .kernarg_segment_align: 8
    .kernarg_segment_size: 20
    .language:       OpenCL C
    .language_version:
      - 2
      - 0
    .max_flat_workgroup_size: 512
    .name:           _Z16sort_keys_kernelIaLj512ELj8EN10test_utils4lessELj10EEvPKT_PS2_T2_
    .private_segment_fixed_size: 0
    .sgpr_count:     24
    .sgpr_spill_count: 0
    .symbol:         _Z16sort_keys_kernelIaLj512ELj8EN10test_utils4lessELj10EEvPKT_PS2_T2_.kd
    .uniform_work_group_size: 1
    .uses_dynamic_stack: false
    .vgpr_count:     79
    .vgpr_spill_count: 0
    .wavefront_size: 32
    .workgroup_processor_mode: 1
  - .args:
      - .address_space:  global
        .offset:         0
        .size:           8
        .value_kind:     global_buffer
      - .address_space:  global
        .offset:         8
        .size:           8
        .value_kind:     global_buffer
      - .offset:         16
        .size:           1
        .value_kind:     by_value
    .group_segment_fixed_size: 4097
    .kernarg_segment_align: 8
    .kernarg_segment_size: 20
    .language:       OpenCL C
    .language_version:
      - 2
      - 0
    .max_flat_workgroup_size: 512
    .name:           _Z17sort_pairs_kernelIaLj512ELj8EN10test_utils4lessELj10EEvPKT_PS2_T2_
    .private_segment_fixed_size: 0
    .sgpr_count:     53
    .sgpr_spill_count: 0
    .symbol:         _Z17sort_pairs_kernelIaLj512ELj8EN10test_utils4lessELj10EEvPKT_PS2_T2_.kd
    .uniform_work_group_size: 1
    .uses_dynamic_stack: false
    .vgpr_count:     93
    .vgpr_spill_count: 0
    .wavefront_size: 32
    .workgroup_processor_mode: 1
  - .args:
      - .address_space:  global
        .offset:         0
        .size:           8
        .value_kind:     global_buffer
      - .address_space:  global
        .offset:         8
        .size:           8
        .value_kind:     global_buffer
      - .offset:         16
        .size:           1
        .value_kind:     by_value
    .group_segment_fixed_size: 65
    .kernarg_segment_align: 8
    .kernarg_segment_size: 20
    .language:       OpenCL C
    .language_version:
      - 2
      - 0
    .max_flat_workgroup_size: 64
    .name:           _Z16sort_keys_kernelIhLj64ELj1EN10test_utils4lessELj10EEvPKT_PS2_T2_
    .private_segment_fixed_size: 0
    .sgpr_count:     16
    .sgpr_spill_count: 0
    .symbol:         _Z16sort_keys_kernelIhLj64ELj1EN10test_utils4lessELj10EEvPKT_PS2_T2_.kd
    .uniform_work_group_size: 1
    .uses_dynamic_stack: false
    .vgpr_count:     40
    .vgpr_spill_count: 0
    .wavefront_size: 32
    .workgroup_processor_mode: 1
  - .args:
      - .address_space:  global
        .offset:         0
        .size:           8
        .value_kind:     global_buffer
      - .address_space:  global
        .offset:         8
        .size:           8
        .value_kind:     global_buffer
      - .offset:         16
        .size:           1
        .value_kind:     by_value
    .group_segment_fixed_size: 65
    .kernarg_segment_align: 8
    .kernarg_segment_size: 20
    .language:       OpenCL C
    .language_version:
      - 2
      - 0
    .max_flat_workgroup_size: 64
    .name:           _Z17sort_pairs_kernelIhLj64ELj1EN10test_utils4lessELj10EEvPKT_PS2_T2_
    .private_segment_fixed_size: 0
    .sgpr_count:     16
    .sgpr_spill_count: 0
    .symbol:         _Z17sort_pairs_kernelIhLj64ELj1EN10test_utils4lessELj10EEvPKT_PS2_T2_.kd
    .uniform_work_group_size: 1
    .uses_dynamic_stack: false
    .vgpr_count:     42
    .vgpr_spill_count: 0
    .wavefront_size: 32
    .workgroup_processor_mode: 1
  - .args:
      - .address_space:  global
        .offset:         0
        .size:           8
        .value_kind:     global_buffer
      - .address_space:  global
        .offset:         8
        .size:           8
        .value_kind:     global_buffer
      - .offset:         16
        .size:           1
        .value_kind:     by_value
    .group_segment_fixed_size: 129
    .kernarg_segment_align: 8
    .kernarg_segment_size: 20
    .language:       OpenCL C
    .language_version:
      - 2
      - 0
    .max_flat_workgroup_size: 64
    .name:           _Z16sort_keys_kernelIhLj64ELj2EN10test_utils4lessELj10EEvPKT_PS2_T2_
    .private_segment_fixed_size: 0
    .sgpr_count:     16
    .sgpr_spill_count: 0
    .symbol:         _Z16sort_keys_kernelIhLj64ELj2EN10test_utils4lessELj10EEvPKT_PS2_T2_.kd
    .uniform_work_group_size: 1
    .uses_dynamic_stack: false
    .vgpr_count:     45
    .vgpr_spill_count: 0
    .wavefront_size: 32
    .workgroup_processor_mode: 1
  - .args:
      - .address_space:  global
        .offset:         0
        .size:           8
        .value_kind:     global_buffer
      - .address_space:  global
        .offset:         8
        .size:           8
        .value_kind:     global_buffer
      - .offset:         16
        .size:           1
        .value_kind:     by_value
    .group_segment_fixed_size: 129
    .kernarg_segment_align: 8
    .kernarg_segment_size: 20
    .language:       OpenCL C
    .language_version:
      - 2
      - 0
    .max_flat_workgroup_size: 64
    .name:           _Z17sort_pairs_kernelIhLj64ELj2EN10test_utils4lessELj10EEvPKT_PS2_T2_
    .private_segment_fixed_size: 0
    .sgpr_count:     16
    .sgpr_spill_count: 0
    .symbol:         _Z17sort_pairs_kernelIhLj64ELj2EN10test_utils4lessELj10EEvPKT_PS2_T2_.kd
    .uniform_work_group_size: 1
    .uses_dynamic_stack: false
    .vgpr_count:     48
    .vgpr_spill_count: 0
    .wavefront_size: 32
    .workgroup_processor_mode: 1
  - .args:
      - .address_space:  global
        .offset:         0
        .size:           8
        .value_kind:     global_buffer
      - .address_space:  global
        .offset:         8
        .size:           8
        .value_kind:     global_buffer
      - .offset:         16
        .size:           1
        .value_kind:     by_value
    .group_segment_fixed_size: 193
    .kernarg_segment_align: 8
    .kernarg_segment_size: 20
    .language:       OpenCL C
    .language_version:
      - 2
      - 0
    .max_flat_workgroup_size: 64
    .name:           _Z16sort_keys_kernelIhLj64ELj3EN10test_utils4lessELj10EEvPKT_PS2_T2_
    .private_segment_fixed_size: 0
    .sgpr_count:     16
    .sgpr_spill_count: 0
    .symbol:         _Z16sort_keys_kernelIhLj64ELj3EN10test_utils4lessELj10EEvPKT_PS2_T2_.kd
    .uniform_work_group_size: 1
    .uses_dynamic_stack: false
    .vgpr_count:     54
    .vgpr_spill_count: 0
    .wavefront_size: 32
    .workgroup_processor_mode: 1
  - .args:
      - .address_space:  global
        .offset:         0
        .size:           8
        .value_kind:     global_buffer
      - .address_space:  global
        .offset:         8
        .size:           8
        .value_kind:     global_buffer
      - .offset:         16
        .size:           1
        .value_kind:     by_value
    .group_segment_fixed_size: 193
    .kernarg_segment_align: 8
    .kernarg_segment_size: 20
    .language:       OpenCL C
    .language_version:
      - 2
      - 0
    .max_flat_workgroup_size: 64
    .name:           _Z17sort_pairs_kernelIhLj64ELj3EN10test_utils4lessELj10EEvPKT_PS2_T2_
    .private_segment_fixed_size: 0
    .sgpr_count:     20
    .sgpr_spill_count: 0
    .symbol:         _Z17sort_pairs_kernelIhLj64ELj3EN10test_utils4lessELj10EEvPKT_PS2_T2_.kd
    .uniform_work_group_size: 1
    .uses_dynamic_stack: false
    .vgpr_count:     57
    .vgpr_spill_count: 0
    .wavefront_size: 32
    .workgroup_processor_mode: 1
  - .args:
      - .address_space:  global
        .offset:         0
        .size:           8
        .value_kind:     global_buffer
      - .address_space:  global
        .offset:         8
        .size:           8
        .value_kind:     global_buffer
      - .offset:         16
        .size:           1
        .value_kind:     by_value
    .group_segment_fixed_size: 257
    .kernarg_segment_align: 8
    .kernarg_segment_size: 20
    .language:       OpenCL C
    .language_version:
      - 2
      - 0
    .max_flat_workgroup_size: 64
    .name:           _Z16sort_keys_kernelIhLj64ELj4EN10test_utils4lessELj10EEvPKT_PS2_T2_
    .private_segment_fixed_size: 0
    .sgpr_count:     20
    .sgpr_spill_count: 0
    .symbol:         _Z16sort_keys_kernelIhLj64ELj4EN10test_utils4lessELj10EEvPKT_PS2_T2_.kd
    .uniform_work_group_size: 1
    .uses_dynamic_stack: false
    .vgpr_count:     49
    .vgpr_spill_count: 0
    .wavefront_size: 32
    .workgroup_processor_mode: 1
  - .args:
      - .address_space:  global
        .offset:         0
        .size:           8
        .value_kind:     global_buffer
      - .address_space:  global
        .offset:         8
        .size:           8
        .value_kind:     global_buffer
      - .offset:         16
        .size:           1
        .value_kind:     by_value
    .group_segment_fixed_size: 257
    .kernarg_segment_align: 8
    .kernarg_segment_size: 20
    .language:       OpenCL C
    .language_version:
      - 2
      - 0
    .max_flat_workgroup_size: 64
    .name:           _Z17sort_pairs_kernelIhLj64ELj4EN10test_utils4lessELj10EEvPKT_PS2_T2_
    .private_segment_fixed_size: 0
    .sgpr_count:     24
    .sgpr_spill_count: 0
    .symbol:         _Z17sort_pairs_kernelIhLj64ELj4EN10test_utils4lessELj10EEvPKT_PS2_T2_.kd
    .uniform_work_group_size: 1
    .uses_dynamic_stack: false
    .vgpr_count:     58
    .vgpr_spill_count: 0
    .wavefront_size: 32
    .workgroup_processor_mode: 1
  - .args:
      - .address_space:  global
        .offset:         0
        .size:           8
        .value_kind:     global_buffer
      - .address_space:  global
        .offset:         8
        .size:           8
        .value_kind:     global_buffer
      - .offset:         16
        .size:           1
        .value_kind:     by_value
    .group_segment_fixed_size: 513
    .kernarg_segment_align: 8
    .kernarg_segment_size: 20
    .language:       OpenCL C
    .language_version:
      - 2
      - 0
    .max_flat_workgroup_size: 64
    .name:           _Z16sort_keys_kernelIhLj64ELj8EN10test_utils4lessELj10EEvPKT_PS2_T2_
    .private_segment_fixed_size: 0
    .sgpr_count:     21
    .sgpr_spill_count: 0
    .symbol:         _Z16sort_keys_kernelIhLj64ELj8EN10test_utils4lessELj10EEvPKT_PS2_T2_.kd
    .uniform_work_group_size: 1
    .uses_dynamic_stack: false
    .vgpr_count:     56
    .vgpr_spill_count: 0
    .wavefront_size: 32
    .workgroup_processor_mode: 1
  - .args:
      - .address_space:  global
        .offset:         0
        .size:           8
        .value_kind:     global_buffer
      - .address_space:  global
        .offset:         8
        .size:           8
        .value_kind:     global_buffer
      - .offset:         16
        .size:           1
        .value_kind:     by_value
    .group_segment_fixed_size: 513
    .kernarg_segment_align: 8
    .kernarg_segment_size: 20
    .language:       OpenCL C
    .language_version:
      - 2
      - 0
    .max_flat_workgroup_size: 64
    .name:           _Z17sort_pairs_kernelIhLj64ELj8EN10test_utils4lessELj10EEvPKT_PS2_T2_
    .private_segment_fixed_size: 0
    .sgpr_count:     52
    .sgpr_spill_count: 0
    .symbol:         _Z17sort_pairs_kernelIhLj64ELj8EN10test_utils4lessELj10EEvPKT_PS2_T2_.kd
    .uniform_work_group_size: 1
    .uses_dynamic_stack: false
    .vgpr_count:     75
    .vgpr_spill_count: 0
    .wavefront_size: 32
    .workgroup_processor_mode: 1
  - .args:
      - .address_space:  global
        .offset:         0
        .size:           8
        .value_kind:     global_buffer
      - .address_space:  global
        .offset:         8
        .size:           8
        .value_kind:     global_buffer
      - .offset:         16
        .size:           1
        .value_kind:     by_value
    .group_segment_fixed_size: 129
    .kernarg_segment_align: 8
    .kernarg_segment_size: 20
    .language:       OpenCL C
    .language_version:
      - 2
      - 0
    .max_flat_workgroup_size: 128
    .name:           _Z16sort_keys_kernelIhLj128ELj1EN10test_utils4lessELj10EEvPKT_PS2_T2_
    .private_segment_fixed_size: 0
    .sgpr_count:     16
    .sgpr_spill_count: 0
    .symbol:         _Z16sort_keys_kernelIhLj128ELj1EN10test_utils4lessELj10EEvPKT_PS2_T2_.kd
    .uniform_work_group_size: 1
    .uses_dynamic_stack: false
    .vgpr_count:     46
    .vgpr_spill_count: 0
    .wavefront_size: 32
    .workgroup_processor_mode: 1
  - .args:
      - .address_space:  global
        .offset:         0
        .size:           8
        .value_kind:     global_buffer
      - .address_space:  global
        .offset:         8
        .size:           8
        .value_kind:     global_buffer
      - .offset:         16
        .size:           1
        .value_kind:     by_value
    .group_segment_fixed_size: 129
    .kernarg_segment_align: 8
    .kernarg_segment_size: 20
    .language:       OpenCL C
    .language_version:
      - 2
      - 0
    .max_flat_workgroup_size: 128
    .name:           _Z17sort_pairs_kernelIhLj128ELj1EN10test_utils4lessELj10EEvPKT_PS2_T2_
    .private_segment_fixed_size: 0
    .sgpr_count:     16
    .sgpr_spill_count: 0
    .symbol:         _Z17sort_pairs_kernelIhLj128ELj1EN10test_utils4lessELj10EEvPKT_PS2_T2_.kd
    .uniform_work_group_size: 1
    .uses_dynamic_stack: false
    .vgpr_count:     50
    .vgpr_spill_count: 0
    .wavefront_size: 32
    .workgroup_processor_mode: 1
  - .args:
      - .address_space:  global
        .offset:         0
        .size:           8
        .value_kind:     global_buffer
      - .address_space:  global
        .offset:         8
        .size:           8
        .value_kind:     global_buffer
      - .offset:         16
        .size:           1
        .value_kind:     by_value
    .group_segment_fixed_size: 257
    .kernarg_segment_align: 8
    .kernarg_segment_size: 20
    .language:       OpenCL C
    .language_version:
      - 2
      - 0
    .max_flat_workgroup_size: 128
    .name:           _Z16sort_keys_kernelIhLj128ELj2EN10test_utils4lessELj10EEvPKT_PS2_T2_
    .private_segment_fixed_size: 0
    .sgpr_count:     17
    .sgpr_spill_count: 0
    .symbol:         _Z16sort_keys_kernelIhLj128ELj2EN10test_utils4lessELj10EEvPKT_PS2_T2_.kd
    .uniform_work_group_size: 1
    .uses_dynamic_stack: false
    .vgpr_count:     51
    .vgpr_spill_count: 0
    .wavefront_size: 32
    .workgroup_processor_mode: 1
  - .args:
      - .address_space:  global
        .offset:         0
        .size:           8
        .value_kind:     global_buffer
      - .address_space:  global
        .offset:         8
        .size:           8
        .value_kind:     global_buffer
      - .offset:         16
        .size:           1
        .value_kind:     by_value
    .group_segment_fixed_size: 257
    .kernarg_segment_align: 8
    .kernarg_segment_size: 20
    .language:       OpenCL C
    .language_version:
      - 2
      - 0
    .max_flat_workgroup_size: 128
    .name:           _Z17sort_pairs_kernelIhLj128ELj2EN10test_utils4lessELj10EEvPKT_PS2_T2_
    .private_segment_fixed_size: 0
    .sgpr_count:     17
    .sgpr_spill_count: 0
    .symbol:         _Z17sort_pairs_kernelIhLj128ELj2EN10test_utils4lessELj10EEvPKT_PS2_T2_.kd
    .uniform_work_group_size: 1
    .uses_dynamic_stack: false
    .vgpr_count:     54
    .vgpr_spill_count: 0
    .wavefront_size: 32
    .workgroup_processor_mode: 1
  - .args:
      - .address_space:  global
        .offset:         0
        .size:           8
        .value_kind:     global_buffer
      - .address_space:  global
        .offset:         8
        .size:           8
        .value_kind:     global_buffer
      - .offset:         16
        .size:           1
        .value_kind:     by_value
    .group_segment_fixed_size: 385
    .kernarg_segment_align: 8
    .kernarg_segment_size: 20
    .language:       OpenCL C
    .language_version:
      - 2
      - 0
    .max_flat_workgroup_size: 128
    .name:           _Z16sort_keys_kernelIhLj128ELj3EN10test_utils4lessELj10EEvPKT_PS2_T2_
    .private_segment_fixed_size: 0
    .sgpr_count:     17
    .sgpr_spill_count: 0
    .symbol:         _Z16sort_keys_kernelIhLj128ELj3EN10test_utils4lessELj10EEvPKT_PS2_T2_.kd
    .uniform_work_group_size: 1
    .uses_dynamic_stack: false
    .vgpr_count:     63
    .vgpr_spill_count: 0
    .wavefront_size: 32
    .workgroup_processor_mode: 1
  - .args:
      - .address_space:  global
        .offset:         0
        .size:           8
        .value_kind:     global_buffer
      - .address_space:  global
        .offset:         8
        .size:           8
        .value_kind:     global_buffer
      - .offset:         16
        .size:           1
        .value_kind:     by_value
    .group_segment_fixed_size: 385
    .kernarg_segment_align: 8
    .kernarg_segment_size: 20
    .language:       OpenCL C
    .language_version:
      - 2
      - 0
    .max_flat_workgroup_size: 128
    .name:           _Z17sort_pairs_kernelIhLj128ELj3EN10test_utils4lessELj10EEvPKT_PS2_T2_
    .private_segment_fixed_size: 0
    .sgpr_count:     20
    .sgpr_spill_count: 0
    .symbol:         _Z17sort_pairs_kernelIhLj128ELj3EN10test_utils4lessELj10EEvPKT_PS2_T2_.kd
    .uniform_work_group_size: 1
    .uses_dynamic_stack: false
    .vgpr_count:     64
    .vgpr_spill_count: 0
    .wavefront_size: 32
    .workgroup_processor_mode: 1
  - .args:
      - .address_space:  global
        .offset:         0
        .size:           8
        .value_kind:     global_buffer
      - .address_space:  global
        .offset:         8
        .size:           8
        .value_kind:     global_buffer
      - .offset:         16
        .size:           1
        .value_kind:     by_value
    .group_segment_fixed_size: 513
    .kernarg_segment_align: 8
    .kernarg_segment_size: 20
    .language:       OpenCL C
    .language_version:
      - 2
      - 0
    .max_flat_workgroup_size: 128
    .name:           _Z16sort_keys_kernelIhLj128ELj4EN10test_utils4lessELj10EEvPKT_PS2_T2_
    .private_segment_fixed_size: 0
    .sgpr_count:     20
    .sgpr_spill_count: 0
    .symbol:         _Z16sort_keys_kernelIhLj128ELj4EN10test_utils4lessELj10EEvPKT_PS2_T2_.kd
    .uniform_work_group_size: 1
    .uses_dynamic_stack: false
    .vgpr_count:     56
    .vgpr_spill_count: 0
    .wavefront_size: 32
    .workgroup_processor_mode: 1
  - .args:
      - .address_space:  global
        .offset:         0
        .size:           8
        .value_kind:     global_buffer
      - .address_space:  global
        .offset:         8
        .size:           8
        .value_kind:     global_buffer
      - .offset:         16
        .size:           1
        .value_kind:     by_value
    .group_segment_fixed_size: 513
    .kernarg_segment_align: 8
    .kernarg_segment_size: 20
    .language:       OpenCL C
    .language_version:
      - 2
      - 0
    .max_flat_workgroup_size: 128
    .name:           _Z17sort_pairs_kernelIhLj128ELj4EN10test_utils4lessELj10EEvPKT_PS2_T2_
    .private_segment_fixed_size: 0
    .sgpr_count:     24
    .sgpr_spill_count: 0
    .symbol:         _Z17sort_pairs_kernelIhLj128ELj4EN10test_utils4lessELj10EEvPKT_PS2_T2_.kd
    .uniform_work_group_size: 1
    .uses_dynamic_stack: false
    .vgpr_count:     64
    .vgpr_spill_count: 0
    .wavefront_size: 32
    .workgroup_processor_mode: 1
  - .args:
      - .address_space:  global
        .offset:         0
        .size:           8
        .value_kind:     global_buffer
      - .address_space:  global
        .offset:         8
        .size:           8
        .value_kind:     global_buffer
      - .offset:         16
        .size:           1
        .value_kind:     by_value
    .group_segment_fixed_size: 1025
    .kernarg_segment_align: 8
    .kernarg_segment_size: 20
    .language:       OpenCL C
    .language_version:
      - 2
      - 0
    .max_flat_workgroup_size: 128
    .name:           _Z16sort_keys_kernelIhLj128ELj8EN10test_utils4lessELj10EEvPKT_PS2_T2_
    .private_segment_fixed_size: 0
    .sgpr_count:     24
    .sgpr_spill_count: 0
    .symbol:         _Z16sort_keys_kernelIhLj128ELj8EN10test_utils4lessELj10EEvPKT_PS2_T2_.kd
    .uniform_work_group_size: 1
    .uses_dynamic_stack: false
    .vgpr_count:     62
    .vgpr_spill_count: 0
    .wavefront_size: 32
    .workgroup_processor_mode: 1
  - .args:
      - .address_space:  global
        .offset:         0
        .size:           8
        .value_kind:     global_buffer
      - .address_space:  global
        .offset:         8
        .size:           8
        .value_kind:     global_buffer
      - .offset:         16
        .size:           1
        .value_kind:     by_value
    .group_segment_fixed_size: 1025
    .kernarg_segment_align: 8
    .kernarg_segment_size: 20
    .language:       OpenCL C
    .language_version:
      - 2
      - 0
    .max_flat_workgroup_size: 128
    .name:           _Z17sort_pairs_kernelIhLj128ELj8EN10test_utils4lessELj10EEvPKT_PS2_T2_
    .private_segment_fixed_size: 0
    .sgpr_count:     52
    .sgpr_spill_count: 0
    .symbol:         _Z17sort_pairs_kernelIhLj128ELj8EN10test_utils4lessELj10EEvPKT_PS2_T2_.kd
    .uniform_work_group_size: 1
    .uses_dynamic_stack: false
    .vgpr_count:     81
    .vgpr_spill_count: 0
    .wavefront_size: 32
    .workgroup_processor_mode: 1
  - .args:
      - .address_space:  global
        .offset:         0
        .size:           8
        .value_kind:     global_buffer
      - .address_space:  global
        .offset:         8
        .size:           8
        .value_kind:     global_buffer
      - .offset:         16
        .size:           1
        .value_kind:     by_value
    .group_segment_fixed_size: 257
    .kernarg_segment_align: 8
    .kernarg_segment_size: 20
    .language:       OpenCL C
    .language_version:
      - 2
      - 0
    .max_flat_workgroup_size: 256
    .name:           _Z16sort_keys_kernelIhLj256ELj1EN10test_utils4lessELj10EEvPKT_PS2_T2_
    .private_segment_fixed_size: 0
    .sgpr_count:     17
    .sgpr_spill_count: 0
    .symbol:         _Z16sort_keys_kernelIhLj256ELj1EN10test_utils4lessELj10EEvPKT_PS2_T2_.kd
    .uniform_work_group_size: 1
    .uses_dynamic_stack: false
    .vgpr_count:     52
    .vgpr_spill_count: 0
    .wavefront_size: 32
    .workgroup_processor_mode: 1
  - .args:
      - .address_space:  global
        .offset:         0
        .size:           8
        .value_kind:     global_buffer
      - .address_space:  global
        .offset:         8
        .size:           8
        .value_kind:     global_buffer
      - .offset:         16
        .size:           1
        .value_kind:     by_value
    .group_segment_fixed_size: 257
    .kernarg_segment_align: 8
    .kernarg_segment_size: 20
    .language:       OpenCL C
    .language_version:
      - 2
      - 0
    .max_flat_workgroup_size: 256
    .name:           _Z17sort_pairs_kernelIhLj256ELj1EN10test_utils4lessELj10EEvPKT_PS2_T2_
    .private_segment_fixed_size: 0
    .sgpr_count:     17
    .sgpr_spill_count: 0
    .symbol:         _Z17sort_pairs_kernelIhLj256ELj1EN10test_utils4lessELj10EEvPKT_PS2_T2_.kd
    .uniform_work_group_size: 1
    .uses_dynamic_stack: false
    .vgpr_count:     58
    .vgpr_spill_count: 0
    .wavefront_size: 32
    .workgroup_processor_mode: 1
  - .args:
      - .address_space:  global
        .offset:         0
        .size:           8
        .value_kind:     global_buffer
      - .address_space:  global
        .offset:         8
        .size:           8
        .value_kind:     global_buffer
      - .offset:         16
        .size:           1
        .value_kind:     by_value
    .group_segment_fixed_size: 513
    .kernarg_segment_align: 8
    .kernarg_segment_size: 20
    .language:       OpenCL C
    .language_version:
      - 2
      - 0
    .max_flat_workgroup_size: 256
    .name:           _Z16sort_keys_kernelIhLj256ELj2EN10test_utils4lessELj10EEvPKT_PS2_T2_
    .private_segment_fixed_size: 0
    .sgpr_count:     20
    .sgpr_spill_count: 0
    .symbol:         _Z16sort_keys_kernelIhLj256ELj2EN10test_utils4lessELj10EEvPKT_PS2_T2_.kd
    .uniform_work_group_size: 1
    .uses_dynamic_stack: false
    .vgpr_count:     57
    .vgpr_spill_count: 0
    .wavefront_size: 32
    .workgroup_processor_mode: 1
  - .args:
      - .address_space:  global
        .offset:         0
        .size:           8
        .value_kind:     global_buffer
      - .address_space:  global
        .offset:         8
        .size:           8
        .value_kind:     global_buffer
      - .offset:         16
        .size:           1
        .value_kind:     by_value
    .group_segment_fixed_size: 513
    .kernarg_segment_align: 8
    .kernarg_segment_size: 20
    .language:       OpenCL C
    .language_version:
      - 2
      - 0
    .max_flat_workgroup_size: 256
    .name:           _Z17sort_pairs_kernelIhLj256ELj2EN10test_utils4lessELj10EEvPKT_PS2_T2_
    .private_segment_fixed_size: 0
    .sgpr_count:     20
    .sgpr_spill_count: 0
    .symbol:         _Z17sort_pairs_kernelIhLj256ELj2EN10test_utils4lessELj10EEvPKT_PS2_T2_.kd
    .uniform_work_group_size: 1
    .uses_dynamic_stack: false
    .vgpr_count:     62
    .vgpr_spill_count: 0
    .wavefront_size: 32
    .workgroup_processor_mode: 1
  - .args:
      - .address_space:  global
        .offset:         0
        .size:           8
        .value_kind:     global_buffer
      - .address_space:  global
        .offset:         8
        .size:           8
        .value_kind:     global_buffer
      - .offset:         16
        .size:           1
        .value_kind:     by_value
    .group_segment_fixed_size: 769
    .kernarg_segment_align: 8
    .kernarg_segment_size: 20
    .language:       OpenCL C
    .language_version:
      - 2
      - 0
    .max_flat_workgroup_size: 256
    .name:           _Z16sort_keys_kernelIhLj256ELj3EN10test_utils4lessELj10EEvPKT_PS2_T2_
    .private_segment_fixed_size: 0
    .sgpr_count:     20
    .sgpr_spill_count: 0
    .symbol:         _Z16sort_keys_kernelIhLj256ELj3EN10test_utils4lessELj10EEvPKT_PS2_T2_.kd
    .uniform_work_group_size: 1
    .uses_dynamic_stack: false
    .vgpr_count:     72
    .vgpr_spill_count: 0
    .wavefront_size: 32
    .workgroup_processor_mode: 1
  - .args:
      - .address_space:  global
        .offset:         0
        .size:           8
        .value_kind:     global_buffer
      - .address_space:  global
        .offset:         8
        .size:           8
        .value_kind:     global_buffer
      - .offset:         16
        .size:           1
        .value_kind:     by_value
    .group_segment_fixed_size: 769
    .kernarg_segment_align: 8
    .kernarg_segment_size: 20
    .language:       OpenCL C
    .language_version:
      - 2
      - 0
    .max_flat_workgroup_size: 256
    .name:           _Z17sort_pairs_kernelIhLj256ELj3EN10test_utils4lessELj10EEvPKT_PS2_T2_
    .private_segment_fixed_size: 0
    .sgpr_count:     21
    .sgpr_spill_count: 0
    .symbol:         _Z17sort_pairs_kernelIhLj256ELj3EN10test_utils4lessELj10EEvPKT_PS2_T2_.kd
    .uniform_work_group_size: 1
    .uses_dynamic_stack: false
    .vgpr_count:     72
    .vgpr_spill_count: 0
    .wavefront_size: 32
    .workgroup_processor_mode: 1
  - .args:
      - .address_space:  global
        .offset:         0
        .size:           8
        .value_kind:     global_buffer
      - .address_space:  global
        .offset:         8
        .size:           8
        .value_kind:     global_buffer
      - .offset:         16
        .size:           1
        .value_kind:     by_value
    .group_segment_fixed_size: 1025
    .kernarg_segment_align: 8
    .kernarg_segment_size: 20
    .language:       OpenCL C
    .language_version:
      - 2
      - 0
    .max_flat_workgroup_size: 256
    .name:           _Z16sort_keys_kernelIhLj256ELj4EN10test_utils4lessELj10EEvPKT_PS2_T2_
    .private_segment_fixed_size: 0
    .sgpr_count:     20
    .sgpr_spill_count: 0
    .symbol:         _Z16sort_keys_kernelIhLj256ELj4EN10test_utils4lessELj10EEvPKT_PS2_T2_.kd
    .uniform_work_group_size: 1
    .uses_dynamic_stack: false
    .vgpr_count:     64
    .vgpr_spill_count: 0
    .wavefront_size: 32
    .workgroup_processor_mode: 1
  - .args:
      - .address_space:  global
        .offset:         0
        .size:           8
        .value_kind:     global_buffer
      - .address_space:  global
        .offset:         8
        .size:           8
        .value_kind:     global_buffer
      - .offset:         16
        .size:           1
        .value_kind:     by_value
    .group_segment_fixed_size: 1025
    .kernarg_segment_align: 8
    .kernarg_segment_size: 20
    .language:       OpenCL C
    .language_version:
      - 2
      - 0
    .max_flat_workgroup_size: 256
    .name:           _Z17sort_pairs_kernelIhLj256ELj4EN10test_utils4lessELj10EEvPKT_PS2_T2_
    .private_segment_fixed_size: 0
    .sgpr_count:     25
    .sgpr_spill_count: 0
    .symbol:         _Z17sort_pairs_kernelIhLj256ELj4EN10test_utils4lessELj10EEvPKT_PS2_T2_.kd
    .uniform_work_group_size: 1
    .uses_dynamic_stack: false
    .vgpr_count:     70
    .vgpr_spill_count: 0
    .wavefront_size: 32
    .workgroup_processor_mode: 1
  - .args:
      - .address_space:  global
        .offset:         0
        .size:           8
        .value_kind:     global_buffer
      - .address_space:  global
        .offset:         8
        .size:           8
        .value_kind:     global_buffer
      - .offset:         16
        .size:           1
        .value_kind:     by_value
    .group_segment_fixed_size: 2049
    .kernarg_segment_align: 8
    .kernarg_segment_size: 20
    .language:       OpenCL C
    .language_version:
      - 2
      - 0
    .max_flat_workgroup_size: 256
    .name:           _Z16sort_keys_kernelIhLj256ELj8EN10test_utils4lessELj10EEvPKT_PS2_T2_
    .private_segment_fixed_size: 0
    .sgpr_count:     24
    .sgpr_spill_count: 0
    .symbol:         _Z16sort_keys_kernelIhLj256ELj8EN10test_utils4lessELj10EEvPKT_PS2_T2_.kd
    .uniform_work_group_size: 1
    .uses_dynamic_stack: false
    .vgpr_count:     69
    .vgpr_spill_count: 0
    .wavefront_size: 32
    .workgroup_processor_mode: 1
  - .args:
      - .address_space:  global
        .offset:         0
        .size:           8
        .value_kind:     global_buffer
      - .address_space:  global
        .offset:         8
        .size:           8
        .value_kind:     global_buffer
      - .offset:         16
        .size:           1
        .value_kind:     by_value
    .group_segment_fixed_size: 2049
    .kernarg_segment_align: 8
    .kernarg_segment_size: 20
    .language:       OpenCL C
    .language_version:
      - 2
      - 0
    .max_flat_workgroup_size: 256
    .name:           _Z17sort_pairs_kernelIhLj256ELj8EN10test_utils4lessELj10EEvPKT_PS2_T2_
    .private_segment_fixed_size: 0
    .sgpr_count:     52
    .sgpr_spill_count: 0
    .symbol:         _Z17sort_pairs_kernelIhLj256ELj8EN10test_utils4lessELj10EEvPKT_PS2_T2_.kd
    .uniform_work_group_size: 1
    .uses_dynamic_stack: false
    .vgpr_count:     87
    .vgpr_spill_count: 0
    .wavefront_size: 32
    .workgroup_processor_mode: 1
  - .args:
      - .address_space:  global
        .offset:         0
        .size:           8
        .value_kind:     global_buffer
      - .address_space:  global
        .offset:         8
        .size:           8
        .value_kind:     global_buffer
      - .offset:         16
        .size:           1
        .value_kind:     by_value
    .group_segment_fixed_size: 513
    .kernarg_segment_align: 8
    .kernarg_segment_size: 20
    .language:       OpenCL C
    .language_version:
      - 2
      - 0
    .max_flat_workgroup_size: 512
    .name:           _Z16sort_keys_kernelIhLj512ELj1EN10test_utils4lessELj10EEvPKT_PS2_T2_
    .private_segment_fixed_size: 0
    .sgpr_count:     20
    .sgpr_spill_count: 0
    .symbol:         _Z16sort_keys_kernelIhLj512ELj1EN10test_utils4lessELj10EEvPKT_PS2_T2_.kd
    .uniform_work_group_size: 1
    .uses_dynamic_stack: false
    .vgpr_count:     58
    .vgpr_spill_count: 0
    .wavefront_size: 32
    .workgroup_processor_mode: 1
  - .args:
      - .address_space:  global
        .offset:         0
        .size:           8
        .value_kind:     global_buffer
      - .address_space:  global
        .offset:         8
        .size:           8
        .value_kind:     global_buffer
      - .offset:         16
        .size:           1
        .value_kind:     by_value
    .group_segment_fixed_size: 513
    .kernarg_segment_align: 8
    .kernarg_segment_size: 20
    .language:       OpenCL C
    .language_version:
      - 2
      - 0
    .max_flat_workgroup_size: 512
    .name:           _Z17sort_pairs_kernelIhLj512ELj1EN10test_utils4lessELj10EEvPKT_PS2_T2_
    .private_segment_fixed_size: 0
    .sgpr_count:     20
    .sgpr_spill_count: 0
    .symbol:         _Z17sort_pairs_kernelIhLj512ELj1EN10test_utils4lessELj10EEvPKT_PS2_T2_.kd
    .uniform_work_group_size: 1
    .uses_dynamic_stack: false
    .vgpr_count:     66
    .vgpr_spill_count: 0
    .wavefront_size: 32
    .workgroup_processor_mode: 1
  - .args:
      - .address_space:  global
        .offset:         0
        .size:           8
        .value_kind:     global_buffer
      - .address_space:  global
        .offset:         8
        .size:           8
        .value_kind:     global_buffer
      - .offset:         16
        .size:           1
        .value_kind:     by_value
    .group_segment_fixed_size: 1025
    .kernarg_segment_align: 8
    .kernarg_segment_size: 20
    .language:       OpenCL C
    .language_version:
      - 2
      - 0
    .max_flat_workgroup_size: 512
    .name:           _Z16sort_keys_kernelIhLj512ELj2EN10test_utils4lessELj10EEvPKT_PS2_T2_
    .private_segment_fixed_size: 0
    .sgpr_count:     20
    .sgpr_spill_count: 0
    .symbol:         _Z16sort_keys_kernelIhLj512ELj2EN10test_utils4lessELj10EEvPKT_PS2_T2_.kd
    .uniform_work_group_size: 1
    .uses_dynamic_stack: false
    .vgpr_count:     63
    .vgpr_spill_count: 0
    .wavefront_size: 32
    .workgroup_processor_mode: 1
  - .args:
      - .address_space:  global
        .offset:         0
        .size:           8
        .value_kind:     global_buffer
      - .address_space:  global
        .offset:         8
        .size:           8
        .value_kind:     global_buffer
      - .offset:         16
        .size:           1
        .value_kind:     by_value
    .group_segment_fixed_size: 1025
    .kernarg_segment_align: 8
    .kernarg_segment_size: 20
    .language:       OpenCL C
    .language_version:
      - 2
      - 0
    .max_flat_workgroup_size: 512
    .name:           _Z17sort_pairs_kernelIhLj512ELj2EN10test_utils4lessELj10EEvPKT_PS2_T2_
    .private_segment_fixed_size: 0
    .sgpr_count:     20
    .sgpr_spill_count: 0
    .symbol:         _Z17sort_pairs_kernelIhLj512ELj2EN10test_utils4lessELj10EEvPKT_PS2_T2_.kd
    .uniform_work_group_size: 1
    .uses_dynamic_stack: false
    .vgpr_count:     70
    .vgpr_spill_count: 0
    .wavefront_size: 32
    .workgroup_processor_mode: 1
  - .args:
      - .address_space:  global
        .offset:         0
        .size:           8
        .value_kind:     global_buffer
      - .address_space:  global
        .offset:         8
        .size:           8
        .value_kind:     global_buffer
      - .offset:         16
        .size:           1
        .value_kind:     by_value
    .group_segment_fixed_size: 1537
    .kernarg_segment_align: 8
    .kernarg_segment_size: 20
    .language:       OpenCL C
    .language_version:
      - 2
      - 0
    .max_flat_workgroup_size: 512
    .name:           _Z16sort_keys_kernelIhLj512ELj3EN10test_utils4lessELj10EEvPKT_PS2_T2_
    .private_segment_fixed_size: 0
    .sgpr_count:     20
    .sgpr_spill_count: 0
    .symbol:         _Z16sort_keys_kernelIhLj512ELj3EN10test_utils4lessELj10EEvPKT_PS2_T2_.kd
    .uniform_work_group_size: 1
    .uses_dynamic_stack: false
    .vgpr_count:     81
    .vgpr_spill_count: 0
    .wavefront_size: 32
    .workgroup_processor_mode: 1
  - .args:
      - .address_space:  global
        .offset:         0
        .size:           8
        .value_kind:     global_buffer
      - .address_space:  global
        .offset:         8
        .size:           8
        .value_kind:     global_buffer
      - .offset:         16
        .size:           1
        .value_kind:     by_value
    .group_segment_fixed_size: 1537
    .kernarg_segment_align: 8
    .kernarg_segment_size: 20
    .language:       OpenCL C
    .language_version:
      - 2
      - 0
    .max_flat_workgroup_size: 512
    .name:           _Z17sort_pairs_kernelIhLj512ELj3EN10test_utils4lessELj10EEvPKT_PS2_T2_
    .private_segment_fixed_size: 0
    .sgpr_count:     24
    .sgpr_spill_count: 0
    .symbol:         _Z17sort_pairs_kernelIhLj512ELj3EN10test_utils4lessELj10EEvPKT_PS2_T2_.kd
    .uniform_work_group_size: 1
    .uses_dynamic_stack: false
    .vgpr_count:     81
    .vgpr_spill_count: 0
    .wavefront_size: 32
    .workgroup_processor_mode: 1
  - .args:
      - .address_space:  global
        .offset:         0
        .size:           8
        .value_kind:     global_buffer
      - .address_space:  global
        .offset:         8
        .size:           8
        .value_kind:     global_buffer
      - .offset:         16
        .size:           1
        .value_kind:     by_value
    .group_segment_fixed_size: 2049
    .kernarg_segment_align: 8
    .kernarg_segment_size: 20
    .language:       OpenCL C
    .language_version:
      - 2
      - 0
    .max_flat_workgroup_size: 512
    .name:           _Z16sort_keys_kernelIhLj512ELj4EN10test_utils4lessELj10EEvPKT_PS2_T2_
    .private_segment_fixed_size: 0
    .sgpr_count:     21
    .sgpr_spill_count: 0
    .symbol:         _Z16sort_keys_kernelIhLj512ELj4EN10test_utils4lessELj10EEvPKT_PS2_T2_.kd
    .uniform_work_group_size: 1
    .uses_dynamic_stack: false
    .vgpr_count:     72
    .vgpr_spill_count: 0
    .wavefront_size: 32
    .workgroup_processor_mode: 1
  - .args:
      - .address_space:  global
        .offset:         0
        .size:           8
        .value_kind:     global_buffer
      - .address_space:  global
        .offset:         8
        .size:           8
        .value_kind:     global_buffer
      - .offset:         16
        .size:           1
        .value_kind:     by_value
    .group_segment_fixed_size: 2049
    .kernarg_segment_align: 8
    .kernarg_segment_size: 20
    .language:       OpenCL C
    .language_version:
      - 2
      - 0
    .max_flat_workgroup_size: 512
    .name:           _Z17sort_pairs_kernelIhLj512ELj4EN10test_utils4lessELj10EEvPKT_PS2_T2_
    .private_segment_fixed_size: 0
    .sgpr_count:     28
    .sgpr_spill_count: 0
    .symbol:         _Z17sort_pairs_kernelIhLj512ELj4EN10test_utils4lessELj10EEvPKT_PS2_T2_.kd
    .uniform_work_group_size: 1
    .uses_dynamic_stack: false
    .vgpr_count:     76
    .vgpr_spill_count: 0
    .wavefront_size: 32
    .workgroup_processor_mode: 1
  - .args:
      - .address_space:  global
        .offset:         0
        .size:           8
        .value_kind:     global_buffer
      - .address_space:  global
        .offset:         8
        .size:           8
        .value_kind:     global_buffer
      - .offset:         16
        .size:           1
        .value_kind:     by_value
    .group_segment_fixed_size: 4097
    .kernarg_segment_align: 8
    .kernarg_segment_size: 20
    .language:       OpenCL C
    .language_version:
      - 2
      - 0
    .max_flat_workgroup_size: 512
    .name:           _Z16sort_keys_kernelIhLj512ELj8EN10test_utils4lessELj10EEvPKT_PS2_T2_
    .private_segment_fixed_size: 0
    .sgpr_count:     24
    .sgpr_spill_count: 0
    .symbol:         _Z16sort_keys_kernelIhLj512ELj8EN10test_utils4lessELj10EEvPKT_PS2_T2_.kd
    .uniform_work_group_size: 1
    .uses_dynamic_stack: false
    .vgpr_count:     77
    .vgpr_spill_count: 0
    .wavefront_size: 32
    .workgroup_processor_mode: 1
  - .args:
      - .address_space:  global
        .offset:         0
        .size:           8
        .value_kind:     global_buffer
      - .address_space:  global
        .offset:         8
        .size:           8
        .value_kind:     global_buffer
      - .offset:         16
        .size:           1
        .value_kind:     by_value
    .group_segment_fixed_size: 4097
    .kernarg_segment_align: 8
    .kernarg_segment_size: 20
    .language:       OpenCL C
    .language_version:
      - 2
      - 0
    .max_flat_workgroup_size: 512
    .name:           _Z17sort_pairs_kernelIhLj512ELj8EN10test_utils4lessELj10EEvPKT_PS2_T2_
    .private_segment_fixed_size: 0
    .sgpr_count:     53
    .sgpr_spill_count: 0
    .symbol:         _Z17sort_pairs_kernelIhLj512ELj8EN10test_utils4lessELj10EEvPKT_PS2_T2_.kd
    .uniform_work_group_size: 1
    .uses_dynamic_stack: false
    .vgpr_count:     93
    .vgpr_spill_count: 0
    .wavefront_size: 32
    .workgroup_processor_mode: 1
  - .args:
      - .address_space:  global
        .offset:         0
        .size:           8
        .value_kind:     global_buffer
      - .address_space:  global
        .offset:         8
        .size:           8
        .value_kind:     global_buffer
      - .offset:         16
        .size:           1
        .value_kind:     by_value
    .group_segment_fixed_size: 520
    .kernarg_segment_align: 8
    .kernarg_segment_size: 20
    .language:       OpenCL C
    .language_version:
      - 2
      - 0
    .max_flat_workgroup_size: 64
    .name:           _Z16sort_keys_kernelIxLj64ELj1EN10test_utils4lessELj10EEvPKT_PS2_T2_
    .private_segment_fixed_size: 0
    .sgpr_count:     18
    .sgpr_spill_count: 0
    .symbol:         _Z16sort_keys_kernelIxLj64ELj1EN10test_utils4lessELj10EEvPKT_PS2_T2_.kd
    .uniform_work_group_size: 1
    .uses_dynamic_stack: false
    .vgpr_count:     48
    .vgpr_spill_count: 0
    .wavefront_size: 32
    .workgroup_processor_mode: 1
  - .args:
      - .address_space:  global
        .offset:         0
        .size:           8
        .value_kind:     global_buffer
      - .address_space:  global
        .offset:         8
        .size:           8
        .value_kind:     global_buffer
      - .offset:         16
        .size:           1
        .value_kind:     by_value
    .group_segment_fixed_size: 520
    .kernarg_segment_align: 8
    .kernarg_segment_size: 20
    .language:       OpenCL C
    .language_version:
      - 2
      - 0
    .max_flat_workgroup_size: 64
    .name:           _Z17sort_pairs_kernelIxLj64ELj1EN10test_utils4lessELj10EEvPKT_PS2_T2_
    .private_segment_fixed_size: 0
    .sgpr_count:     18
    .sgpr_spill_count: 0
    .symbol:         _Z17sort_pairs_kernelIxLj64ELj1EN10test_utils4lessELj10EEvPKT_PS2_T2_.kd
    .uniform_work_group_size: 1
    .uses_dynamic_stack: false
    .vgpr_count:     54
    .vgpr_spill_count: 0
    .wavefront_size: 32
    .workgroup_processor_mode: 1
  - .args:
      - .address_space:  global
        .offset:         0
        .size:           8
        .value_kind:     global_buffer
      - .address_space:  global
        .offset:         8
        .size:           8
        .value_kind:     global_buffer
      - .offset:         16
        .size:           1
        .value_kind:     by_value
    .group_segment_fixed_size: 1032
    .kernarg_segment_align: 8
    .kernarg_segment_size: 20
    .language:       OpenCL C
    .language_version:
      - 2
      - 0
    .max_flat_workgroup_size: 64
    .name:           _Z16sort_keys_kernelIxLj64ELj2EN10test_utils4lessELj10EEvPKT_PS2_T2_
    .private_segment_fixed_size: 0
    .sgpr_count:     18
    .sgpr_spill_count: 0
    .symbol:         _Z16sort_keys_kernelIxLj64ELj2EN10test_utils4lessELj10EEvPKT_PS2_T2_.kd
    .uniform_work_group_size: 1
    .uses_dynamic_stack: false
    .vgpr_count:     58
    .vgpr_spill_count: 0
    .wavefront_size: 32
    .workgroup_processor_mode: 1
  - .args:
      - .address_space:  global
        .offset:         0
        .size:           8
        .value_kind:     global_buffer
      - .address_space:  global
        .offset:         8
        .size:           8
        .value_kind:     global_buffer
      - .offset:         16
        .size:           1
        .value_kind:     by_value
    .group_segment_fixed_size: 1032
    .kernarg_segment_align: 8
    .kernarg_segment_size: 20
    .language:       OpenCL C
    .language_version:
      - 2
      - 0
    .max_flat_workgroup_size: 64
    .name:           _Z17sort_pairs_kernelIxLj64ELj2EN10test_utils4lessELj10EEvPKT_PS2_T2_
    .private_segment_fixed_size: 0
    .sgpr_count:     18
    .sgpr_spill_count: 0
    .symbol:         _Z17sort_pairs_kernelIxLj64ELj2EN10test_utils4lessELj10EEvPKT_PS2_T2_.kd
    .uniform_work_group_size: 1
    .uses_dynamic_stack: false
    .vgpr_count:     65
    .vgpr_spill_count: 0
    .wavefront_size: 32
    .workgroup_processor_mode: 1
  - .args:
      - .address_space:  global
        .offset:         0
        .size:           8
        .value_kind:     global_buffer
      - .address_space:  global
        .offset:         8
        .size:           8
        .value_kind:     global_buffer
      - .offset:         16
        .size:           1
        .value_kind:     by_value
    .group_segment_fixed_size: 1544
    .kernarg_segment_align: 8
    .kernarg_segment_size: 20
    .language:       OpenCL C
    .language_version:
      - 2
      - 0
    .max_flat_workgroup_size: 64
    .name:           _Z16sort_keys_kernelIxLj64ELj3EN10test_utils4lessELj10EEvPKT_PS2_T2_
    .private_segment_fixed_size: 0
    .sgpr_count:     18
    .sgpr_spill_count: 0
    .symbol:         _Z16sort_keys_kernelIxLj64ELj3EN10test_utils4lessELj10EEvPKT_PS2_T2_.kd
    .uniform_work_group_size: 1
    .uses_dynamic_stack: false
    .vgpr_count:     68
    .vgpr_spill_count: 0
    .wavefront_size: 32
    .workgroup_processor_mode: 1
  - .args:
      - .address_space:  global
        .offset:         0
        .size:           8
        .value_kind:     global_buffer
      - .address_space:  global
        .offset:         8
        .size:           8
        .value_kind:     global_buffer
      - .offset:         16
        .size:           1
        .value_kind:     by_value
    .group_segment_fixed_size: 1544
    .kernarg_segment_align: 8
    .kernarg_segment_size: 20
    .language:       OpenCL C
    .language_version:
      - 2
      - 0
    .max_flat_workgroup_size: 64
    .name:           _Z17sort_pairs_kernelIxLj64ELj3EN10test_utils4lessELj10EEvPKT_PS2_T2_
    .private_segment_fixed_size: 0
    .sgpr_count:     22
    .sgpr_spill_count: 0
    .symbol:         _Z17sort_pairs_kernelIxLj64ELj3EN10test_utils4lessELj10EEvPKT_PS2_T2_.kd
    .uniform_work_group_size: 1
    .uses_dynamic_stack: false
    .vgpr_count:     81
    .vgpr_spill_count: 0
    .wavefront_size: 32
    .workgroup_processor_mode: 1
  - .args:
      - .address_space:  global
        .offset:         0
        .size:           8
        .value_kind:     global_buffer
      - .address_space:  global
        .offset:         8
        .size:           8
        .value_kind:     global_buffer
      - .offset:         16
        .size:           1
        .value_kind:     by_value
    .group_segment_fixed_size: 2056
    .kernarg_segment_align: 8
    .kernarg_segment_size: 20
    .language:       OpenCL C
    .language_version:
      - 2
      - 0
    .max_flat_workgroup_size: 64
    .name:           _Z16sort_keys_kernelIxLj64ELj4EN10test_utils4lessELj10EEvPKT_PS2_T2_
    .private_segment_fixed_size: 0
    .sgpr_count:     18
    .sgpr_spill_count: 0
    .symbol:         _Z16sort_keys_kernelIxLj64ELj4EN10test_utils4lessELj10EEvPKT_PS2_T2_.kd
    .uniform_work_group_size: 1
    .uses_dynamic_stack: false
    .vgpr_count:     67
    .vgpr_spill_count: 0
    .wavefront_size: 32
    .workgroup_processor_mode: 1
  - .args:
      - .address_space:  global
        .offset:         0
        .size:           8
        .value_kind:     global_buffer
      - .address_space:  global
        .offset:         8
        .size:           8
        .value_kind:     global_buffer
      - .offset:         16
        .size:           1
        .value_kind:     by_value
    .group_segment_fixed_size: 2056
    .kernarg_segment_align: 8
    .kernarg_segment_size: 20
    .language:       OpenCL C
    .language_version:
      - 2
      - 0
    .max_flat_workgroup_size: 64
    .name:           _Z17sort_pairs_kernelIxLj64ELj4EN10test_utils4lessELj10EEvPKT_PS2_T2_
    .private_segment_fixed_size: 0
    .sgpr_count:     26
    .sgpr_spill_count: 0
    .symbol:         _Z17sort_pairs_kernelIxLj64ELj4EN10test_utils4lessELj10EEvPKT_PS2_T2_.kd
    .uniform_work_group_size: 1
    .uses_dynamic_stack: false
    .vgpr_count:     80
    .vgpr_spill_count: 0
    .wavefront_size: 32
    .workgroup_processor_mode: 1
  - .args:
      - .address_space:  global
        .offset:         0
        .size:           8
        .value_kind:     global_buffer
      - .address_space:  global
        .offset:         8
        .size:           8
        .value_kind:     global_buffer
      - .offset:         16
        .size:           1
        .value_kind:     by_value
    .group_segment_fixed_size: 4104
    .kernarg_segment_align: 8
    .kernarg_segment_size: 20
    .language:       OpenCL C
    .language_version:
      - 2
      - 0
    .max_flat_workgroup_size: 64
    .name:           _Z16sort_keys_kernelIxLj64ELj8EN10test_utils4lessELj10EEvPKT_PS2_T2_
    .private_segment_fixed_size: 0
    .sgpr_count:     22
    .sgpr_spill_count: 0
    .symbol:         _Z16sort_keys_kernelIxLj64ELj8EN10test_utils4lessELj10EEvPKT_PS2_T2_.kd
    .uniform_work_group_size: 1
    .uses_dynamic_stack: false
    .vgpr_count:     84
    .vgpr_spill_count: 0
    .wavefront_size: 32
    .workgroup_processor_mode: 1
  - .args:
      - .address_space:  global
        .offset:         0
        .size:           8
        .value_kind:     global_buffer
      - .address_space:  global
        .offset:         8
        .size:           8
        .value_kind:     global_buffer
      - .offset:         16
        .size:           1
        .value_kind:     by_value
    .group_segment_fixed_size: 4104
    .kernarg_segment_align: 8
    .kernarg_segment_size: 20
    .language:       OpenCL C
    .language_version:
      - 2
      - 0
    .max_flat_workgroup_size: 64
    .name:           _Z17sort_pairs_kernelIxLj64ELj8EN10test_utils4lessELj10EEvPKT_PS2_T2_
    .private_segment_fixed_size: 0
    .sgpr_count:     52
    .sgpr_spill_count: 0
    .symbol:         _Z17sort_pairs_kernelIxLj64ELj8EN10test_utils4lessELj10EEvPKT_PS2_T2_.kd
    .uniform_work_group_size: 1
    .uses_dynamic_stack: false
    .vgpr_count:     110
    .vgpr_spill_count: 0
    .wavefront_size: 32
    .workgroup_processor_mode: 1
  - .args:
      - .address_space:  global
        .offset:         0
        .size:           8
        .value_kind:     global_buffer
      - .address_space:  global
        .offset:         8
        .size:           8
        .value_kind:     global_buffer
      - .offset:         16
        .size:           1
        .value_kind:     by_value
    .group_segment_fixed_size: 1032
    .kernarg_segment_align: 8
    .kernarg_segment_size: 20
    .language:       OpenCL C
    .language_version:
      - 2
      - 0
    .max_flat_workgroup_size: 128
    .name:           _Z16sort_keys_kernelIxLj128ELj1EN10test_utils4lessELj10EEvPKT_PS2_T2_
    .private_segment_fixed_size: 0
    .sgpr_count:     18
    .sgpr_spill_count: 0
    .symbol:         _Z16sort_keys_kernelIxLj128ELj1EN10test_utils4lessELj10EEvPKT_PS2_T2_.kd
    .uniform_work_group_size: 1
    .uses_dynamic_stack: false
    .vgpr_count:     55
    .vgpr_spill_count: 0
    .wavefront_size: 32
    .workgroup_processor_mode: 1
  - .args:
      - .address_space:  global
        .offset:         0
        .size:           8
        .value_kind:     global_buffer
      - .address_space:  global
        .offset:         8
        .size:           8
        .value_kind:     global_buffer
      - .offset:         16
        .size:           1
        .value_kind:     by_value
    .group_segment_fixed_size: 1032
    .kernarg_segment_align: 8
    .kernarg_segment_size: 20
    .language:       OpenCL C
    .language_version:
      - 2
      - 0
    .max_flat_workgroup_size: 128
    .name:           _Z17sort_pairs_kernelIxLj128ELj1EN10test_utils4lessELj10EEvPKT_PS2_T2_
    .private_segment_fixed_size: 0
    .sgpr_count:     18
    .sgpr_spill_count: 0
    .symbol:         _Z17sort_pairs_kernelIxLj128ELj1EN10test_utils4lessELj10EEvPKT_PS2_T2_.kd
    .uniform_work_group_size: 1
    .uses_dynamic_stack: false
    .vgpr_count:     64
    .vgpr_spill_count: 0
    .wavefront_size: 32
    .workgroup_processor_mode: 1
  - .args:
      - .address_space:  global
        .offset:         0
        .size:           8
        .value_kind:     global_buffer
      - .address_space:  global
        .offset:         8
        .size:           8
        .value_kind:     global_buffer
      - .offset:         16
        .size:           1
        .value_kind:     by_value
    .group_segment_fixed_size: 2056
    .kernarg_segment_align: 8
    .kernarg_segment_size: 20
    .language:       OpenCL C
    .language_version:
      - 2
      - 0
    .max_flat_workgroup_size: 128
    .name:           _Z16sort_keys_kernelIxLj128ELj2EN10test_utils4lessELj10EEvPKT_PS2_T2_
    .private_segment_fixed_size: 0
    .sgpr_count:     18
    .sgpr_spill_count: 0
    .symbol:         _Z16sort_keys_kernelIxLj128ELj2EN10test_utils4lessELj10EEvPKT_PS2_T2_.kd
    .uniform_work_group_size: 1
    .uses_dynamic_stack: false
    .vgpr_count:     66
    .vgpr_spill_count: 0
    .wavefront_size: 32
    .workgroup_processor_mode: 1
  - .args:
      - .address_space:  global
        .offset:         0
        .size:           8
        .value_kind:     global_buffer
      - .address_space:  global
        .offset:         8
        .size:           8
        .value_kind:     global_buffer
      - .offset:         16
        .size:           1
        .value_kind:     by_value
    .group_segment_fixed_size: 2056
    .kernarg_segment_align: 8
    .kernarg_segment_size: 20
    .language:       OpenCL C
    .language_version:
      - 2
      - 0
    .max_flat_workgroup_size: 128
    .name:           _Z17sort_pairs_kernelIxLj128ELj2EN10test_utils4lessELj10EEvPKT_PS2_T2_
    .private_segment_fixed_size: 0
    .sgpr_count:     20
    .sgpr_spill_count: 0
    .symbol:         _Z17sort_pairs_kernelIxLj128ELj2EN10test_utils4lessELj10EEvPKT_PS2_T2_.kd
    .uniform_work_group_size: 1
    .uses_dynamic_stack: false
    .vgpr_count:     73
    .vgpr_spill_count: 0
    .wavefront_size: 32
    .workgroup_processor_mode: 1
  - .args:
      - .address_space:  global
        .offset:         0
        .size:           8
        .value_kind:     global_buffer
      - .address_space:  global
        .offset:         8
        .size:           8
        .value_kind:     global_buffer
      - .offset:         16
        .size:           1
        .value_kind:     by_value
    .group_segment_fixed_size: 3080
    .kernarg_segment_align: 8
    .kernarg_segment_size: 20
    .language:       OpenCL C
    .language_version:
      - 2
      - 0
    .max_flat_workgroup_size: 128
    .name:           _Z16sort_keys_kernelIxLj128ELj3EN10test_utils4lessELj10EEvPKT_PS2_T2_
    .private_segment_fixed_size: 0
    .sgpr_count:     20
    .sgpr_spill_count: 0
    .symbol:         _Z16sort_keys_kernelIxLj128ELj3EN10test_utils4lessELj10EEvPKT_PS2_T2_.kd
    .uniform_work_group_size: 1
    .uses_dynamic_stack: false
    .vgpr_count:     77
    .vgpr_spill_count: 0
    .wavefront_size: 32
    .workgroup_processor_mode: 1
  - .args:
      - .address_space:  global
        .offset:         0
        .size:           8
        .value_kind:     global_buffer
      - .address_space:  global
        .offset:         8
        .size:           8
        .value_kind:     global_buffer
      - .offset:         16
        .size:           1
        .value_kind:     by_value
    .group_segment_fixed_size: 3080
    .kernarg_segment_align: 8
    .kernarg_segment_size: 20
    .language:       OpenCL C
    .language_version:
      - 2
      - 0
    .max_flat_workgroup_size: 128
    .name:           _Z17sort_pairs_kernelIxLj128ELj3EN10test_utils4lessELj10EEvPKT_PS2_T2_
    .private_segment_fixed_size: 0
    .sgpr_count:     22
    .sgpr_spill_count: 0
    .symbol:         _Z17sort_pairs_kernelIxLj128ELj3EN10test_utils4lessELj10EEvPKT_PS2_T2_.kd
    .uniform_work_group_size: 1
    .uses_dynamic_stack: false
    .vgpr_count:     90
    .vgpr_spill_count: 0
    .wavefront_size: 32
    .workgroup_processor_mode: 1
  - .args:
      - .address_space:  global
        .offset:         0
        .size:           8
        .value_kind:     global_buffer
      - .address_space:  global
        .offset:         8
        .size:           8
        .value_kind:     global_buffer
      - .offset:         16
        .size:           1
        .value_kind:     by_value
    .group_segment_fixed_size: 4104
    .kernarg_segment_align: 8
    .kernarg_segment_size: 20
    .language:       OpenCL C
    .language_version:
      - 2
      - 0
    .max_flat_workgroup_size: 128
    .name:           _Z16sort_keys_kernelIxLj128ELj4EN10test_utils4lessELj10EEvPKT_PS2_T2_
    .private_segment_fixed_size: 0
    .sgpr_count:     20
    .sgpr_spill_count: 0
    .symbol:         _Z16sort_keys_kernelIxLj128ELj4EN10test_utils4lessELj10EEvPKT_PS2_T2_.kd
    .uniform_work_group_size: 1
    .uses_dynamic_stack: false
    .vgpr_count:     75
    .vgpr_spill_count: 0
    .wavefront_size: 32
    .workgroup_processor_mode: 1
  - .args:
      - .address_space:  global
        .offset:         0
        .size:           8
        .value_kind:     global_buffer
      - .address_space:  global
        .offset:         8
        .size:           8
        .value_kind:     global_buffer
      - .offset:         16
        .size:           1
        .value_kind:     by_value
    .group_segment_fixed_size: 4104
    .kernarg_segment_align: 8
    .kernarg_segment_size: 20
    .language:       OpenCL C
    .language_version:
      - 2
      - 0
    .max_flat_workgroup_size: 128
    .name:           _Z17sort_pairs_kernelIxLj128ELj4EN10test_utils4lessELj10EEvPKT_PS2_T2_
    .private_segment_fixed_size: 0
    .sgpr_count:     26
    .sgpr_spill_count: 0
    .symbol:         _Z17sort_pairs_kernelIxLj128ELj4EN10test_utils4lessELj10EEvPKT_PS2_T2_.kd
    .uniform_work_group_size: 1
    .uses_dynamic_stack: false
    .vgpr_count:     88
    .vgpr_spill_count: 0
    .wavefront_size: 32
    .workgroup_processor_mode: 1
  - .args:
      - .address_space:  global
        .offset:         0
        .size:           8
        .value_kind:     global_buffer
      - .address_space:  global
        .offset:         8
        .size:           8
        .value_kind:     global_buffer
      - .offset:         16
        .size:           1
        .value_kind:     by_value
    .group_segment_fixed_size: 8200
    .kernarg_segment_align: 8
    .kernarg_segment_size: 20
    .language:       OpenCL C
    .language_version:
      - 2
      - 0
    .max_flat_workgroup_size: 128
    .name:           _Z16sort_keys_kernelIxLj128ELj8EN10test_utils4lessELj10EEvPKT_PS2_T2_
    .private_segment_fixed_size: 0
    .sgpr_count:     24
    .sgpr_spill_count: 0
    .symbol:         _Z16sort_keys_kernelIxLj128ELj8EN10test_utils4lessELj10EEvPKT_PS2_T2_.kd
    .uniform_work_group_size: 1
    .uses_dynamic_stack: false
    .vgpr_count:     92
    .vgpr_spill_count: 0
    .wavefront_size: 32
    .workgroup_processor_mode: 1
  - .args:
      - .address_space:  global
        .offset:         0
        .size:           8
        .value_kind:     global_buffer
      - .address_space:  global
        .offset:         8
        .size:           8
        .value_kind:     global_buffer
      - .offset:         16
        .size:           1
        .value_kind:     by_value
    .group_segment_fixed_size: 8200
    .kernarg_segment_align: 8
    .kernarg_segment_size: 20
    .language:       OpenCL C
    .language_version:
      - 2
      - 0
    .max_flat_workgroup_size: 128
    .name:           _Z17sort_pairs_kernelIxLj128ELj8EN10test_utils4lessELj10EEvPKT_PS2_T2_
    .private_segment_fixed_size: 0
    .sgpr_count:     54
    .sgpr_spill_count: 0
    .symbol:         _Z17sort_pairs_kernelIxLj128ELj8EN10test_utils4lessELj10EEvPKT_PS2_T2_.kd
    .uniform_work_group_size: 1
    .uses_dynamic_stack: false
    .vgpr_count:     118
    .vgpr_spill_count: 0
    .wavefront_size: 32
    .workgroup_processor_mode: 1
  - .args:
      - .address_space:  global
        .offset:         0
        .size:           8
        .value_kind:     global_buffer
      - .address_space:  global
        .offset:         8
        .size:           8
        .value_kind:     global_buffer
      - .offset:         16
        .size:           1
        .value_kind:     by_value
    .group_segment_fixed_size: 2056
    .kernarg_segment_align: 8
    .kernarg_segment_size: 20
    .language:       OpenCL C
    .language_version:
      - 2
      - 0
    .max_flat_workgroup_size: 256
    .name:           _Z16sort_keys_kernelIxLj256ELj1EN10test_utils4lessELj10EEvPKT_PS2_T2_
    .private_segment_fixed_size: 0
    .sgpr_count:     18
    .sgpr_spill_count: 0
    .symbol:         _Z16sort_keys_kernelIxLj256ELj1EN10test_utils4lessELj10EEvPKT_PS2_T2_.kd
    .uniform_work_group_size: 1
    .uses_dynamic_stack: false
    .vgpr_count:     62
    .vgpr_spill_count: 0
    .wavefront_size: 32
    .workgroup_processor_mode: 1
  - .args:
      - .address_space:  global
        .offset:         0
        .size:           8
        .value_kind:     global_buffer
      - .address_space:  global
        .offset:         8
        .size:           8
        .value_kind:     global_buffer
      - .offset:         16
        .size:           1
        .value_kind:     by_value
    .group_segment_fixed_size: 2056
    .kernarg_segment_align: 8
    .kernarg_segment_size: 20
    .language:       OpenCL C
    .language_version:
      - 2
      - 0
    .max_flat_workgroup_size: 256
    .name:           _Z17sort_pairs_kernelIxLj256ELj1EN10test_utils4lessELj10EEvPKT_PS2_T2_
    .private_segment_fixed_size: 0
    .sgpr_count:     18
    .sgpr_spill_count: 0
    .symbol:         _Z17sort_pairs_kernelIxLj256ELj1EN10test_utils4lessELj10EEvPKT_PS2_T2_.kd
    .uniform_work_group_size: 1
    .uses_dynamic_stack: false
    .vgpr_count:     74
    .vgpr_spill_count: 0
    .wavefront_size: 32
    .workgroup_processor_mode: 1
  - .args:
      - .address_space:  global
        .offset:         0
        .size:           8
        .value_kind:     global_buffer
      - .address_space:  global
        .offset:         8
        .size:           8
        .value_kind:     global_buffer
      - .offset:         16
        .size:           1
        .value_kind:     by_value
    .group_segment_fixed_size: 4104
    .kernarg_segment_align: 8
    .kernarg_segment_size: 20
    .language:       OpenCL C
    .language_version:
      - 2
      - 0
    .max_flat_workgroup_size: 256
    .name:           _Z16sort_keys_kernelIxLj256ELj2EN10test_utils4lessELj10EEvPKT_PS2_T2_
    .private_segment_fixed_size: 0
    .sgpr_count:     20
    .sgpr_spill_count: 0
    .symbol:         _Z16sort_keys_kernelIxLj256ELj2EN10test_utils4lessELj10EEvPKT_PS2_T2_.kd
    .uniform_work_group_size: 1
    .uses_dynamic_stack: false
    .vgpr_count:     74
    .vgpr_spill_count: 0
    .wavefront_size: 32
    .workgroup_processor_mode: 1
  - .args:
      - .address_space:  global
        .offset:         0
        .size:           8
        .value_kind:     global_buffer
      - .address_space:  global
        .offset:         8
        .size:           8
        .value_kind:     global_buffer
      - .offset:         16
        .size:           1
        .value_kind:     by_value
    .group_segment_fixed_size: 4104
    .kernarg_segment_align: 8
    .kernarg_segment_size: 20
    .language:       OpenCL C
    .language_version:
      - 2
      - 0
    .max_flat_workgroup_size: 256
    .name:           _Z17sort_pairs_kernelIxLj256ELj2EN10test_utils4lessELj10EEvPKT_PS2_T2_
    .private_segment_fixed_size: 0
    .sgpr_count:     22
    .sgpr_spill_count: 0
    .symbol:         _Z17sort_pairs_kernelIxLj256ELj2EN10test_utils4lessELj10EEvPKT_PS2_T2_.kd
    .uniform_work_group_size: 1
    .uses_dynamic_stack: false
    .vgpr_count:     81
    .vgpr_spill_count: 0
    .wavefront_size: 32
    .workgroup_processor_mode: 1
  - .args:
      - .address_space:  global
        .offset:         0
        .size:           8
        .value_kind:     global_buffer
      - .address_space:  global
        .offset:         8
        .size:           8
        .value_kind:     global_buffer
      - .offset:         16
        .size:           1
        .value_kind:     by_value
    .group_segment_fixed_size: 6152
    .kernarg_segment_align: 8
    .kernarg_segment_size: 20
    .language:       OpenCL C
    .language_version:
      - 2
      - 0
    .max_flat_workgroup_size: 256
    .name:           _Z16sort_keys_kernelIxLj256ELj3EN10test_utils4lessELj10EEvPKT_PS2_T2_
    .private_segment_fixed_size: 0
    .sgpr_count:     22
    .sgpr_spill_count: 0
    .symbol:         _Z16sort_keys_kernelIxLj256ELj3EN10test_utils4lessELj10EEvPKT_PS2_T2_.kd
    .uniform_work_group_size: 1
    .uses_dynamic_stack: false
    .vgpr_count:     87
    .vgpr_spill_count: 0
    .wavefront_size: 32
    .workgroup_processor_mode: 1
  - .args:
      - .address_space:  global
        .offset:         0
        .size:           8
        .value_kind:     global_buffer
      - .address_space:  global
        .offset:         8
        .size:           8
        .value_kind:     global_buffer
      - .offset:         16
        .size:           1
        .value_kind:     by_value
    .group_segment_fixed_size: 6152
    .kernarg_segment_align: 8
    .kernarg_segment_size: 20
    .language:       OpenCL C
    .language_version:
      - 2
      - 0
    .max_flat_workgroup_size: 256
    .name:           _Z17sort_pairs_kernelIxLj256ELj3EN10test_utils4lessELj10EEvPKT_PS2_T2_
    .private_segment_fixed_size: 0
    .sgpr_count:     22
    .sgpr_spill_count: 0
    .symbol:         _Z17sort_pairs_kernelIxLj256ELj3EN10test_utils4lessELj10EEvPKT_PS2_T2_.kd
    .uniform_work_group_size: 1
    .uses_dynamic_stack: false
    .vgpr_count:     98
    .vgpr_spill_count: 0
    .wavefront_size: 32
    .workgroup_processor_mode: 1
  - .args:
      - .address_space:  global
        .offset:         0
        .size:           8
        .value_kind:     global_buffer
      - .address_space:  global
        .offset:         8
        .size:           8
        .value_kind:     global_buffer
      - .offset:         16
        .size:           1
        .value_kind:     by_value
    .group_segment_fixed_size: 8200
    .kernarg_segment_align: 8
    .kernarg_segment_size: 20
    .language:       OpenCL C
    .language_version:
      - 2
      - 0
    .max_flat_workgroup_size: 256
    .name:           _Z16sort_keys_kernelIxLj256ELj4EN10test_utils4lessELj10EEvPKT_PS2_T2_
    .private_segment_fixed_size: 0
    .sgpr_count:     22
    .sgpr_spill_count: 0
    .symbol:         _Z16sort_keys_kernelIxLj256ELj4EN10test_utils4lessELj10EEvPKT_PS2_T2_.kd
    .uniform_work_group_size: 1
    .uses_dynamic_stack: false
    .vgpr_count:     83
    .vgpr_spill_count: 0
    .wavefront_size: 32
    .workgroup_processor_mode: 1
  - .args:
      - .address_space:  global
        .offset:         0
        .size:           8
        .value_kind:     global_buffer
      - .address_space:  global
        .offset:         8
        .size:           8
        .value_kind:     global_buffer
      - .offset:         16
        .size:           1
        .value_kind:     by_value
    .group_segment_fixed_size: 8200
    .kernarg_segment_align: 8
    .kernarg_segment_size: 20
    .language:       OpenCL C
    .language_version:
      - 2
      - 0
    .max_flat_workgroup_size: 256
    .name:           _Z17sort_pairs_kernelIxLj256ELj4EN10test_utils4lessELj10EEvPKT_PS2_T2_
    .private_segment_fixed_size: 0
    .sgpr_count:     26
    .sgpr_spill_count: 0
    .symbol:         _Z17sort_pairs_kernelIxLj256ELj4EN10test_utils4lessELj10EEvPKT_PS2_T2_.kd
    .uniform_work_group_size: 1
    .uses_dynamic_stack: false
    .vgpr_count:     96
    .vgpr_spill_count: 0
    .wavefront_size: 32
    .workgroup_processor_mode: 1
  - .args:
      - .address_space:  global
        .offset:         0
        .size:           8
        .value_kind:     global_buffer
      - .address_space:  global
        .offset:         8
        .size:           8
        .value_kind:     global_buffer
      - .offset:         16
        .size:           1
        .value_kind:     by_value
    .group_segment_fixed_size: 16392
    .kernarg_segment_align: 8
    .kernarg_segment_size: 20
    .language:       OpenCL C
    .language_version:
      - 2
      - 0
    .max_flat_workgroup_size: 256
    .name:           _Z16sort_keys_kernelIxLj256ELj8EN10test_utils4lessELj10EEvPKT_PS2_T2_
    .private_segment_fixed_size: 0
    .sgpr_count:     26
    .sgpr_spill_count: 0
    .symbol:         _Z16sort_keys_kernelIxLj256ELj8EN10test_utils4lessELj10EEvPKT_PS2_T2_.kd
    .uniform_work_group_size: 1
    .uses_dynamic_stack: false
    .vgpr_count:     100
    .vgpr_spill_count: 0
    .wavefront_size: 32
    .workgroup_processor_mode: 1
  - .args:
      - .address_space:  global
        .offset:         0
        .size:           8
        .value_kind:     global_buffer
      - .address_space:  global
        .offset:         8
        .size:           8
        .value_kind:     global_buffer
      - .offset:         16
        .size:           1
        .value_kind:     by_value
    .group_segment_fixed_size: 16392
    .kernarg_segment_align: 8
    .kernarg_segment_size: 20
    .language:       OpenCL C
    .language_version:
      - 2
      - 0
    .max_flat_workgroup_size: 256
    .name:           _Z17sort_pairs_kernelIxLj256ELj8EN10test_utils4lessELj10EEvPKT_PS2_T2_
    .private_segment_fixed_size: 0
    .sgpr_count:     54
    .sgpr_spill_count: 0
    .symbol:         _Z17sort_pairs_kernelIxLj256ELj8EN10test_utils4lessELj10EEvPKT_PS2_T2_.kd
    .uniform_work_group_size: 1
    .uses_dynamic_stack: false
    .vgpr_count:     126
    .vgpr_spill_count: 0
    .wavefront_size: 32
    .workgroup_processor_mode: 1
  - .args:
      - .address_space:  global
        .offset:         0
        .size:           8
        .value_kind:     global_buffer
      - .address_space:  global
        .offset:         8
        .size:           8
        .value_kind:     global_buffer
      - .offset:         16
        .size:           1
        .value_kind:     by_value
    .group_segment_fixed_size: 4104
    .kernarg_segment_align: 8
    .kernarg_segment_size: 20
    .language:       OpenCL C
    .language_version:
      - 2
      - 0
    .max_flat_workgroup_size: 512
    .name:           _Z16sort_keys_kernelIxLj512ELj1EN10test_utils4lessELj10EEvPKT_PS2_T2_
    .private_segment_fixed_size: 0
    .sgpr_count:     20
    .sgpr_spill_count: 0
    .symbol:         _Z16sort_keys_kernelIxLj512ELj1EN10test_utils4lessELj10EEvPKT_PS2_T2_.kd
    .uniform_work_group_size: 1
    .uses_dynamic_stack: false
    .vgpr_count:     71
    .vgpr_spill_count: 0
    .wavefront_size: 32
    .workgroup_processor_mode: 1
  - .args:
      - .address_space:  global
        .offset:         0
        .size:           8
        .value_kind:     global_buffer
      - .address_space:  global
        .offset:         8
        .size:           8
        .value_kind:     global_buffer
      - .offset:         16
        .size:           1
        .value_kind:     by_value
    .group_segment_fixed_size: 4104
    .kernarg_segment_align: 8
    .kernarg_segment_size: 20
    .language:       OpenCL C
    .language_version:
      - 2
      - 0
    .max_flat_workgroup_size: 512
    .name:           _Z17sort_pairs_kernelIxLj512ELj1EN10test_utils4lessELj10EEvPKT_PS2_T2_
    .private_segment_fixed_size: 0
    .sgpr_count:     20
    .sgpr_spill_count: 0
    .symbol:         _Z17sort_pairs_kernelIxLj512ELj1EN10test_utils4lessELj10EEvPKT_PS2_T2_.kd
    .uniform_work_group_size: 1
    .uses_dynamic_stack: false
    .vgpr_count:     84
    .vgpr_spill_count: 0
    .wavefront_size: 32
    .workgroup_processor_mode: 1
  - .args:
      - .address_space:  global
        .offset:         0
        .size:           8
        .value_kind:     global_buffer
      - .address_space:  global
        .offset:         8
        .size:           8
        .value_kind:     global_buffer
      - .offset:         16
        .size:           1
        .value_kind:     by_value
    .group_segment_fixed_size: 8200
    .kernarg_segment_align: 8
    .kernarg_segment_size: 20
    .language:       OpenCL C
    .language_version:
      - 2
      - 0
    .max_flat_workgroup_size: 512
    .name:           _Z16sort_keys_kernelIxLj512ELj2EN10test_utils4lessELj10EEvPKT_PS2_T2_
    .private_segment_fixed_size: 0
    .sgpr_count:     22
    .sgpr_spill_count: 0
    .symbol:         _Z16sort_keys_kernelIxLj512ELj2EN10test_utils4lessELj10EEvPKT_PS2_T2_.kd
    .uniform_work_group_size: 1
    .uses_dynamic_stack: false
    .vgpr_count:     82
    .vgpr_spill_count: 0
    .wavefront_size: 32
    .workgroup_processor_mode: 1
  - .args:
      - .address_space:  global
        .offset:         0
        .size:           8
        .value_kind:     global_buffer
      - .address_space:  global
        .offset:         8
        .size:           8
        .value_kind:     global_buffer
      - .offset:         16
        .size:           1
        .value_kind:     by_value
    .group_segment_fixed_size: 8200
    .kernarg_segment_align: 8
    .kernarg_segment_size: 20
    .language:       OpenCL C
    .language_version:
      - 2
      - 0
    .max_flat_workgroup_size: 512
    .name:           _Z17sort_pairs_kernelIxLj512ELj2EN10test_utils4lessELj10EEvPKT_PS2_T2_
    .private_segment_fixed_size: 0
    .sgpr_count:     22
    .sgpr_spill_count: 0
    .symbol:         _Z17sort_pairs_kernelIxLj512ELj2EN10test_utils4lessELj10EEvPKT_PS2_T2_.kd
    .uniform_work_group_size: 1
    .uses_dynamic_stack: false
    .vgpr_count:     89
    .vgpr_spill_count: 0
    .wavefront_size: 32
    .workgroup_processor_mode: 1
  - .args:
      - .address_space:  global
        .offset:         0
        .size:           8
        .value_kind:     global_buffer
      - .address_space:  global
        .offset:         8
        .size:           8
        .value_kind:     global_buffer
      - .offset:         16
        .size:           1
        .value_kind:     by_value
    .group_segment_fixed_size: 12296
    .kernarg_segment_align: 8
    .kernarg_segment_size: 20
    .language:       OpenCL C
    .language_version:
      - 2
      - 0
    .max_flat_workgroup_size: 512
    .name:           _Z16sort_keys_kernelIxLj512ELj3EN10test_utils4lessELj10EEvPKT_PS2_T2_
    .private_segment_fixed_size: 0
    .sgpr_count:     22
    .sgpr_spill_count: 0
    .symbol:         _Z16sort_keys_kernelIxLj512ELj3EN10test_utils4lessELj10EEvPKT_PS2_T2_.kd
    .uniform_work_group_size: 1
    .uses_dynamic_stack: false
    .vgpr_count:     95
    .vgpr_spill_count: 0
    .wavefront_size: 32
    .workgroup_processor_mode: 1
  - .args:
      - .address_space:  global
        .offset:         0
        .size:           8
        .value_kind:     global_buffer
      - .address_space:  global
        .offset:         8
        .size:           8
        .value_kind:     global_buffer
      - .offset:         16
        .size:           1
        .value_kind:     by_value
    .group_segment_fixed_size: 12296
    .kernarg_segment_align: 8
    .kernarg_segment_size: 20
    .language:       OpenCL C
    .language_version:
      - 2
      - 0
    .max_flat_workgroup_size: 512
    .name:           _Z17sort_pairs_kernelIxLj512ELj3EN10test_utils4lessELj10EEvPKT_PS2_T2_
    .private_segment_fixed_size: 0
    .sgpr_count:     24
    .sgpr_spill_count: 0
    .symbol:         _Z17sort_pairs_kernelIxLj512ELj3EN10test_utils4lessELj10EEvPKT_PS2_T2_.kd
    .uniform_work_group_size: 1
    .uses_dynamic_stack: false
    .vgpr_count:     108
    .vgpr_spill_count: 0
    .wavefront_size: 32
    .workgroup_processor_mode: 1
  - .args:
      - .address_space:  global
        .offset:         0
        .size:           8
        .value_kind:     global_buffer
      - .address_space:  global
        .offset:         8
        .size:           8
        .value_kind:     global_buffer
      - .offset:         16
        .size:           1
        .value_kind:     by_value
    .group_segment_fixed_size: 16392
    .kernarg_segment_align: 8
    .kernarg_segment_size: 20
    .language:       OpenCL C
    .language_version:
      - 2
      - 0
    .max_flat_workgroup_size: 512
    .name:           _Z16sort_keys_kernelIxLj512ELj4EN10test_utils4lessELj10EEvPKT_PS2_T2_
    .private_segment_fixed_size: 0
    .sgpr_count:     22
    .sgpr_spill_count: 0
    .symbol:         _Z16sort_keys_kernelIxLj512ELj4EN10test_utils4lessELj10EEvPKT_PS2_T2_.kd
    .uniform_work_group_size: 1
    .uses_dynamic_stack: false
    .vgpr_count:     91
    .vgpr_spill_count: 0
    .wavefront_size: 32
    .workgroup_processor_mode: 1
  - .args:
      - .address_space:  global
        .offset:         0
        .size:           8
        .value_kind:     global_buffer
      - .address_space:  global
        .offset:         8
        .size:           8
        .value_kind:     global_buffer
      - .offset:         16
        .size:           1
        .value_kind:     by_value
    .group_segment_fixed_size: 16392
    .kernarg_segment_align: 8
    .kernarg_segment_size: 20
    .language:       OpenCL C
    .language_version:
      - 2
      - 0
    .max_flat_workgroup_size: 512
    .name:           _Z17sort_pairs_kernelIxLj512ELj4EN10test_utils4lessELj10EEvPKT_PS2_T2_
    .private_segment_fixed_size: 0
    .sgpr_count:     28
    .sgpr_spill_count: 0
    .symbol:         _Z17sort_pairs_kernelIxLj512ELj4EN10test_utils4lessELj10EEvPKT_PS2_T2_.kd
    .uniform_work_group_size: 1
    .uses_dynamic_stack: false
    .vgpr_count:     103
    .vgpr_spill_count: 0
    .wavefront_size: 32
    .workgroup_processor_mode: 1
  - .args:
      - .address_space:  global
        .offset:         0
        .size:           8
        .value_kind:     global_buffer
      - .address_space:  global
        .offset:         8
        .size:           8
        .value_kind:     global_buffer
      - .offset:         16
        .size:           1
        .value_kind:     by_value
    .group_segment_fixed_size: 32776
    .kernarg_segment_align: 8
    .kernarg_segment_size: 20
    .language:       OpenCL C
    .language_version:
      - 2
      - 0
    .max_flat_workgroup_size: 512
    .name:           _Z16sort_keys_kernelIxLj512ELj8EN10test_utils4lessELj10EEvPKT_PS2_T2_
    .private_segment_fixed_size: 0
    .sgpr_count:     26
    .sgpr_spill_count: 0
    .symbol:         _Z16sort_keys_kernelIxLj512ELj8EN10test_utils4lessELj10EEvPKT_PS2_T2_.kd
    .uniform_work_group_size: 1
    .uses_dynamic_stack: false
    .vgpr_count:     108
    .vgpr_spill_count: 0
    .wavefront_size: 32
    .workgroup_processor_mode: 1
  - .args:
      - .address_space:  global
        .offset:         0
        .size:           8
        .value_kind:     global_buffer
      - .address_space:  global
        .offset:         8
        .size:           8
        .value_kind:     global_buffer
      - .offset:         16
        .size:           1
        .value_kind:     by_value
    .group_segment_fixed_size: 32776
    .kernarg_segment_align: 8
    .kernarg_segment_size: 20
    .language:       OpenCL C
    .language_version:
      - 2
      - 0
    .max_flat_workgroup_size: 512
    .name:           _Z17sort_pairs_kernelIxLj512ELj8EN10test_utils4lessELj10EEvPKT_PS2_T2_
    .private_segment_fixed_size: 0
    .sgpr_count:     54
    .sgpr_spill_count: 0
    .symbol:         _Z17sort_pairs_kernelIxLj512ELj8EN10test_utils4lessELj10EEvPKT_PS2_T2_.kd
    .uniform_work_group_size: 1
    .uses_dynamic_stack: false
    .vgpr_count:     134
    .vgpr_spill_count: 0
    .wavefront_size: 32
    .workgroup_processor_mode: 1
amdhsa.target:   amdgcn-amd-amdhsa--gfx1201
amdhsa.version:
  - 1
  - 2
...

	.end_amdgpu_metadata
